;; amdgpu-corpus repo=vllm-project/vllm kind=compiled arch=gfx90a opt=O3
	.text
	.amdgcn_target "amdgcn-amd-amdhsa--gfx90a"
	.amdhsa_code_object_version 6
	.section	.text._ZL16dequantize_blockILi32ELi2EXadL_ZL15dequantize_q4_0PKviiR7__half2EEfEvS1_PT2_l,"axG",@progbits,_ZL16dequantize_blockILi32ELi2EXadL_ZL15dequantize_q4_0PKviiR7__half2EEfEvS1_PT2_l,comdat
	.globl	_ZL16dequantize_blockILi32ELi2EXadL_ZL15dequantize_q4_0PKviiR7__half2EEfEvS1_PT2_l ; -- Begin function _ZL16dequantize_blockILi32ELi2EXadL_ZL15dequantize_q4_0PKviiR7__half2EEfEvS1_PT2_l
	.p2align	8
	.type	_ZL16dequantize_blockILi32ELi2EXadL_ZL15dequantize_q4_0PKviiR7__half2EEfEvS1_PT2_l,@function
_ZL16dequantize_blockILi32ELi2EXadL_ZL15dequantize_q4_0PKviiR7__half2EEfEvS1_PT2_l: ; @_ZL16dequantize_blockILi32ELi2EXadL_ZL15dequantize_q4_0PKviiR7__half2EEfEvS1_PT2_l
; %bb.0:
	s_load_dword s2, s[4:5], 0x24
	s_load_dwordx2 s[0:1], s[4:5], 0x10
	v_mov_b32_e32 v1, 0
	v_mov_b32_e32 v2, s6
	s_waitcnt lgkmcnt(0)
	s_and_b32 s2, s2, 0xffff
	v_mad_u64_u32 v[2:3], s[2:3], s2, v2, v[0:1]
	v_lshlrev_b64 v[0:1], 1, v[2:3]
	v_cmp_gt_i64_e32 vcc, s[0:1], v[0:1]
	s_and_saveexec_b64 s[0:1], vcc
	s_cbranch_execz .LBB0_2
; %bb.1:
	s_load_dwordx4 s[0:3], s[4:5], 0x0
	v_and_b32_e32 v1, 15, v2
	v_alignbit_b32 v2, v3, v2, 4
	s_waitcnt lgkmcnt(0)
	v_mad_i64_i32 v[2:3], s[0:1], v2, 18, s[0:1]
	v_add_co_u32_e32 v4, vcc, v2, v1
	v_addc_co_u32_e32 v5, vcc, 0, v3, vcc
	global_load_ubyte v6, v[4:5], off offset:2
	global_load_ushort v7, v[2:3], off
	s_movk_i32 s1, 0xffe0
	v_and_or_b32 v0, v0, s1, v1
	s_mov_b32 s0, 0xc800
	v_mov_b32_e32 v4, s3
	s_waitcnt vmcnt(1)
	v_and_b32_e32 v1, 15, v6
	v_lshrrev_b32_e32 v2, 4, v6
	v_cvt_f32_ubyte0_e32 v1, v1
	v_cvt_f32_ubyte0_e32 v2, v2
	v_cvt_f16_f32_e32 v3, v1
	v_cvt_f16_f32_e32 v2, v2
	v_ashrrev_i32_e32 v1, 31, v0
	v_lshlrev_b64 v[0:1], 2, v[0:1]
	v_add_co_u32_e32 v0, vcc, s2, v0
	v_pack_b32_f16 v2, v3, v2
	v_pk_add_f16 v2, v2, s0 op_sel_hi:[1,0]
	s_waitcnt vmcnt(0)
	v_pk_mul_f16 v2, v7, v2 op_sel_hi:[0,1]
	v_cvt_f32_f16_e32 v3, v2
	v_cvt_f32_f16_sdwa v2, v2 dst_sel:DWORD dst_unused:UNUSED_PAD src0_sel:WORD_1
	v_addc_co_u32_e32 v1, vcc, v4, v1, vcc
	global_store_dword v[0:1], v3, off
	global_store_dword v[0:1], v2, off offset:64
.LBB0_2:
	s_endpgm
	.section	.rodata,"a",@progbits
	.p2align	6, 0x0
	.amdhsa_kernel _ZL16dequantize_blockILi32ELi2EXadL_ZL15dequantize_q4_0PKviiR7__half2EEfEvS1_PT2_l
		.amdhsa_group_segment_fixed_size 0
		.amdhsa_private_segment_fixed_size 0
		.amdhsa_kernarg_size 280
		.amdhsa_user_sgpr_count 6
		.amdhsa_user_sgpr_private_segment_buffer 1
		.amdhsa_user_sgpr_dispatch_ptr 0
		.amdhsa_user_sgpr_queue_ptr 0
		.amdhsa_user_sgpr_kernarg_segment_ptr 1
		.amdhsa_user_sgpr_dispatch_id 0
		.amdhsa_user_sgpr_flat_scratch_init 0
		.amdhsa_user_sgpr_kernarg_preload_length 0
		.amdhsa_user_sgpr_kernarg_preload_offset 0
		.amdhsa_user_sgpr_private_segment_size 0
		.amdhsa_uses_dynamic_stack 0
		.amdhsa_system_sgpr_private_segment_wavefront_offset 0
		.amdhsa_system_sgpr_workgroup_id_x 1
		.amdhsa_system_sgpr_workgroup_id_y 0
		.amdhsa_system_sgpr_workgroup_id_z 0
		.amdhsa_system_sgpr_workgroup_info 0
		.amdhsa_system_vgpr_workitem_id 0
		.amdhsa_next_free_vgpr 8
		.amdhsa_next_free_sgpr 7
		.amdhsa_accum_offset 8
		.amdhsa_reserve_vcc 1
		.amdhsa_reserve_flat_scratch 0
		.amdhsa_float_round_mode_32 0
		.amdhsa_float_round_mode_16_64 0
		.amdhsa_float_denorm_mode_32 3
		.amdhsa_float_denorm_mode_16_64 3
		.amdhsa_dx10_clamp 1
		.amdhsa_ieee_mode 1
		.amdhsa_fp16_overflow 0
		.amdhsa_tg_split 0
		.amdhsa_exception_fp_ieee_invalid_op 0
		.amdhsa_exception_fp_denorm_src 0
		.amdhsa_exception_fp_ieee_div_zero 0
		.amdhsa_exception_fp_ieee_overflow 0
		.amdhsa_exception_fp_ieee_underflow 0
		.amdhsa_exception_fp_ieee_inexact 0
		.amdhsa_exception_int_div_zero 0
	.end_amdhsa_kernel
	.section	.text._ZL16dequantize_blockILi32ELi2EXadL_ZL15dequantize_q4_0PKviiR7__half2EEfEvS1_PT2_l,"axG",@progbits,_ZL16dequantize_blockILi32ELi2EXadL_ZL15dequantize_q4_0PKviiR7__half2EEfEvS1_PT2_l,comdat
.Lfunc_end0:
	.size	_ZL16dequantize_blockILi32ELi2EXadL_ZL15dequantize_q4_0PKviiR7__half2EEfEvS1_PT2_l, .Lfunc_end0-_ZL16dequantize_blockILi32ELi2EXadL_ZL15dequantize_q4_0PKviiR7__half2EEfEvS1_PT2_l
                                        ; -- End function
	.section	.AMDGPU.csdata,"",@progbits
; Kernel info:
; codeLenInByte = 252
; NumSgprs: 11
; NumVgprs: 8
; NumAgprs: 0
; TotalNumVgprs: 8
; ScratchSize: 0
; MemoryBound: 0
; FloatMode: 240
; IeeeMode: 1
; LDSByteSize: 0 bytes/workgroup (compile time only)
; SGPRBlocks: 1
; VGPRBlocks: 0
; NumSGPRsForWavesPerEU: 11
; NumVGPRsForWavesPerEU: 8
; AccumOffset: 8
; Occupancy: 8
; WaveLimiterHint : 0
; COMPUTE_PGM_RSRC2:SCRATCH_EN: 0
; COMPUTE_PGM_RSRC2:USER_SGPR: 6
; COMPUTE_PGM_RSRC2:TRAP_HANDLER: 0
; COMPUTE_PGM_RSRC2:TGID_X_EN: 1
; COMPUTE_PGM_RSRC2:TGID_Y_EN: 0
; COMPUTE_PGM_RSRC2:TGID_Z_EN: 0
; COMPUTE_PGM_RSRC2:TIDIG_COMP_CNT: 0
; COMPUTE_PGM_RSRC3_GFX90A:ACCUM_OFFSET: 1
; COMPUTE_PGM_RSRC3_GFX90A:TG_SPLIT: 0
	.section	.text._ZL16dequantize_blockILi32ELi2EXadL_ZL15dequantize_q4_1PKviiR7__half2EEfEvS1_PT2_l,"axG",@progbits,_ZL16dequantize_blockILi32ELi2EXadL_ZL15dequantize_q4_1PKviiR7__half2EEfEvS1_PT2_l,comdat
	.globl	_ZL16dequantize_blockILi32ELi2EXadL_ZL15dequantize_q4_1PKviiR7__half2EEfEvS1_PT2_l ; -- Begin function _ZL16dequantize_blockILi32ELi2EXadL_ZL15dequantize_q4_1PKviiR7__half2EEfEvS1_PT2_l
	.p2align	8
	.type	_ZL16dequantize_blockILi32ELi2EXadL_ZL15dequantize_q4_1PKviiR7__half2EEfEvS1_PT2_l,@function
_ZL16dequantize_blockILi32ELi2EXadL_ZL15dequantize_q4_1PKviiR7__half2EEfEvS1_PT2_l: ; @_ZL16dequantize_blockILi32ELi2EXadL_ZL15dequantize_q4_1PKviiR7__half2EEfEvS1_PT2_l
; %bb.0:
	s_load_dword s2, s[4:5], 0x24
	s_load_dwordx2 s[0:1], s[4:5], 0x10
	v_mov_b32_e32 v1, 0
	v_mov_b32_e32 v2, s6
	s_waitcnt lgkmcnt(0)
	s_and_b32 s2, s2, 0xffff
	v_mad_u64_u32 v[2:3], s[2:3], s2, v2, v[0:1]
	v_lshlrev_b64 v[0:1], 1, v[2:3]
	v_cmp_gt_i64_e32 vcc, s[0:1], v[0:1]
	s_and_saveexec_b64 s[0:1], vcc
	s_cbranch_execz .LBB1_2
; %bb.1:
	s_load_dwordx4 s[0:3], s[4:5], 0x0
	v_and_b32_e32 v1, 15, v2
	v_alignbit_b32 v2, v3, v2, 4
	s_waitcnt lgkmcnt(0)
	v_mad_i64_i32 v[2:3], s[0:1], v2, 20, s[0:1]
	v_add_co_u32_e32 v4, vcc, v2, v1
	v_addc_co_u32_e32 v5, vcc, 0, v3, vcc
	global_load_ubyte v6, v[4:5], off offset:4
	global_load_dword v7, v[2:3], off
	s_movk_i32 s0, 0xffe0
	v_and_or_b32 v0, v0, s0, v1
	v_mov_b32_e32 v4, s3
	s_waitcnt vmcnt(1)
	v_and_b32_e32 v1, 15, v6
	v_lshrrev_b32_e32 v2, 4, v6
	v_cvt_f32_ubyte0_e32 v1, v1
	v_cvt_f32_ubyte0_e32 v2, v2
	v_cvt_f16_f32_e32 v3, v1
	v_cvt_f16_f32_e32 v2, v2
	v_ashrrev_i32_e32 v1, 31, v0
	v_lshlrev_b64 v[0:1], 2, v[0:1]
	v_add_co_u32_e32 v0, vcc, s2, v0
	v_pack_b32_f16 v2, v3, v2
	s_waitcnt vmcnt(0)
	v_pk_fma_f16 v2, v7, v2, v7 op_sel:[0,0,1] op_sel_hi:[0,1,1]
	v_cvt_f32_f16_e32 v3, v2
	v_cvt_f32_f16_sdwa v2, v2 dst_sel:DWORD dst_unused:UNUSED_PAD src0_sel:WORD_1
	v_addc_co_u32_e32 v1, vcc, v4, v1, vcc
	global_store_dword v[0:1], v3, off
	global_store_dword v[0:1], v2, off offset:64
.LBB1_2:
	s_endpgm
	.section	.rodata,"a",@progbits
	.p2align	6, 0x0
	.amdhsa_kernel _ZL16dequantize_blockILi32ELi2EXadL_ZL15dequantize_q4_1PKviiR7__half2EEfEvS1_PT2_l
		.amdhsa_group_segment_fixed_size 0
		.amdhsa_private_segment_fixed_size 0
		.amdhsa_kernarg_size 280
		.amdhsa_user_sgpr_count 6
		.amdhsa_user_sgpr_private_segment_buffer 1
		.amdhsa_user_sgpr_dispatch_ptr 0
		.amdhsa_user_sgpr_queue_ptr 0
		.amdhsa_user_sgpr_kernarg_segment_ptr 1
		.amdhsa_user_sgpr_dispatch_id 0
		.amdhsa_user_sgpr_flat_scratch_init 0
		.amdhsa_user_sgpr_kernarg_preload_length 0
		.amdhsa_user_sgpr_kernarg_preload_offset 0
		.amdhsa_user_sgpr_private_segment_size 0
		.amdhsa_uses_dynamic_stack 0
		.amdhsa_system_sgpr_private_segment_wavefront_offset 0
		.amdhsa_system_sgpr_workgroup_id_x 1
		.amdhsa_system_sgpr_workgroup_id_y 0
		.amdhsa_system_sgpr_workgroup_id_z 0
		.amdhsa_system_sgpr_workgroup_info 0
		.amdhsa_system_vgpr_workitem_id 0
		.amdhsa_next_free_vgpr 8
		.amdhsa_next_free_sgpr 7
		.amdhsa_accum_offset 8
		.amdhsa_reserve_vcc 1
		.amdhsa_reserve_flat_scratch 0
		.amdhsa_float_round_mode_32 0
		.amdhsa_float_round_mode_16_64 0
		.amdhsa_float_denorm_mode_32 3
		.amdhsa_float_denorm_mode_16_64 3
		.amdhsa_dx10_clamp 1
		.amdhsa_ieee_mode 1
		.amdhsa_fp16_overflow 0
		.amdhsa_tg_split 0
		.amdhsa_exception_fp_ieee_invalid_op 0
		.amdhsa_exception_fp_denorm_src 0
		.amdhsa_exception_fp_ieee_div_zero 0
		.amdhsa_exception_fp_ieee_overflow 0
		.amdhsa_exception_fp_ieee_underflow 0
		.amdhsa_exception_fp_ieee_inexact 0
		.amdhsa_exception_int_div_zero 0
	.end_amdhsa_kernel
	.section	.text._ZL16dequantize_blockILi32ELi2EXadL_ZL15dequantize_q4_1PKviiR7__half2EEfEvS1_PT2_l,"axG",@progbits,_ZL16dequantize_blockILi32ELi2EXadL_ZL15dequantize_q4_1PKviiR7__half2EEfEvS1_PT2_l,comdat
.Lfunc_end1:
	.size	_ZL16dequantize_blockILi32ELi2EXadL_ZL15dequantize_q4_1PKviiR7__half2EEfEvS1_PT2_l, .Lfunc_end1-_ZL16dequantize_blockILi32ELi2EXadL_ZL15dequantize_q4_1PKviiR7__half2EEfEvS1_PT2_l
                                        ; -- End function
	.section	.AMDGPU.csdata,"",@progbits
; Kernel info:
; codeLenInByte = 236
; NumSgprs: 11
; NumVgprs: 8
; NumAgprs: 0
; TotalNumVgprs: 8
; ScratchSize: 0
; MemoryBound: 0
; FloatMode: 240
; IeeeMode: 1
; LDSByteSize: 0 bytes/workgroup (compile time only)
; SGPRBlocks: 1
; VGPRBlocks: 0
; NumSGPRsForWavesPerEU: 11
; NumVGPRsForWavesPerEU: 8
; AccumOffset: 8
; Occupancy: 8
; WaveLimiterHint : 0
; COMPUTE_PGM_RSRC2:SCRATCH_EN: 0
; COMPUTE_PGM_RSRC2:USER_SGPR: 6
; COMPUTE_PGM_RSRC2:TRAP_HANDLER: 0
; COMPUTE_PGM_RSRC2:TGID_X_EN: 1
; COMPUTE_PGM_RSRC2:TGID_Y_EN: 0
; COMPUTE_PGM_RSRC2:TGID_Z_EN: 0
; COMPUTE_PGM_RSRC2:TIDIG_COMP_CNT: 0
; COMPUTE_PGM_RSRC3_GFX90A:ACCUM_OFFSET: 1
; COMPUTE_PGM_RSRC3_GFX90A:TG_SPLIT: 0
	.section	.text._ZL16dequantize_blockILi32ELi2EXadL_ZL15dequantize_q5_0PKviiR7__half2EEfEvS1_PT2_l,"axG",@progbits,_ZL16dequantize_blockILi32ELi2EXadL_ZL15dequantize_q5_0PKviiR7__half2EEfEvS1_PT2_l,comdat
	.globl	_ZL16dequantize_blockILi32ELi2EXadL_ZL15dequantize_q5_0PKviiR7__half2EEfEvS1_PT2_l ; -- Begin function _ZL16dequantize_blockILi32ELi2EXadL_ZL15dequantize_q5_0PKviiR7__half2EEfEvS1_PT2_l
	.p2align	8
	.type	_ZL16dequantize_blockILi32ELi2EXadL_ZL15dequantize_q5_0PKviiR7__half2EEfEvS1_PT2_l,@function
_ZL16dequantize_blockILi32ELi2EXadL_ZL15dequantize_q5_0PKviiR7__half2EEfEvS1_PT2_l: ; @_ZL16dequantize_blockILi32ELi2EXadL_ZL15dequantize_q5_0PKviiR7__half2EEfEvS1_PT2_l
; %bb.0:
	s_load_dword s2, s[4:5], 0x24
	s_load_dwordx2 s[0:1], s[4:5], 0x10
	v_mov_b32_e32 v1, 0
	v_mov_b32_e32 v2, s6
	s_waitcnt lgkmcnt(0)
	s_and_b32 s2, s2, 0xffff
	v_mad_u64_u32 v[2:3], s[2:3], s2, v2, v[0:1]
	v_lshlrev_b64 v[0:1], 1, v[2:3]
	v_cmp_gt_i64_e32 vcc, s[0:1], v[0:1]
	s_and_saveexec_b64 s[0:1], vcc
	s_cbranch_execz .LBB2_2
; %bb.1:
	s_load_dwordx4 s[0:3], s[4:5], 0x0
	v_and_b32_e32 v1, 15, v2
	v_alignbit_b32 v2, v3, v2, 4
	s_movk_i32 s4, 0xffe0
	v_and_or_b32 v0, v0, s4, v1
	s_waitcnt lgkmcnt(0)
	v_mad_i64_i32 v[2:3], s[0:1], v2, 22, s[0:1]
	global_load_dword v4, v[2:3], off
	global_load_ushort v5, v[2:3], off offset:4
	v_add_co_u32_e32 v2, vcc, v2, v1
	v_addc_co_u32_e32 v3, vcc, 0, v3, vcc
	global_load_ubyte v2, v[2:3], off offset:6
	s_mov_b32 s0, 0x1000706
	v_add_u32_e32 v3, 12, v1
	s_mov_b32 s1, 0xcc00
	s_waitcnt vmcnt(1)
	v_perm_b32 v5, v4, v5, s0
	v_lshrrev_b32_e32 v1, v1, v5
	v_lshrrev_b32_e32 v3, v3, v5
	v_lshlrev_b32_e32 v1, 4, v1
	s_waitcnt vmcnt(0)
	v_and_b32_e32 v5, 15, v2
	v_lshrrev_b16_e32 v2, 4, v2
	v_and_or_b32 v2, v3, 16, v2
	v_and_or_b32 v1, v1, 16, v5
	v_cvt_f32_ubyte0_e32 v2, v2
	v_cvt_f32_ubyte0_e32 v1, v1
	v_cvt_f16_f32_e32 v2, v2
	v_cvt_f16_f32_e32 v3, v1
	v_ashrrev_i32_e32 v1, 31, v0
	v_lshlrev_b64 v[0:1], 2, v[0:1]
	v_mov_b32_e32 v5, s3
	v_pack_b32_f16 v2, v3, v2
	v_pk_add_f16 v2, v2, s1 op_sel_hi:[1,0]
	v_pk_mul_f16 v2, v4, v2 op_sel_hi:[0,1]
	v_cvt_f32_f16_e32 v3, v2
	v_cvt_f32_f16_sdwa v2, v2 dst_sel:DWORD dst_unused:UNUSED_PAD src0_sel:WORD_1
	v_add_co_u32_e32 v0, vcc, s2, v0
	v_addc_co_u32_e32 v1, vcc, v5, v1, vcc
	global_store_dword v[0:1], v3, off
	global_store_dword v[0:1], v2, off offset:64
.LBB2_2:
	s_endpgm
	.section	.rodata,"a",@progbits
	.p2align	6, 0x0
	.amdhsa_kernel _ZL16dequantize_blockILi32ELi2EXadL_ZL15dequantize_q5_0PKviiR7__half2EEfEvS1_PT2_l
		.amdhsa_group_segment_fixed_size 0
		.amdhsa_private_segment_fixed_size 0
		.amdhsa_kernarg_size 280
		.amdhsa_user_sgpr_count 6
		.amdhsa_user_sgpr_private_segment_buffer 1
		.amdhsa_user_sgpr_dispatch_ptr 0
		.amdhsa_user_sgpr_queue_ptr 0
		.amdhsa_user_sgpr_kernarg_segment_ptr 1
		.amdhsa_user_sgpr_dispatch_id 0
		.amdhsa_user_sgpr_flat_scratch_init 0
		.amdhsa_user_sgpr_kernarg_preload_length 0
		.amdhsa_user_sgpr_kernarg_preload_offset 0
		.amdhsa_user_sgpr_private_segment_size 0
		.amdhsa_uses_dynamic_stack 0
		.amdhsa_system_sgpr_private_segment_wavefront_offset 0
		.amdhsa_system_sgpr_workgroup_id_x 1
		.amdhsa_system_sgpr_workgroup_id_y 0
		.amdhsa_system_sgpr_workgroup_id_z 0
		.amdhsa_system_sgpr_workgroup_info 0
		.amdhsa_system_vgpr_workitem_id 0
		.amdhsa_next_free_vgpr 6
		.amdhsa_next_free_sgpr 7
		.amdhsa_accum_offset 8
		.amdhsa_reserve_vcc 1
		.amdhsa_reserve_flat_scratch 0
		.amdhsa_float_round_mode_32 0
		.amdhsa_float_round_mode_16_64 0
		.amdhsa_float_denorm_mode_32 3
		.amdhsa_float_denorm_mode_16_64 3
		.amdhsa_dx10_clamp 1
		.amdhsa_ieee_mode 1
		.amdhsa_fp16_overflow 0
		.amdhsa_tg_split 0
		.amdhsa_exception_fp_ieee_invalid_op 0
		.amdhsa_exception_fp_denorm_src 0
		.amdhsa_exception_fp_ieee_div_zero 0
		.amdhsa_exception_fp_ieee_overflow 0
		.amdhsa_exception_fp_ieee_underflow 0
		.amdhsa_exception_fp_ieee_inexact 0
		.amdhsa_exception_int_div_zero 0
	.end_amdhsa_kernel
	.section	.text._ZL16dequantize_blockILi32ELi2EXadL_ZL15dequantize_q5_0PKviiR7__half2EEfEvS1_PT2_l,"axG",@progbits,_ZL16dequantize_blockILi32ELi2EXadL_ZL15dequantize_q5_0PKviiR7__half2EEfEvS1_PT2_l,comdat
.Lfunc_end2:
	.size	_ZL16dequantize_blockILi32ELi2EXadL_ZL15dequantize_q5_0PKviiR7__half2EEfEvS1_PT2_l, .Lfunc_end2-_ZL16dequantize_blockILi32ELi2EXadL_ZL15dequantize_q5_0PKviiR7__half2EEfEvS1_PT2_l
                                        ; -- End function
	.section	.AMDGPU.csdata,"",@progbits
; Kernel info:
; codeLenInByte = 308
; NumSgprs: 11
; NumVgprs: 6
; NumAgprs: 0
; TotalNumVgprs: 6
; ScratchSize: 0
; MemoryBound: 0
; FloatMode: 240
; IeeeMode: 1
; LDSByteSize: 0 bytes/workgroup (compile time only)
; SGPRBlocks: 1
; VGPRBlocks: 0
; NumSGPRsForWavesPerEU: 11
; NumVGPRsForWavesPerEU: 6
; AccumOffset: 8
; Occupancy: 8
; WaveLimiterHint : 0
; COMPUTE_PGM_RSRC2:SCRATCH_EN: 0
; COMPUTE_PGM_RSRC2:USER_SGPR: 6
; COMPUTE_PGM_RSRC2:TRAP_HANDLER: 0
; COMPUTE_PGM_RSRC2:TGID_X_EN: 1
; COMPUTE_PGM_RSRC2:TGID_Y_EN: 0
; COMPUTE_PGM_RSRC2:TGID_Z_EN: 0
; COMPUTE_PGM_RSRC2:TIDIG_COMP_CNT: 0
; COMPUTE_PGM_RSRC3_GFX90A:ACCUM_OFFSET: 1
; COMPUTE_PGM_RSRC3_GFX90A:TG_SPLIT: 0
	.section	.text._ZL16dequantize_blockILi32ELi2EXadL_ZL15dequantize_q5_1PKviiR7__half2EEfEvS1_PT2_l,"axG",@progbits,_ZL16dequantize_blockILi32ELi2EXadL_ZL15dequantize_q5_1PKviiR7__half2EEfEvS1_PT2_l,comdat
	.globl	_ZL16dequantize_blockILi32ELi2EXadL_ZL15dequantize_q5_1PKviiR7__half2EEfEvS1_PT2_l ; -- Begin function _ZL16dequantize_blockILi32ELi2EXadL_ZL15dequantize_q5_1PKviiR7__half2EEfEvS1_PT2_l
	.p2align	8
	.type	_ZL16dequantize_blockILi32ELi2EXadL_ZL15dequantize_q5_1PKviiR7__half2EEfEvS1_PT2_l,@function
_ZL16dequantize_blockILi32ELi2EXadL_ZL15dequantize_q5_1PKviiR7__half2EEfEvS1_PT2_l: ; @_ZL16dequantize_blockILi32ELi2EXadL_ZL15dequantize_q5_1PKviiR7__half2EEfEvS1_PT2_l
; %bb.0:
	s_load_dword s2, s[4:5], 0x24
	s_load_dwordx2 s[0:1], s[4:5], 0x10
	v_mov_b32_e32 v1, 0
	v_mov_b32_e32 v2, s6
	s_waitcnt lgkmcnt(0)
	s_and_b32 s2, s2, 0xffff
	v_mad_u64_u32 v[2:3], s[2:3], s2, v2, v[0:1]
	v_lshlrev_b64 v[0:1], 1, v[2:3]
	v_cmp_gt_i64_e32 vcc, s[0:1], v[0:1]
	s_and_saveexec_b64 s[0:1], vcc
	s_cbranch_execz .LBB3_2
; %bb.1:
	s_load_dwordx4 s[0:3], s[4:5], 0x0
	v_and_b32_e32 v1, 15, v2
	v_alignbit_b32 v2, v3, v2, 4
	s_waitcnt lgkmcnt(0)
	v_mad_i64_i32 v[2:3], s[0:1], v2, 24, s[0:1]
	global_load_ushort v6, v[2:3], off offset:6
	v_add_co_u32_e32 v4, vcc, v2, v1
	v_addc_co_u32_e32 v5, vcc, 0, v3, vcc
	global_load_ubyte v7, v[4:5], off offset:8
	global_load_ushort v8, v[2:3], off offset:4
	global_load_dword v9, v[2:3], off
	s_movk_i32 s0, 0xffe0
	v_add_u32_e32 v2, 12, v1
	v_and_or_b32 v0, v0, s0, v1
	s_waitcnt vmcnt(3)
	v_lshrrev_b16_e32 v3, 8, v6
	v_and_b32_e32 v4, 0xff, v6
	v_lshlrev_b32_e32 v3, 24, v3
	v_lshlrev_b32_e32 v4, 16, v4
	s_waitcnt vmcnt(1)
	v_or3_b32 v3, v4, v8, v3
	v_lshrrev_b32_e32 v1, v1, v3
	v_and_b32_e32 v5, 15, v7
	v_lshrrev_b16_e32 v6, 4, v7
	v_lshrrev_b32_e32 v2, v2, v3
	v_lshlrev_b32_e32 v1, 4, v1
	v_and_or_b32 v2, v2, 16, v6
	v_and_or_b32 v1, v1, 16, v5
	v_cvt_f32_ubyte0_e32 v2, v2
	v_cvt_f32_ubyte0_e32 v1, v1
	v_cvt_f16_f32_e32 v2, v2
	v_cvt_f16_f32_e32 v3, v1
	v_ashrrev_i32_e32 v1, 31, v0
	v_lshlrev_b64 v[0:1], 2, v[0:1]
	v_mov_b32_e32 v4, s3
	v_pack_b32_f16 v2, v3, v2
	s_waitcnt vmcnt(0)
	v_pk_fma_f16 v2, v9, v2, v9 op_sel:[0,0,1] op_sel_hi:[0,1,1]
	v_cvt_f32_f16_e32 v3, v2
	v_cvt_f32_f16_sdwa v2, v2 dst_sel:DWORD dst_unused:UNUSED_PAD src0_sel:WORD_1
	v_add_co_u32_e32 v0, vcc, s2, v0
	v_addc_co_u32_e32 v1, vcc, v4, v1, vcc
	global_store_dword v[0:1], v3, off
	global_store_dword v[0:1], v2, off offset:64
.LBB3_2:
	s_endpgm
	.section	.rodata,"a",@progbits
	.p2align	6, 0x0
	.amdhsa_kernel _ZL16dequantize_blockILi32ELi2EXadL_ZL15dequantize_q5_1PKviiR7__half2EEfEvS1_PT2_l
		.amdhsa_group_segment_fixed_size 0
		.amdhsa_private_segment_fixed_size 0
		.amdhsa_kernarg_size 280
		.amdhsa_user_sgpr_count 6
		.amdhsa_user_sgpr_private_segment_buffer 1
		.amdhsa_user_sgpr_dispatch_ptr 0
		.amdhsa_user_sgpr_queue_ptr 0
		.amdhsa_user_sgpr_kernarg_segment_ptr 1
		.amdhsa_user_sgpr_dispatch_id 0
		.amdhsa_user_sgpr_flat_scratch_init 0
		.amdhsa_user_sgpr_kernarg_preload_length 0
		.amdhsa_user_sgpr_kernarg_preload_offset 0
		.amdhsa_user_sgpr_private_segment_size 0
		.amdhsa_uses_dynamic_stack 0
		.amdhsa_system_sgpr_private_segment_wavefront_offset 0
		.amdhsa_system_sgpr_workgroup_id_x 1
		.amdhsa_system_sgpr_workgroup_id_y 0
		.amdhsa_system_sgpr_workgroup_id_z 0
		.amdhsa_system_sgpr_workgroup_info 0
		.amdhsa_system_vgpr_workitem_id 0
		.amdhsa_next_free_vgpr 10
		.amdhsa_next_free_sgpr 7
		.amdhsa_accum_offset 12
		.amdhsa_reserve_vcc 1
		.amdhsa_reserve_flat_scratch 0
		.amdhsa_float_round_mode_32 0
		.amdhsa_float_round_mode_16_64 0
		.amdhsa_float_denorm_mode_32 3
		.amdhsa_float_denorm_mode_16_64 3
		.amdhsa_dx10_clamp 1
		.amdhsa_ieee_mode 1
		.amdhsa_fp16_overflow 0
		.amdhsa_tg_split 0
		.amdhsa_exception_fp_ieee_invalid_op 0
		.amdhsa_exception_fp_denorm_src 0
		.amdhsa_exception_fp_ieee_div_zero 0
		.amdhsa_exception_fp_ieee_overflow 0
		.amdhsa_exception_fp_ieee_underflow 0
		.amdhsa_exception_fp_ieee_inexact 0
		.amdhsa_exception_int_div_zero 0
	.end_amdhsa_kernel
	.section	.text._ZL16dequantize_blockILi32ELi2EXadL_ZL15dequantize_q5_1PKviiR7__half2EEfEvS1_PT2_l,"axG",@progbits,_ZL16dequantize_blockILi32ELi2EXadL_ZL15dequantize_q5_1PKviiR7__half2EEfEvS1_PT2_l,comdat
.Lfunc_end3:
	.size	_ZL16dequantize_blockILi32ELi2EXadL_ZL15dequantize_q5_1PKviiR7__half2EEfEvS1_PT2_l, .Lfunc_end3-_ZL16dequantize_blockILi32ELi2EXadL_ZL15dequantize_q5_1PKviiR7__half2EEfEvS1_PT2_l
                                        ; -- End function
	.section	.AMDGPU.csdata,"",@progbits
; Kernel info:
; codeLenInByte = 316
; NumSgprs: 11
; NumVgprs: 10
; NumAgprs: 0
; TotalNumVgprs: 10
; ScratchSize: 0
; MemoryBound: 0
; FloatMode: 240
; IeeeMode: 1
; LDSByteSize: 0 bytes/workgroup (compile time only)
; SGPRBlocks: 1
; VGPRBlocks: 1
; NumSGPRsForWavesPerEU: 11
; NumVGPRsForWavesPerEU: 10
; AccumOffset: 12
; Occupancy: 8
; WaveLimiterHint : 0
; COMPUTE_PGM_RSRC2:SCRATCH_EN: 0
; COMPUTE_PGM_RSRC2:USER_SGPR: 6
; COMPUTE_PGM_RSRC2:TRAP_HANDLER: 0
; COMPUTE_PGM_RSRC2:TGID_X_EN: 1
; COMPUTE_PGM_RSRC2:TGID_Y_EN: 0
; COMPUTE_PGM_RSRC2:TGID_Z_EN: 0
; COMPUTE_PGM_RSRC2:TIDIG_COMP_CNT: 0
; COMPUTE_PGM_RSRC3_GFX90A:ACCUM_OFFSET: 2
; COMPUTE_PGM_RSRC3_GFX90A:TG_SPLIT: 0
	.section	.text._ZL16dequantize_blockILi32ELi1EXadL_ZL15dequantize_q8_0PKviiR7__half2EEfEvS1_PT2_l,"axG",@progbits,_ZL16dequantize_blockILi32ELi1EXadL_ZL15dequantize_q8_0PKviiR7__half2EEfEvS1_PT2_l,comdat
	.globl	_ZL16dequantize_blockILi32ELi1EXadL_ZL15dequantize_q8_0PKviiR7__half2EEfEvS1_PT2_l ; -- Begin function _ZL16dequantize_blockILi32ELi1EXadL_ZL15dequantize_q8_0PKviiR7__half2EEfEvS1_PT2_l
	.p2align	8
	.type	_ZL16dequantize_blockILi32ELi1EXadL_ZL15dequantize_q8_0PKviiR7__half2EEfEvS1_PT2_l,@function
_ZL16dequantize_blockILi32ELi1EXadL_ZL15dequantize_q8_0PKviiR7__half2EEfEvS1_PT2_l: ; @_ZL16dequantize_blockILi32ELi1EXadL_ZL15dequantize_q8_0PKviiR7__half2EEfEvS1_PT2_l
; %bb.0:
	s_load_dword s2, s[4:5], 0x24
	s_load_dwordx2 s[0:1], s[4:5], 0x10
	v_mov_b32_e32 v1, 0
	v_mov_b32_e32 v2, s6
	s_waitcnt lgkmcnt(0)
	s_and_b32 s2, s2, 0xffff
	v_mad_u64_u32 v[2:3], s[2:3], s2, v2, v[0:1]
	v_lshlrev_b64 v[4:5], 1, v[2:3]
	v_cmp_gt_i64_e32 vcc, s[0:1], v[4:5]
	s_and_saveexec_b64 s[0:1], vcc
	s_cbranch_execz .LBB4_2
; %bb.1:
	s_load_dwordx4 s[0:3], s[4:5], 0x0
	v_alignbit_b32 v3, v3, v2, 4
	v_and_b32_e32 v0, 30, v4
	s_waitcnt lgkmcnt(0)
	v_mad_i64_i32 v[4:5], s[0:1], v3, 34, s[0:1]
	v_add_co_u32_e32 v6, vcc, v4, v0
	v_addc_co_u32_e32 v7, vcc, 0, v5, vcc
	global_load_ushort v8, v[6:7], off offset:2
	global_load_ushort v9, v[4:5], off
	v_lshlrev_b32_e32 v3, 1, v2
	v_mov_b32_e32 v2, v1
	v_ashrrev_i64 v[0:1], 30, v[2:3]
	v_mov_b32_e32 v4, s3
	v_add_co_u32_e32 v0, vcc, s2, v0
	v_addc_co_u32_e32 v1, vcc, v4, v1, vcc
	s_waitcnt vmcnt(1)
	v_cvt_f16_i16_sdwa v2, sext(v8) dst_sel:DWORD dst_unused:UNUSED_PAD src0_sel:BYTE_0
	v_cvt_f16_i16_sdwa v3, sext(v8) dst_sel:DWORD dst_unused:UNUSED_PAD src0_sel:BYTE_1
	v_pack_b32_f16 v2, v2, v3
	s_waitcnt vmcnt(0)
	v_pk_mul_f16 v3, v9, v2 op_sel_hi:[0,1]
	v_cvt_f32_f16_e32 v2, v3
	v_cvt_f32_f16_sdwa v3, v3 dst_sel:DWORD dst_unused:UNUSED_PAD src0_sel:WORD_1
	global_store_dwordx2 v[0:1], v[2:3], off
.LBB4_2:
	s_endpgm
	.section	.rodata,"a",@progbits
	.p2align	6, 0x0
	.amdhsa_kernel _ZL16dequantize_blockILi32ELi1EXadL_ZL15dequantize_q8_0PKviiR7__half2EEfEvS1_PT2_l
		.amdhsa_group_segment_fixed_size 0
		.amdhsa_private_segment_fixed_size 0
		.amdhsa_kernarg_size 280
		.amdhsa_user_sgpr_count 6
		.amdhsa_user_sgpr_private_segment_buffer 1
		.amdhsa_user_sgpr_dispatch_ptr 0
		.amdhsa_user_sgpr_queue_ptr 0
		.amdhsa_user_sgpr_kernarg_segment_ptr 1
		.amdhsa_user_sgpr_dispatch_id 0
		.amdhsa_user_sgpr_flat_scratch_init 0
		.amdhsa_user_sgpr_kernarg_preload_length 0
		.amdhsa_user_sgpr_kernarg_preload_offset 0
		.amdhsa_user_sgpr_private_segment_size 0
		.amdhsa_uses_dynamic_stack 0
		.amdhsa_system_sgpr_private_segment_wavefront_offset 0
		.amdhsa_system_sgpr_workgroup_id_x 1
		.amdhsa_system_sgpr_workgroup_id_y 0
		.amdhsa_system_sgpr_workgroup_id_z 0
		.amdhsa_system_sgpr_workgroup_info 0
		.amdhsa_system_vgpr_workitem_id 0
		.amdhsa_next_free_vgpr 10
		.amdhsa_next_free_sgpr 7
		.amdhsa_accum_offset 12
		.amdhsa_reserve_vcc 1
		.amdhsa_reserve_flat_scratch 0
		.amdhsa_float_round_mode_32 0
		.amdhsa_float_round_mode_16_64 0
		.amdhsa_float_denorm_mode_32 3
		.amdhsa_float_denorm_mode_16_64 3
		.amdhsa_dx10_clamp 1
		.amdhsa_ieee_mode 1
		.amdhsa_fp16_overflow 0
		.amdhsa_tg_split 0
		.amdhsa_exception_fp_ieee_invalid_op 0
		.amdhsa_exception_fp_denorm_src 0
		.amdhsa_exception_fp_ieee_div_zero 0
		.amdhsa_exception_fp_ieee_overflow 0
		.amdhsa_exception_fp_ieee_underflow 0
		.amdhsa_exception_fp_ieee_inexact 0
		.amdhsa_exception_int_div_zero 0
	.end_amdhsa_kernel
	.section	.text._ZL16dequantize_blockILi32ELi1EXadL_ZL15dequantize_q8_0PKviiR7__half2EEfEvS1_PT2_l,"axG",@progbits,_ZL16dequantize_blockILi32ELi1EXadL_ZL15dequantize_q8_0PKviiR7__half2EEfEvS1_PT2_l,comdat
.Lfunc_end4:
	.size	_ZL16dequantize_blockILi32ELi1EXadL_ZL15dequantize_q8_0PKviiR7__half2EEfEvS1_PT2_l, .Lfunc_end4-_ZL16dequantize_blockILi32ELi1EXadL_ZL15dequantize_q8_0PKviiR7__half2EEfEvS1_PT2_l
                                        ; -- End function
	.section	.AMDGPU.csdata,"",@progbits
; Kernel info:
; codeLenInByte = 212
; NumSgprs: 11
; NumVgprs: 10
; NumAgprs: 0
; TotalNumVgprs: 10
; ScratchSize: 0
; MemoryBound: 0
; FloatMode: 240
; IeeeMode: 1
; LDSByteSize: 0 bytes/workgroup (compile time only)
; SGPRBlocks: 1
; VGPRBlocks: 1
; NumSGPRsForWavesPerEU: 11
; NumVGPRsForWavesPerEU: 10
; AccumOffset: 12
; Occupancy: 8
; WaveLimiterHint : 0
; COMPUTE_PGM_RSRC2:SCRATCH_EN: 0
; COMPUTE_PGM_RSRC2:USER_SGPR: 6
; COMPUTE_PGM_RSRC2:TRAP_HANDLER: 0
; COMPUTE_PGM_RSRC2:TGID_X_EN: 1
; COMPUTE_PGM_RSRC2:TGID_Y_EN: 0
; COMPUTE_PGM_RSRC2:TGID_Z_EN: 0
; COMPUTE_PGM_RSRC2:TIDIG_COMP_CNT: 0
; COMPUTE_PGM_RSRC3_GFX90A:ACCUM_OFFSET: 2
; COMPUTE_PGM_RSRC3_GFX90A:TG_SPLIT: 0
	.section	.text._ZL21dequantize_block_q2_KIfEvPKvPT_,"axG",@progbits,_ZL21dequantize_block_q2_KIfEvPKvPT_,comdat
	.globl	_ZL21dequantize_block_q2_KIfEvPKvPT_ ; -- Begin function _ZL21dequantize_block_q2_KIfEvPKvPT_
	.p2align	8
	.type	_ZL21dequantize_block_q2_KIfEvPKvPT_,@function
_ZL21dequantize_block_q2_KIfEvPKvPT_:   ; @_ZL21dequantize_block_q2_KIfEvPKvPT_
; %bb.0:
	s_load_dwordx4 s[0:3], s[4:5], 0x0
	s_mul_i32 s5, s6, 0x54
	v_lshrrev_b32_e32 v1, 5, v0
	v_bfe_u32 v2, v0, 4, 1
	s_mul_hi_u32 s4, s6, 0x54
	s_waitcnt lgkmcnt(0)
	s_add_u32 s0, s0, s5
	v_lshl_or_b32 v2, v1, 3, v2
	s_addc_u32 s1, s1, s4
	global_load_ubyte v3, v2, s[0:1]
	global_load_ubyte v4, v0, s[0:1] offset:16
	global_load_ubyte v5, v2, s[0:1] offset:2
	;; [unrolled: 1-line block ×4, first 2 shown]
	s_load_dword s4, s[0:1], 0x50
	s_mov_b32 s1, 0
	s_lshl_b32 s0, s6, 8
	s_lshl_b64 s[0:1], s[0:1], 2
	s_add_u32 s0, s2, s0
	v_lshlrev_b32_e32 v1, 9, v1
	s_addc_u32 s1, s3, s1
	v_and_b32_e32 v0, 31, v0
	v_mov_b32_e32 v2, s1
	v_add_co_u32_e32 v1, vcc, s0, v1
	v_lshlrev_b32_e32 v0, 2, v0
	v_addc_co_u32_e32 v2, vcc, 0, v2, vcc
	v_add_co_u32_e32 v0, vcc, v1, v0
	v_addc_co_u32_e32 v1, vcc, 0, v2, vcc
	s_waitcnt lgkmcnt(0)
	s_lshr_b32 s0, s4, 16
	s_waitcnt vmcnt(4)
	v_and_b32_e32 v2, 15, v3
	s_waitcnt vmcnt(3)
	v_and_b32_e32 v8, 3, v4
	;; [unrolled: 2-line block ×3, first 2 shown]
	v_bfe_u32 v10, v4, 2, 2
	v_mul_u32_u24_sdwa v2, v8, v2 dst_sel:DWORD dst_unused:UNUSED_PAD src0_sel:DWORD src1_sel:WORD_0
	s_waitcnt vmcnt(1)
	v_and_b32_e32 v11, 15, v6
	v_bfe_u32 v12, v4, 4, 2
	v_mul_u32_u24_sdwa v8, v10, v9 dst_sel:DWORD dst_unused:UNUSED_PAD src0_sel:DWORD src1_sel:WORD_0
	v_cvt_f32_ubyte0_e32 v2, v2
	s_waitcnt vmcnt(0)
	v_and_b32_e32 v13, 15, v7
	v_lshrrev_b32_e32 v4, 6, v4
	v_mul_u32_u24_sdwa v9, v12, v11 dst_sel:DWORD dst_unused:UNUSED_PAD src0_sel:DWORD src1_sel:WORD_0
	v_cvt_f32_ubyte0_e32 v8, v8
	v_cvt_f16_f32_e32 v2, v2
	v_lshrrev_b16_e32 v3, 4, v3
	v_mul_u32_u24_sdwa v4, v4, v13 dst_sel:DWORD dst_unused:UNUSED_PAD src0_sel:DWORD src1_sel:WORD_0
	v_cvt_f32_ubyte0_e32 v9, v9
	v_cvt_f16_f32_e32 v8, v8
	v_lshrrev_b16_e32 v5, 4, v5
	v_cvt_f16_u16_e32 v3, v3
	v_cvt_f32_ubyte0_e32 v4, v4
	v_cvt_f16_f32_e32 v9, v9
	v_lshrrev_b16_e32 v6, 4, v6
	v_cvt_f16_u16_e32 v5, v5
	v_mul_f16_e32 v3, s0, v3
	v_cvt_f16_f32_e32 v4, v4
	v_lshrrev_b16_e32 v7, 4, v7
	v_cvt_f16_u16_e32 v6, v6
	v_mul_f16_e32 v5, s0, v5
	v_fma_f16 v2, s4, v2, -v3
	v_cvt_f16_u16_e32 v7, v7
	v_mul_f16_e32 v6, s0, v6
	v_fma_f16 v3, s4, v8, -v5
	v_cvt_f32_f16_e32 v2, v2
	v_mul_f16_e32 v7, s0, v7
	v_fma_f16 v5, s4, v9, -v6
	v_cvt_f32_f16_e32 v3, v3
	v_fma_f16 v4, s4, v4, -v7
	v_cvt_f32_f16_e32 v5, v5
	v_cvt_f32_f16_e32 v4, v4
	global_store_dword v[0:1], v2, off
	global_store_dword v[0:1], v3, off offset:128
	global_store_dword v[0:1], v5, off offset:256
	;; [unrolled: 1-line block ×3, first 2 shown]
	s_endpgm
	.section	.rodata,"a",@progbits
	.p2align	6, 0x0
	.amdhsa_kernel _ZL21dequantize_block_q2_KIfEvPKvPT_
		.amdhsa_group_segment_fixed_size 0
		.amdhsa_private_segment_fixed_size 0
		.amdhsa_kernarg_size 16
		.amdhsa_user_sgpr_count 6
		.amdhsa_user_sgpr_private_segment_buffer 1
		.amdhsa_user_sgpr_dispatch_ptr 0
		.amdhsa_user_sgpr_queue_ptr 0
		.amdhsa_user_sgpr_kernarg_segment_ptr 1
		.amdhsa_user_sgpr_dispatch_id 0
		.amdhsa_user_sgpr_flat_scratch_init 0
		.amdhsa_user_sgpr_kernarg_preload_length 0
		.amdhsa_user_sgpr_kernarg_preload_offset 0
		.amdhsa_user_sgpr_private_segment_size 0
		.amdhsa_uses_dynamic_stack 0
		.amdhsa_system_sgpr_private_segment_wavefront_offset 0
		.amdhsa_system_sgpr_workgroup_id_x 1
		.amdhsa_system_sgpr_workgroup_id_y 0
		.amdhsa_system_sgpr_workgroup_id_z 0
		.amdhsa_system_sgpr_workgroup_info 0
		.amdhsa_system_vgpr_workitem_id 0
		.amdhsa_next_free_vgpr 14
		.amdhsa_next_free_sgpr 7
		.amdhsa_accum_offset 16
		.amdhsa_reserve_vcc 1
		.amdhsa_reserve_flat_scratch 0
		.amdhsa_float_round_mode_32 0
		.amdhsa_float_round_mode_16_64 0
		.amdhsa_float_denorm_mode_32 3
		.amdhsa_float_denorm_mode_16_64 3
		.amdhsa_dx10_clamp 1
		.amdhsa_ieee_mode 1
		.amdhsa_fp16_overflow 0
		.amdhsa_tg_split 0
		.amdhsa_exception_fp_ieee_invalid_op 0
		.amdhsa_exception_fp_denorm_src 0
		.amdhsa_exception_fp_ieee_div_zero 0
		.amdhsa_exception_fp_ieee_overflow 0
		.amdhsa_exception_fp_ieee_underflow 0
		.amdhsa_exception_fp_ieee_inexact 0
		.amdhsa_exception_int_div_zero 0
	.end_amdhsa_kernel
	.section	.text._ZL21dequantize_block_q2_KIfEvPKvPT_,"axG",@progbits,_ZL21dequantize_block_q2_KIfEvPKvPT_,comdat
.Lfunc_end5:
	.size	_ZL21dequantize_block_q2_KIfEvPKvPT_, .Lfunc_end5-_ZL21dequantize_block_q2_KIfEvPKvPT_
                                        ; -- End function
	.section	.AMDGPU.csdata,"",@progbits
; Kernel info:
; codeLenInByte = 420
; NumSgprs: 11
; NumVgprs: 14
; NumAgprs: 0
; TotalNumVgprs: 14
; ScratchSize: 0
; MemoryBound: 0
; FloatMode: 240
; IeeeMode: 1
; LDSByteSize: 0 bytes/workgroup (compile time only)
; SGPRBlocks: 1
; VGPRBlocks: 1
; NumSGPRsForWavesPerEU: 11
; NumVGPRsForWavesPerEU: 14
; AccumOffset: 16
; Occupancy: 8
; WaveLimiterHint : 0
; COMPUTE_PGM_RSRC2:SCRATCH_EN: 0
; COMPUTE_PGM_RSRC2:USER_SGPR: 6
; COMPUTE_PGM_RSRC2:TRAP_HANDLER: 0
; COMPUTE_PGM_RSRC2:TGID_X_EN: 1
; COMPUTE_PGM_RSRC2:TGID_Y_EN: 0
; COMPUTE_PGM_RSRC2:TGID_Z_EN: 0
; COMPUTE_PGM_RSRC2:TIDIG_COMP_CNT: 0
; COMPUTE_PGM_RSRC3_GFX90A:ACCUM_OFFSET: 3
; COMPUTE_PGM_RSRC3_GFX90A:TG_SPLIT: 0
	.section	.text._ZL21dequantize_block_q3_KIfEvPKvPT_,"axG",@progbits,_ZL21dequantize_block_q3_KIfEvPKvPT_,comdat
	.globl	_ZL21dequantize_block_q3_KIfEvPKvPT_ ; -- Begin function _ZL21dequantize_block_q3_KIfEvPKvPT_
	.p2align	8
	.type	_ZL21dequantize_block_q3_KIfEvPKvPT_,@function
_ZL21dequantize_block_q3_KIfEvPKvPT_:   ; @_ZL21dequantize_block_q3_KIfEvPKvPT_
; %bb.0:
	v_lshrrev_b32_e32 v4, 5, v0
	v_lshrrev_b32_e32 v6, 3, v0
	v_lshlrev_b32_e32 v1, 2, v4
	s_load_dwordx4 s[0:3], s[4:5], 0x0
	v_sub_u32_e32 v5, v6, v1
	v_lshlrev_b32_e32 v1, 1, v5
	v_bfe_u32 v8, v0, 2, 1
	v_lshl_add_u32 v11, v4, 3, v1
	v_or_b32_e32 v10, v11, v8
	v_cmp_lt_i32_e32 vcc, 3, v10
                                        ; implicit-def: $vgpr2_vgpr3
                                        ; implicit-def: $vgpr7
                                        ; implicit-def: $vgpr9
	s_and_saveexec_b64 s[4:5], vcc
	s_xor_b64 s[4:5], exec, s[4:5]
	s_cbranch_execz .LBB6_10
; %bb.1:
	v_cmp_lt_u32_e32 vcc, 7, v11
                                        ; implicit-def: $vgpr2_vgpr3
                                        ; implicit-def: $vgpr7
                                        ; implicit-def: $vgpr9
	s_and_saveexec_b64 s[8:9], vcc
	s_xor_b64 s[8:9], exec, s[8:9]
	s_cbranch_execz .LBB6_7
; %bb.2:
	s_mul_i32 s13, s6, 0x6e
	s_mul_hi_u32 s12, s6, 0x6e
	s_waitcnt lgkmcnt(0)
	s_add_u32 s10, s0, s13
	v_add_u32_e32 v2, -8, v10
	s_addc_u32 s11, s1, s12
	global_load_ubyte v2, v2, s[10:11] offset:96
	v_cmp_lt_u32_e32 vcc, 11, v11
	s_mov_b32 s7, 0
                                        ; implicit-def: $vgpr9
	s_waitcnt vmcnt(0)
	v_lshrrev_b16_e32 v7, 4, v2
	s_and_saveexec_b64 s[10:11], vcc
	s_xor_b64 s[10:11], exec, s[10:11]
	s_cbranch_execz .LBB6_4
; %bb.3:
	s_add_u32 s14, s0, s13
	v_add_u32_e32 v2, -4, v10
	s_addc_u32 s15, s1, s12
	global_load_ubyte v2, v2, s[14:15] offset:96
                                        ; implicit-def: $vgpr10
	s_waitcnt vmcnt(0)
	v_lshrrev_b16_e32 v9, 2, v2
.LBB6_4:
	s_or_saveexec_b64 s[10:11], s[10:11]
	v_pk_mov_b32 v[2:3], s[6:7], s[6:7] op_sel:[0,1]
	s_xor_b64 exec, exec, s[10:11]
	s_cbranch_execz .LBB6_6
; %bb.5:
	s_add_u32 s14, s0, s13
	s_addc_u32 s15, s1, s12
	global_load_ubyte v9, v10, s[14:15] offset:96
	v_pk_mov_b32 v[2:3], s[6:7], s[6:7] op_sel:[0,1]
.LBB6_6:
	s_or_b64 exec, exec, s[10:11]
                                        ; implicit-def: $vgpr10
.LBB6_7:
	s_andn2_saveexec_b64 s[8:9], s[8:9]
	s_cbranch_execz .LBB6_9
; %bb.8:
	s_mul_i32 s10, s6, 0x6e
	s_mul_hi_u32 s7, s6, 0x6e
	s_waitcnt lgkmcnt(0)
	s_add_u32 s10, s0, s10
	s_addc_u32 s11, s1, s7
	global_load_ubyte v2, v10, s[10:11] offset:96
	global_load_ubyte v3, v10, s[10:11] offset:100
	s_mov_b32 s7, 0
	s_waitcnt vmcnt(1)
	v_and_b32_e32 v7, 15, v2
	s_waitcnt vmcnt(0)
	v_lshlrev_b16_e32 v9, 2, v3
	v_pk_mov_b32 v[2:3], s[6:7], s[6:7] op_sel:[0,1]
.LBB6_9:
	s_or_b64 exec, exec, s[8:9]
                                        ; implicit-def: $vgpr10
.LBB6_10:
	s_andn2_saveexec_b64 s[4:5], s[4:5]
	s_cbranch_execz .LBB6_12
; %bb.11:
	s_mul_i32 s8, s6, 0x6e
	s_mul_hi_u32 s7, s6, 0x6e
	s_waitcnt lgkmcnt(0)
	s_add_u32 s8, s0, s8
	s_addc_u32 s7, s1, s7
	v_ashrrev_i32_e32 v3, 31, v10
	v_mov_b32_e32 v7, s7
	v_add_co_u32_e32 v2, vcc, s8, v10
	v_addc_co_u32_e32 v3, vcc, v7, v3, vcc
	global_load_ubyte v7, v[2:3], off offset:96
	global_load_ubyte v9, v[2:3], off offset:104
	s_mov_b32 s7, 0
	v_pk_mov_b32 v[2:3], s[6:7], s[6:7] op_sel:[0,1]
	s_waitcnt vmcnt(1)
	v_and_b32_e32 v7, 15, v7
	s_waitcnt vmcnt(0)
	v_lshlrev_b16_e32 v9, 4, v9
.LBB6_12:
	s_or_b64 exec, exec, s[4:5]
	v_lshlrev_b32_e32 v10, 2, v0
	v_and_b32_e32 v10, 12, v10
	v_lshl_or_b32 v8, v8, 4, v10
	s_movk_i32 s4, 0x6e
	s_waitcnt lgkmcnt(0)
	v_pk_mov_b32 v[10:11], s[0:1], s[0:1] op_sel:[0,1]
	v_mad_u64_u32 v[10:11], s[0:1], v2, s4, v[10:11]
	v_mov_b32_e32 v2, v11
	v_mad_u64_u32 v[2:3], s[0:1], v3, s4, v[2:3]
	v_mov_b32_e32 v11, v2
	v_add_co_u32_e32 v2, vcc, v10, v8
	v_and_b32_e32 v0, 0x3e0, v0
	v_addc_co_u32_e32 v3, vcc, 0, v11, vcc
	v_add_co_u32_e32 v12, vcc, v2, v0
	v_addc_co_u32_e32 v13, vcc, 0, v3, vcc
	global_load_dword v0, v[12:13], off offset:32
	global_load_dword v14, v[2:3], off
	global_load_ushort v15, v[10:11], off offset:108
	s_lshl_b32 s0, s6, 8
	s_mov_b32 s1, 0
	s_lshl_b64 s[0:1], s[0:1], 2
	v_lshlrev_b32_e64 v6, v6, 1
	s_waitcnt vmcnt(3)
	v_and_b32_e32 v3, 48, v9
	s_add_u32 s0, s2, s0
	v_mov_b32_e32 v9, 32
	v_lshlrev_b32_e32 v4, 9, v4
	v_lshlrev_b32_e32 v2, 5, v5
	v_mov_b32_e32 v5, 0
	v_or_b32_e32 v7, v3, v7
	s_addc_u32 s1, s3, s1
	v_sub_u32_sdwa v7, v7, v9 dst_sel:DWORD dst_unused:UNUSED_PAD src0_sel:BYTE_0 src1_sel:DWORD
	v_mov_b32_e32 v9, s1
	v_add_co_u32_e32 v4, vcc, s0, v4
	v_addc_co_u32_e32 v9, vcc, 0, v9, vcc
	v_cvt_f32_i32_e32 v7, v7
	v_ashrrev_i32_e32 v3, 31, v2
	v_lshlrev_b64 v[2:3], 2, v[2:3]
	v_lshlrev_b32_e32 v8, 2, v8
	v_cvt_f16_f32_e32 v7, v7
	s_waitcnt vmcnt(2)
	v_lshrrev_b32_sdwa v10, v1, v0 dst_sel:DWORD dst_unused:UNUSED_PAD src0_sel:DWORD src1_sel:BYTE_0
	s_waitcnt vmcnt(1)
	v_and_b32_e32 v13, v14, v6
	v_lshrrev_b32_sdwa v11, v1, v0 dst_sel:DWORD dst_unused:UNUSED_PAD src0_sel:DWORD src1_sel:BYTE_1
	v_lshrrev_b32_e32 v12, 8, v14
	v_lshrrev_b32_sdwa v16, v1, v0 dst_sel:DWORD dst_unused:UNUSED_PAD src0_sel:DWORD src1_sel:BYTE_3
	v_lshrrev_b32_sdwa v0, v1, v0 dst_sel:DWORD dst_unused:UNUSED_PAD src0_sel:DWORD src1_sel:BYTE_2
	v_and_b32_sdwa v1, v14, v6 dst_sel:DWORD dst_unused:UNUSED_PAD src0_sel:WORD_1 src1_sel:DWORD
	v_cmp_eq_u32_sdwa s[0:1], v13, v5 src0_sel:BYTE_0 src1_sel:DWORD
	v_and_b32_sdwa v14, v6, v14 dst_sel:DWORD dst_unused:UNUSED_PAD src0_sel:DWORD src1_sel:BYTE_3
	v_and_b32_e32 v6, v12, v6
	v_cndmask_b32_e64 v12, 0, -4, s[0:1]
	v_cmp_eq_u32_sdwa s[0:1], v1, v5 src0_sel:BYTE_0 src1_sel:DWORD
	v_cmp_eq_u32_e32 vcc, 0, v14
	v_cndmask_b32_e64 v1, 0, -4, s[0:1]
	v_cmp_eq_u32_sdwa s[0:1], v6, v5 src0_sel:BYTE_0 src1_sel:DWORD
	v_cndmask_b32_e64 v13, 0, -4, vcc
	v_cndmask_b32_e64 v5, 0, -4, s[0:1]
	v_and_or_b32 v6, v10, 3, v12
	v_and_or_b32 v0, v0, 3, v1
	;; [unrolled: 1-line block ×4, first 2 shown]
	v_cvt_f32_i32_e32 v6, v6
	v_cvt_f32_i32_e32 v1, v1
	;; [unrolled: 1-line block ×4, first 2 shown]
	v_cvt_f16_f32_e32 v6, v6
	v_cvt_f16_f32_e32 v1, v1
	;; [unrolled: 1-line block ×4, first 2 shown]
	v_add_co_u32_e32 v4, vcc, v4, v2
	s_waitcnt vmcnt(0)
	v_mul_f16_e32 v2, v15, v7
	v_pack_b32_f16 v0, v0, v1
	v_pack_b32_f16 v1, v6, v5
	v_pk_mul_f16 v0, v2, v0 op_sel_hi:[0,1]
	v_pk_mul_f16 v1, v2, v1 op_sel_hi:[0,1]
	v_addc_co_u32_e32 v9, vcc, v9, v3, vcc
	v_cvt_f32_f16_e32 v2, v0
	v_cvt_f32_f16_sdwa v3, v0 dst_sel:DWORD dst_unused:UNUSED_PAD src0_sel:WORD_1
	v_cvt_f32_f16_e32 v0, v1
	v_cvt_f32_f16_sdwa v1, v1 dst_sel:DWORD dst_unused:UNUSED_PAD src0_sel:WORD_1
	v_add_co_u32_e32 v4, vcc, v4, v8
	v_addc_co_u32_e32 v5, vcc, 0, v9, vcc
	global_store_dwordx4 v[4:5], v[0:3], off
	s_endpgm
	.section	.rodata,"a",@progbits
	.p2align	6, 0x0
	.amdhsa_kernel _ZL21dequantize_block_q3_KIfEvPKvPT_
		.amdhsa_group_segment_fixed_size 0
		.amdhsa_private_segment_fixed_size 0
		.amdhsa_kernarg_size 16
		.amdhsa_user_sgpr_count 6
		.amdhsa_user_sgpr_private_segment_buffer 1
		.amdhsa_user_sgpr_dispatch_ptr 0
		.amdhsa_user_sgpr_queue_ptr 0
		.amdhsa_user_sgpr_kernarg_segment_ptr 1
		.amdhsa_user_sgpr_dispatch_id 0
		.amdhsa_user_sgpr_flat_scratch_init 0
		.amdhsa_user_sgpr_kernarg_preload_length 0
		.amdhsa_user_sgpr_kernarg_preload_offset 0
		.amdhsa_user_sgpr_private_segment_size 0
		.amdhsa_uses_dynamic_stack 0
		.amdhsa_system_sgpr_private_segment_wavefront_offset 0
		.amdhsa_system_sgpr_workgroup_id_x 1
		.amdhsa_system_sgpr_workgroup_id_y 0
		.amdhsa_system_sgpr_workgroup_id_z 0
		.amdhsa_system_sgpr_workgroup_info 0
		.amdhsa_system_vgpr_workitem_id 0
		.amdhsa_next_free_vgpr 17
		.amdhsa_next_free_sgpr 16
		.amdhsa_accum_offset 20
		.amdhsa_reserve_vcc 1
		.amdhsa_reserve_flat_scratch 0
		.amdhsa_float_round_mode_32 0
		.amdhsa_float_round_mode_16_64 0
		.amdhsa_float_denorm_mode_32 3
		.amdhsa_float_denorm_mode_16_64 3
		.amdhsa_dx10_clamp 1
		.amdhsa_ieee_mode 1
		.amdhsa_fp16_overflow 0
		.amdhsa_tg_split 0
		.amdhsa_exception_fp_ieee_invalid_op 0
		.amdhsa_exception_fp_denorm_src 0
		.amdhsa_exception_fp_ieee_div_zero 0
		.amdhsa_exception_fp_ieee_overflow 0
		.amdhsa_exception_fp_ieee_underflow 0
		.amdhsa_exception_fp_ieee_inexact 0
		.amdhsa_exception_int_div_zero 0
	.end_amdhsa_kernel
	.section	.text._ZL21dequantize_block_q3_KIfEvPKvPT_,"axG",@progbits,_ZL21dequantize_block_q3_KIfEvPKvPT_,comdat
.Lfunc_end6:
	.size	_ZL21dequantize_block_q3_KIfEvPKvPT_, .Lfunc_end6-_ZL21dequantize_block_q3_KIfEvPKvPT_
                                        ; -- End function
	.section	.AMDGPU.csdata,"",@progbits
; Kernel info:
; codeLenInByte = 896
; NumSgprs: 20
; NumVgprs: 17
; NumAgprs: 0
; TotalNumVgprs: 17
; ScratchSize: 0
; MemoryBound: 0
; FloatMode: 240
; IeeeMode: 1
; LDSByteSize: 0 bytes/workgroup (compile time only)
; SGPRBlocks: 2
; VGPRBlocks: 2
; NumSGPRsForWavesPerEU: 20
; NumVGPRsForWavesPerEU: 17
; AccumOffset: 20
; Occupancy: 8
; WaveLimiterHint : 0
; COMPUTE_PGM_RSRC2:SCRATCH_EN: 0
; COMPUTE_PGM_RSRC2:USER_SGPR: 6
; COMPUTE_PGM_RSRC2:TRAP_HANDLER: 0
; COMPUTE_PGM_RSRC2:TGID_X_EN: 1
; COMPUTE_PGM_RSRC2:TGID_Y_EN: 0
; COMPUTE_PGM_RSRC2:TGID_Z_EN: 0
; COMPUTE_PGM_RSRC2:TIDIG_COMP_CNT: 0
; COMPUTE_PGM_RSRC3_GFX90A:ACCUM_OFFSET: 4
; COMPUTE_PGM_RSRC3_GFX90A:TG_SPLIT: 0
	.section	.text._ZL21dequantize_block_q4_KIfEvPKvPT_,"axG",@progbits,_ZL21dequantize_block_q4_KIfEvPKvPT_,comdat
	.globl	_ZL21dequantize_block_q4_KIfEvPKvPT_ ; -- Begin function _ZL21dequantize_block_q4_KIfEvPKvPT_
	.p2align	8
	.type	_ZL21dequantize_block_q4_KIfEvPKvPT_,@function
_ZL21dequantize_block_q4_KIfEvPKvPT_:   ; @_ZL21dequantize_block_q4_KIfEvPKvPT_
; %bb.0:
	s_load_dwordx2 s[0:1], s[4:5], 0x0
	s_mul_i32 s3, s6, 0x90
	v_lshrrev_b32_e32 v1, 3, v0
	s_mul_hi_u32 s2, s6, 0x90
	v_lshlrev_b32_e32 v2, 1, v1
	s_waitcnt lgkmcnt(0)
	s_add_u32 s8, s0, s3
	s_addc_u32 s9, s1, s2
	v_mov_b32_e32 v3, s9
	v_add_co_u32_e64 v4, s[0:1], s8, v2
	v_cmp_lt_u32_e32 vcc, 15, v0
	v_addc_co_u32_e64 v5, s[0:1], 0, v3, s[0:1]
                                        ; implicit-def: $vgpr7
                                        ; implicit-def: $vgpr6
	s_and_saveexec_b64 s[0:1], vcc
	s_xor_b64 s[0:1], exec, s[0:1]
	s_cbranch_execz .LBB7_2
; %bb.1:
	global_load_ubyte v3, v[4:5], off offset:8
	global_load_ubyte v6, v[4:5], off
	global_load_ubyte v7, v[4:5], off offset:4
	s_waitcnt vmcnt(2)
	v_and_b32_e32 v4, 15, v3
	s_waitcnt vmcnt(1)
	v_lshrrev_b16_e32 v5, 2, v6
	s_waitcnt vmcnt(0)
	v_lshrrev_b16_e32 v6, 2, v7
	v_lshrrev_b16_e32 v3, 4, v3
	v_and_b32_e32 v5, 48, v5
	v_and_b32_e32 v7, 48, v6
	v_or_b32_e32 v6, v5, v4
	v_or_b32_e32 v7, v7, v3
                                        ; implicit-def: $vgpr4_vgpr5
.LBB7_2:
	s_andn2_saveexec_b64 s[0:1], s[0:1]
	s_cbranch_execz .LBB7_4
; %bb.3:
	global_load_ubyte v3, v[4:5], off offset:4
	global_load_ubyte v7, v[4:5], off offset:8
	s_waitcnt vmcnt(1)
	v_and_b32_e32 v6, 63, v3
	s_waitcnt vmcnt(0)
	v_and_b32_e32 v7, 63, v7
.LBB7_4:
	s_or_b64 exec, exec, s[0:1]
	s_load_dwordx2 s[2:3], s[4:5], 0x8
	s_load_dword s7, s[8:9], 0x0
	s_add_u32 s0, s8, 4
	s_addc_u32 s1, s9, 0
	v_mov_b32_e32 v3, s1
	v_add_co_u32_e64 v2, s[0:1], s0, v2
	v_addc_co_u32_e64 v3, s[0:1], 0, v3, s[0:1]
                                        ; implicit-def: $vgpr5
                                        ; implicit-def: $vgpr4
	s_and_saveexec_b64 s[0:1], vcc
	s_xor_b64 s[0:1], exec, s[0:1]
	s_cbranch_execz .LBB7_6
; %bb.5:
	global_load_ubyte v4, v[2:3], off offset:5
	global_load_ubyte v5, v[2:3], off offset:-3
	global_load_ubyte v8, v[2:3], off offset:1
	s_waitcnt vmcnt(2)
	v_and_b32_e32 v2, 15, v4
	s_waitcnt vmcnt(1)
	v_lshrrev_b16_e32 v3, 2, v5
	v_lshrrev_b16_e32 v5, 4, v4
	s_waitcnt vmcnt(0)
	v_lshrrev_b16_e32 v4, 2, v8
	v_and_b32_e32 v3, 48, v3
	v_and_b32_e32 v8, 48, v4
	v_or_b32_e32 v4, v3, v2
	v_or_b32_e32 v5, v8, v5
                                        ; implicit-def: $vgpr2_vgpr3
.LBB7_6:
	s_andn2_saveexec_b64 s[0:1], s[0:1]
	s_cbranch_execz .LBB7_8
; %bb.7:
	global_load_ubyte v4, v[2:3], off offset:1
	global_load_ubyte v5, v[2:3], off offset:5
	s_waitcnt vmcnt(1)
	v_and_b32_e32 v4, 63, v4
	s_waitcnt vmcnt(0)
	v_and_b32_e32 v5, 63, v5
.LBB7_8:
	s_or_b64 exec, exec, s[0:1]
	v_lshlrev_b32_e32 v2, 5, v1
	v_mov_b32_e32 v3, s9
	v_add_co_u32_e32 v2, vcc, s8, v2
	v_lshlrev_b32_e32 v0, 2, v0
	v_addc_co_u32_e32 v3, vcc, 0, v3, vcc
	v_and_b32_e32 v0, 28, v0
	v_add_co_u32_e32 v2, vcc, v2, v0
	v_addc_co_u32_e32 v3, vcc, 0, v3, vcc
	global_load_dword v2, v[2:3], off offset:16
	s_mov_b32 s1, 0
	s_lshl_b32 s0, s6, 8
	s_waitcnt lgkmcnt(0)
	s_lshr_b32 s4, s7, 16
	s_lshl_b64 s[0:1], s[0:1], 2
	s_add_u32 s0, s2, s0
	v_lshlrev_b32_e32 v1, 8, v1
	s_addc_u32 s1, s3, s1
	v_cvt_f16_u16_sdwa v4, v4 dst_sel:DWORD dst_unused:UNUSED_PAD src0_sel:BYTE_0
	v_lshlrev_b32_e32 v10, 2, v0
	v_mov_b32_e32 v0, s1
	v_add_co_u32_e32 v11, vcc, s0, v1
	v_cvt_f16_u16_sdwa v3, v7 dst_sel:DWORD dst_unused:UNUSED_PAD src0_sel:BYTE_0
	v_cvt_f16_u16_sdwa v6, v6 dst_sel:DWORD dst_unused:UNUSED_PAD src0_sel:BYTE_0
	v_mov_b32_e32 v7, 15
	v_mov_b32_e32 v8, 4
	v_mul_f16_e32 v9, s7, v4
	v_addc_co_u32_e32 v12, vcc, 0, v0, vcc
	v_cvt_f16_u16_sdwa v5, v5 dst_sel:DWORD dst_unused:UNUSED_PAD src0_sel:BYTE_0
	v_mul_f16_e32 v3, s4, v3
	v_mul_f16_e32 v6, s7, v6
	;; [unrolled: 1-line block ×3, first 2 shown]
	s_waitcnt vmcnt(0)
	v_lshrrev_b32_e32 v0, 8, v2
	v_and_b32_e32 v1, 15, v2
	v_lshrrev_b16_e32 v4, 4, v2
	v_and_b32_sdwa v13, v2, v7 dst_sel:DWORD dst_unused:UNUSED_PAD src0_sel:WORD_1 src1_sel:DWORD
	v_lshrrev_b32_e32 v14, 20, v2
	v_and_b32_sdwa v7, v2, v7 dst_sel:DWORD dst_unused:UNUSED_PAD src0_sel:BYTE_3 src1_sel:DWORD
	v_lshrrev_b16_sdwa v2, v8, v2 dst_sel:DWORD dst_unused:UNUSED_PAD src0_sel:DWORD src1_sel:BYTE_3
	v_cvt_f16_u16_e32 v1, v1
	v_and_b32_e32 v4, 15, v4
	v_and_b32_e32 v8, 15, v0
	v_lshrrev_b16_e32 v0, 4, v0
	v_cvt_f16_u16_e32 v13, v13
	v_and_b32_e32 v14, 15, v14
	v_cvt_f16_u16_e32 v7, v7
	v_fma_f16 v1, v6, v1, -v3
	v_cvt_f16_u16_e32 v4, v4
	v_cvt_f16_u16_e32 v8, v8
	v_and_b32_e32 v15, 15, v0
	v_cvt_f16_u16_e32 v2, v2
	v_fma_f16 v13, v6, v13, -v3
	v_cvt_f16_u16_e32 v14, v14
	v_fma_f16 v7, v6, v7, -v3
	v_cvt_f32_f16_e32 v0, v1
	v_fma_f16 v1, v9, v4, -v5
	v_fma_f16 v6, v6, v8, -v3
	v_cvt_f16_u16_e32 v8, v15
	v_fma_f16 v16, v9, v2, -v5
	v_cvt_f32_f16_e32 v2, v13
	v_fma_f16 v13, v9, v14, -v5
	v_cvt_f32_f16_e32 v3, v7
	v_cvt_f32_f16_e32 v4, v1
	;; [unrolled: 1-line block ×3, first 2 shown]
	v_fma_f16 v5, v9, v8, -v5
	v_cvt_f32_f16_e32 v7, v16
	v_cvt_f32_f16_e32 v6, v13
	;; [unrolled: 1-line block ×3, first 2 shown]
	v_add_co_u32_e32 v8, vcc, v11, v10
	v_addc_co_u32_e32 v9, vcc, 0, v12, vcc
	global_store_dwordx4 v[8:9], v[0:3], off
	global_store_dwordx4 v[8:9], v[4:7], off offset:128
	s_endpgm
	.section	.rodata,"a",@progbits
	.p2align	6, 0x0
	.amdhsa_kernel _ZL21dequantize_block_q4_KIfEvPKvPT_
		.amdhsa_group_segment_fixed_size 0
		.amdhsa_private_segment_fixed_size 0
		.amdhsa_kernarg_size 16
		.amdhsa_user_sgpr_count 6
		.amdhsa_user_sgpr_private_segment_buffer 1
		.amdhsa_user_sgpr_dispatch_ptr 0
		.amdhsa_user_sgpr_queue_ptr 0
		.amdhsa_user_sgpr_kernarg_segment_ptr 1
		.amdhsa_user_sgpr_dispatch_id 0
		.amdhsa_user_sgpr_flat_scratch_init 0
		.amdhsa_user_sgpr_kernarg_preload_length 0
		.amdhsa_user_sgpr_kernarg_preload_offset 0
		.amdhsa_user_sgpr_private_segment_size 0
		.amdhsa_uses_dynamic_stack 0
		.amdhsa_system_sgpr_private_segment_wavefront_offset 0
		.amdhsa_system_sgpr_workgroup_id_x 1
		.amdhsa_system_sgpr_workgroup_id_y 0
		.amdhsa_system_sgpr_workgroup_id_z 0
		.amdhsa_system_sgpr_workgroup_info 0
		.amdhsa_system_vgpr_workitem_id 0
		.amdhsa_next_free_vgpr 17
		.amdhsa_next_free_sgpr 10
		.amdhsa_accum_offset 20
		.amdhsa_reserve_vcc 1
		.amdhsa_reserve_flat_scratch 0
		.amdhsa_float_round_mode_32 0
		.amdhsa_float_round_mode_16_64 0
		.amdhsa_float_denorm_mode_32 3
		.amdhsa_float_denorm_mode_16_64 3
		.amdhsa_dx10_clamp 1
		.amdhsa_ieee_mode 1
		.amdhsa_fp16_overflow 0
		.amdhsa_tg_split 0
		.amdhsa_exception_fp_ieee_invalid_op 0
		.amdhsa_exception_fp_denorm_src 0
		.amdhsa_exception_fp_ieee_div_zero 0
		.amdhsa_exception_fp_ieee_overflow 0
		.amdhsa_exception_fp_ieee_underflow 0
		.amdhsa_exception_fp_ieee_inexact 0
		.amdhsa_exception_int_div_zero 0
	.end_amdhsa_kernel
	.section	.text._ZL21dequantize_block_q4_KIfEvPKvPT_,"axG",@progbits,_ZL21dequantize_block_q4_KIfEvPKvPT_,comdat
.Lfunc_end7:
	.size	_ZL21dequantize_block_q4_KIfEvPKvPT_, .Lfunc_end7-_ZL21dequantize_block_q4_KIfEvPKvPT_
                                        ; -- End function
	.section	.AMDGPU.csdata,"",@progbits
; Kernel info:
; codeLenInByte = 724
; NumSgprs: 14
; NumVgprs: 17
; NumAgprs: 0
; TotalNumVgprs: 17
; ScratchSize: 0
; MemoryBound: 0
; FloatMode: 240
; IeeeMode: 1
; LDSByteSize: 0 bytes/workgroup (compile time only)
; SGPRBlocks: 1
; VGPRBlocks: 2
; NumSGPRsForWavesPerEU: 14
; NumVGPRsForWavesPerEU: 17
; AccumOffset: 20
; Occupancy: 8
; WaveLimiterHint : 1
; COMPUTE_PGM_RSRC2:SCRATCH_EN: 0
; COMPUTE_PGM_RSRC2:USER_SGPR: 6
; COMPUTE_PGM_RSRC2:TRAP_HANDLER: 0
; COMPUTE_PGM_RSRC2:TGID_X_EN: 1
; COMPUTE_PGM_RSRC2:TGID_Y_EN: 0
; COMPUTE_PGM_RSRC2:TGID_Z_EN: 0
; COMPUTE_PGM_RSRC2:TIDIG_COMP_CNT: 0
; COMPUTE_PGM_RSRC3_GFX90A:ACCUM_OFFSET: 4
; COMPUTE_PGM_RSRC3_GFX90A:TG_SPLIT: 0
	.section	.text._ZL21dequantize_block_q5_KIfEvPKvPT_,"axG",@progbits,_ZL21dequantize_block_q5_KIfEvPKvPT_,comdat
	.globl	_ZL21dequantize_block_q5_KIfEvPKvPT_ ; -- Begin function _ZL21dequantize_block_q5_KIfEvPKvPT_
	.p2align	8
	.type	_ZL21dequantize_block_q5_KIfEvPKvPT_,@function
_ZL21dequantize_block_q5_KIfEvPKvPT_:   ; @_ZL21dequantize_block_q5_KIfEvPKvPT_
; %bb.0:
	s_load_dwordx2 s[0:1], s[4:5], 0x0
	s_mul_i32 s2, s6, 0xb0
	v_lshrrev_b32_e32 v1, 4, v0
	s_mul_hi_u32 s3, s6, 0xb0
	v_lshlrev_b32_e32 v2, 1, v1
	s_waitcnt lgkmcnt(0)
	s_add_u32 s2, s0, s2
	s_addc_u32 s3, s1, s3
	v_mov_b32_e32 v3, s3
	v_add_co_u32_e64 v4, s[0:1], s2, v2
	v_cmp_lt_u32_e32 vcc, 31, v0
	v_addc_co_u32_e64 v5, s[0:1], 0, v3, s[0:1]
                                        ; implicit-def: $vgpr6
                                        ; implicit-def: $vgpr3
	s_and_saveexec_b64 s[0:1], vcc
	s_xor_b64 s[0:1], exec, s[0:1]
	s_cbranch_execz .LBB8_2
; %bb.1:
	global_load_ubyte v3, v[4:5], off offset:8
	global_load_ubyte v6, v[4:5], off
	global_load_ubyte v7, v[4:5], off offset:4
	s_waitcnt vmcnt(2)
	v_and_b32_e32 v4, 15, v3
	s_waitcnt vmcnt(1)
	v_lshrrev_b16_e32 v5, 2, v6
	v_lshrrev_b16_e32 v6, 4, v3
	s_waitcnt vmcnt(0)
	v_lshrrev_b16_e32 v3, 2, v7
	v_and_b32_e32 v5, 48, v5
	v_and_b32_e32 v7, 48, v3
	v_or_b32_e32 v3, v5, v4
	v_or_b32_e32 v6, v7, v6
                                        ; implicit-def: $vgpr4_vgpr5
.LBB8_2:
	s_andn2_saveexec_b64 s[0:1], s[0:1]
	s_cbranch_execz .LBB8_4
; %bb.3:
	global_load_ubyte v3, v[4:5], off offset:4
	global_load_ubyte v6, v[4:5], off offset:8
	s_waitcnt vmcnt(1)
	v_and_b32_e32 v3, 63, v3
	s_waitcnt vmcnt(0)
	v_and_b32_e32 v6, 63, v6
.LBB8_4:
	s_or_b64 exec, exec, s[0:1]
	s_load_dwordx2 s[8:9], s[4:5], 0x8
	s_load_dword s7, s[2:3], 0x0
	s_add_u32 s0, s2, 4
	s_addc_u32 s1, s3, 0
	v_mov_b32_e32 v5, s1
	v_add_co_u32_e64 v4, s[0:1], s0, v2
	v_addc_co_u32_e64 v5, s[0:1], 0, v5, s[0:1]
                                        ; implicit-def: $vgpr8
                                        ; implicit-def: $vgpr7
	s_and_saveexec_b64 s[0:1], vcc
	s_xor_b64 s[0:1], exec, s[0:1]
	s_cbranch_execz .LBB8_6
; %bb.5:
	global_load_ubyte v7, v[4:5], off offset:5
	global_load_ubyte v8, v[4:5], off offset:-3
	global_load_ubyte v9, v[4:5], off offset:1
	s_waitcnt vmcnt(2)
	v_and_b32_e32 v4, 15, v7
	s_waitcnt vmcnt(1)
	v_lshrrev_b16_e32 v5, 2, v8
	v_lshrrev_b16_e32 v8, 4, v7
	s_waitcnt vmcnt(0)
	v_lshrrev_b16_e32 v7, 2, v9
	v_and_b32_e32 v5, 48, v5
	v_and_b32_e32 v9, 48, v7
	v_or_b32_e32 v7, v5, v4
	v_or_b32_e32 v8, v9, v8
                                        ; implicit-def: $vgpr4_vgpr5
.LBB8_6:
	s_andn2_saveexec_b64 s[0:1], s[0:1]
	s_cbranch_execz .LBB8_8
; %bb.7:
	global_load_ubyte v7, v[4:5], off offset:1
	global_load_ubyte v8, v[4:5], off offset:5
	s_waitcnt vmcnt(1)
	v_and_b32_e32 v7, 63, v7
	s_waitcnt vmcnt(0)
	v_and_b32_e32 v8, 63, v8
.LBB8_8:
	s_or_b64 exec, exec, s[0:1]
	v_lshlrev_b32_e32 v0, 1, v0
	v_and_b32_e32 v0, 30, v0
	v_mov_b32_e32 v4, s3
	v_add_co_u32_e32 v5, vcc, s2, v0
	v_addc_co_u32_e32 v9, vcc, 0, v4, vcc
	v_lshlrev_b32_e32 v4, 5, v1
	v_add_co_u32_e32 v4, vcc, v5, v4
	v_addc_co_u32_e32 v5, vcc, 0, v9, vcc
	global_load_ushort v9, v[4:5], off offset:48
	global_load_ushort v10, v0, s[2:3] offset:16
	s_mov_b32 s1, 0
	s_lshl_b32 s0, s6, 8
	s_waitcnt lgkmcnt(0)
	s_lshr_b32 s2, s7, 16
	s_lshl_b64 s[0:1], s[0:1], 2
	s_add_u32 s0, s8, s0
	v_lshlrev_b32_e32 v1, 8, v1
	s_addc_u32 s1, s9, s1
	v_cvt_f16_u16_sdwa v5, v7 dst_sel:DWORD dst_unused:UNUSED_PAD src0_sel:BYTE_0
	v_lshlrev_b32_e64 v7, v2, 1
	v_lshlrev_b32_e32 v11, 2, v0
	v_mov_b32_e32 v0, s1
	v_add_co_u32_e32 v12, vcc, s0, v1
	v_addc_co_u32_e32 v13, vcc, 0, v0, vcc
	v_lshlrev_b32_e64 v2, v2, 2
	v_cvt_f16_u16_sdwa v4, v6 dst_sel:DWORD dst_unused:UNUSED_PAD src0_sel:BYTE_0
	v_cvt_f16_u16_sdwa v6, v8 dst_sel:DWORD dst_unused:UNUSED_PAD src0_sel:BYTE_0
	v_mov_b32_e32 v8, 15
	v_cvt_f16_u16_sdwa v3, v3 dst_sel:DWORD dst_unused:UNUSED_PAD src0_sel:BYTE_0
	v_mul_f16_e32 v4, s2, v4
	v_mul_f16_e32 v3, s7, v3
	;; [unrolled: 1-line block ×4, first 2 shown]
	s_waitcnt vmcnt(1)
	v_lshrrev_b16_e32 v14, 4, v9
	s_waitcnt vmcnt(0)
	v_and_b32_sdwa v1, v7, v10 dst_sel:DWORD dst_unused:UNUSED_PAD src0_sel:DWORD src1_sel:BYTE_0
	v_and_b32_sdwa v7, v7, v10 dst_sel:DWORD dst_unused:UNUSED_PAD src0_sel:DWORD src1_sel:BYTE_1
	v_cmp_ne_u32_e32 vcc, 0, v1
	v_and_b32_sdwa v15, v2, v10 dst_sel:DWORD dst_unused:UNUSED_PAD src0_sel:DWORD src1_sel:BYTE_0
	v_cndmask_b32_e64 v1, 0, 1, vcc
	v_cmp_ne_u32_e32 vcc, 0, v7
	v_and_b32_sdwa v2, v2, v10 dst_sel:DWORD dst_unused:UNUSED_PAD src0_sel:DWORD src1_sel:BYTE_1
	v_cndmask_b32_e64 v7, 0, 1, vcc
	v_cmp_ne_u32_e32 vcc, 0, v15
	v_and_b32_e32 v0, 15, v9
	v_and_b32_sdwa v8, v9, v8 dst_sel:DWORD dst_unused:UNUSED_PAD src0_sel:BYTE_1 src1_sel:DWORD
	v_and_b32_e32 v10, 15, v14
	v_cndmask_b32_e64 v14, 0, 1, vcc
	v_cmp_ne_u32_e32 vcc, 0, v2
	v_lshrrev_b16_e32 v9, 12, v9
	v_cndmask_b32_e64 v2, 0, 1, vcc
	v_lshl_or_b32 v0, v1, 4, v0
	v_lshl_or_b32 v1, v7, 4, v8
	;; [unrolled: 1-line block ×4, first 2 shown]
	v_cvt_f32_ubyte0_e32 v0, v0
	v_cvt_f32_ubyte0_e32 v1, v1
	;; [unrolled: 1-line block ×4, first 2 shown]
	v_cvt_f16_f32_e32 v0, v0
	v_cvt_f16_f32_e32 v1, v1
	v_cvt_f16_f32_e32 v7, v7
	v_cvt_f16_f32_e32 v2, v2
	v_fma_f16 v0, v3, v0, -v4
	v_fma_f16 v1, v3, v1, -v4
	;; [unrolled: 1-line block ×4, first 2 shown]
	v_cvt_f32_f16_e32 v0, v0
	v_cvt_f32_f16_e32 v1, v1
	;; [unrolled: 1-line block ×4, first 2 shown]
	v_add_co_u32_e32 v4, vcc, v12, v11
	v_addc_co_u32_e32 v5, vcc, 0, v13, vcc
	global_store_dwordx2 v[4:5], v[0:1], off
	global_store_dwordx2 v[4:5], v[2:3], off offset:128
	s_endpgm
	.section	.rodata,"a",@progbits
	.p2align	6, 0x0
	.amdhsa_kernel _ZL21dequantize_block_q5_KIfEvPKvPT_
		.amdhsa_group_segment_fixed_size 0
		.amdhsa_private_segment_fixed_size 0
		.amdhsa_kernarg_size 16
		.amdhsa_user_sgpr_count 6
		.amdhsa_user_sgpr_private_segment_buffer 1
		.amdhsa_user_sgpr_dispatch_ptr 0
		.amdhsa_user_sgpr_queue_ptr 0
		.amdhsa_user_sgpr_kernarg_segment_ptr 1
		.amdhsa_user_sgpr_dispatch_id 0
		.amdhsa_user_sgpr_flat_scratch_init 0
		.amdhsa_user_sgpr_kernarg_preload_length 0
		.amdhsa_user_sgpr_kernarg_preload_offset 0
		.amdhsa_user_sgpr_private_segment_size 0
		.amdhsa_uses_dynamic_stack 0
		.amdhsa_system_sgpr_private_segment_wavefront_offset 0
		.amdhsa_system_sgpr_workgroup_id_x 1
		.amdhsa_system_sgpr_workgroup_id_y 0
		.amdhsa_system_sgpr_workgroup_id_z 0
		.amdhsa_system_sgpr_workgroup_info 0
		.amdhsa_system_vgpr_workitem_id 0
		.amdhsa_next_free_vgpr 16
		.amdhsa_next_free_sgpr 10
		.amdhsa_accum_offset 16
		.amdhsa_reserve_vcc 1
		.amdhsa_reserve_flat_scratch 0
		.amdhsa_float_round_mode_32 0
		.amdhsa_float_round_mode_16_64 0
		.amdhsa_float_denorm_mode_32 3
		.amdhsa_float_denorm_mode_16_64 3
		.amdhsa_dx10_clamp 1
		.amdhsa_ieee_mode 1
		.amdhsa_fp16_overflow 0
		.amdhsa_tg_split 0
		.amdhsa_exception_fp_ieee_invalid_op 0
		.amdhsa_exception_fp_denorm_src 0
		.amdhsa_exception_fp_ieee_div_zero 0
		.amdhsa_exception_fp_ieee_overflow 0
		.amdhsa_exception_fp_ieee_underflow 0
		.amdhsa_exception_fp_ieee_inexact 0
		.amdhsa_exception_int_div_zero 0
	.end_amdhsa_kernel
	.section	.text._ZL21dequantize_block_q5_KIfEvPKvPT_,"axG",@progbits,_ZL21dequantize_block_q5_KIfEvPKvPT_,comdat
.Lfunc_end8:
	.size	_ZL21dequantize_block_q5_KIfEvPKvPT_, .Lfunc_end8-_ZL21dequantize_block_q5_KIfEvPKvPT_
                                        ; -- End function
	.section	.AMDGPU.csdata,"",@progbits
; Kernel info:
; codeLenInByte = 776
; NumSgprs: 14
; NumVgprs: 16
; NumAgprs: 0
; TotalNumVgprs: 16
; ScratchSize: 0
; MemoryBound: 0
; FloatMode: 240
; IeeeMode: 1
; LDSByteSize: 0 bytes/workgroup (compile time only)
; SGPRBlocks: 1
; VGPRBlocks: 1
; NumSGPRsForWavesPerEU: 14
; NumVGPRsForWavesPerEU: 16
; AccumOffset: 16
; Occupancy: 8
; WaveLimiterHint : 1
; COMPUTE_PGM_RSRC2:SCRATCH_EN: 0
; COMPUTE_PGM_RSRC2:USER_SGPR: 6
; COMPUTE_PGM_RSRC2:TRAP_HANDLER: 0
; COMPUTE_PGM_RSRC2:TGID_X_EN: 1
; COMPUTE_PGM_RSRC2:TGID_Y_EN: 0
; COMPUTE_PGM_RSRC2:TGID_Z_EN: 0
; COMPUTE_PGM_RSRC2:TIDIG_COMP_CNT: 0
; COMPUTE_PGM_RSRC3_GFX90A:ACCUM_OFFSET: 3
; COMPUTE_PGM_RSRC3_GFX90A:TG_SPLIT: 0
	.section	.text._ZL21dequantize_block_q6_KIfEvPKvPT_,"axG",@progbits,_ZL21dequantize_block_q6_KIfEvPKvPT_,comdat
	.globl	_ZL21dequantize_block_q6_KIfEvPKvPT_ ; -- Begin function _ZL21dequantize_block_q6_KIfEvPKvPT_
	.p2align	8
	.type	_ZL21dequantize_block_q6_KIfEvPKvPT_,@function
_ZL21dequantize_block_q6_KIfEvPKvPT_:   ; @_ZL21dequantize_block_q6_KIfEvPKvPT_
; %bb.0:
	s_load_dwordx4 s[0:3], s[4:5], 0x0
	s_lshl_b32 s4, s6, 8
	s_mov_b32 s5, 0
	s_lshl_b64 s[4:5], s[4:5], 2
	v_lshrrev_b32_e32 v1, 5, v0
	s_waitcnt lgkmcnt(0)
	s_add_u32 s2, s2, s4
	s_addc_u32 s3, s3, s5
	s_mul_hi_u32 s4, s6, 0xd2
	s_mulk_i32 s6, 0xd2
	s_add_u32 s0, s0, s6
	s_addc_u32 s1, s1, s4
	v_lshlrev_b32_e32 v2, 6, v1
	v_mov_b32_e32 v3, s1
	v_add_co_u32_e32 v2, vcc, s0, v2
	v_and_b32_e32 v4, 31, v0
	v_addc_co_u32_e32 v3, vcc, 0, v3, vcc
	global_load_ubyte v5, v0, s[0:1] offset:128
	v_add_co_u32_e32 v2, vcc, v2, v4
	v_addc_co_u32_e32 v3, vcc, 0, v3, vcc
	global_load_ubyte v6, v[2:3], off
	global_load_ubyte v7, v[2:3], off offset:32
	v_bfe_u32 v0, v0, 4, 1
	v_lshl_or_b32 v0, v1, 3, v0
	global_load_sbyte v2, v0, s[0:1] offset:192
	global_load_sbyte v3, v0, s[0:1] offset:194
	global_load_sbyte v8, v0, s[0:1] offset:196
	global_load_sbyte v9, v0, s[0:1] offset:198
	v_mov_b32_e32 v0, 0
	global_load_ushort v10, v0, s[0:1] offset:208
	v_lshlrev_b32_e32 v0, 9, v1
	v_lshlrev_b32_e32 v1, 2, v4
	v_mov_b32_e32 v4, s3
	v_add_co_u32_e32 v0, vcc, s2, v0
	v_addc_co_u32_e32 v4, vcc, 0, v4, vcc
	v_add_co_u32_e32 v0, vcc, v0, v1
	v_addc_co_u32_e32 v1, vcc, 0, v4, vcc
	v_mov_b32_e32 v11, 32
	s_waitcnt vmcnt(7)
	v_lshlrev_b16_e32 v4, 4, v5
	v_lshlrev_b16_e32 v12, 2, v5
	v_and_b32_e32 v4, 48, v4
	v_and_b32_e32 v13, 48, v5
	s_waitcnt vmcnt(6)
	v_and_b32_e32 v14, 15, v6
	v_lshrrev_b16_e32 v5, 2, v5
	v_and_b32_e32 v12, 48, v12
	s_waitcnt vmcnt(5)
	v_and_b32_e32 v15, 15, v7
	v_or_b32_e32 v4, v14, v4
	v_and_b32_e32 v5, 48, v5
	v_lshrrev_b16_e32 v6, 4, v6
	v_lshrrev_b16_e32 v7, 4, v7
	v_or_b32_e32 v12, v15, v12
	v_sub_u32_sdwa v4, v4, v11 dst_sel:DWORD dst_unused:UNUSED_PAD src0_sel:WORD_0 src1_sel:DWORD
	v_or_b32_e32 v6, v6, v13
	v_or_b32_e32 v5, v7, v5
	v_sub_u32_sdwa v7, v12, v11 dst_sel:DWORD dst_unused:UNUSED_PAD src0_sel:WORD_0 src1_sel:DWORD
	s_waitcnt vmcnt(4)
	v_mul_i32_i24_e32 v2, v4, v2
	v_sub_u32_sdwa v6, v6, v11 dst_sel:DWORD dst_unused:UNUSED_PAD src0_sel:WORD_0 src1_sel:DWORD
	s_waitcnt vmcnt(3)
	v_mul_i32_i24_e32 v3, v7, v3
	v_cvt_f32_i32_e32 v2, v2
	v_sub_u32_sdwa v5, v5, v11 dst_sel:DWORD dst_unused:UNUSED_PAD src0_sel:WORD_0 src1_sel:DWORD
	s_waitcnt vmcnt(2)
	v_mul_i32_i24_e32 v4, v6, v8
	v_cvt_f32_i32_e32 v3, v3
	s_waitcnt vmcnt(1)
	v_mul_i32_i24_e32 v5, v5, v9
	v_cvt_f32_i32_e32 v4, v4
	v_cvt_f32_i32_e32 v5, v5
	v_cvt_f16_f32_e32 v2, v2
	v_cvt_f16_f32_e32 v3, v3
	;; [unrolled: 1-line block ×4, first 2 shown]
	s_waitcnt vmcnt(0)
	v_mul_f16_e32 v2, v10, v2
	v_mul_f16_e32 v3, v10, v3
	v_cvt_f32_f16_e32 v2, v2
	v_mul_f16_e32 v4, v10, v4
	v_cvt_f32_f16_e32 v3, v3
	;; [unrolled: 2-line block ×3, first 2 shown]
	v_cvt_f32_f16_e32 v5, v5
	global_store_dword v[0:1], v2, off
	global_store_dword v[0:1], v3, off offset:128
	global_store_dword v[0:1], v4, off offset:256
	;; [unrolled: 1-line block ×3, first 2 shown]
	s_endpgm
	.section	.rodata,"a",@progbits
	.p2align	6, 0x0
	.amdhsa_kernel _ZL21dequantize_block_q6_KIfEvPKvPT_
		.amdhsa_group_segment_fixed_size 0
		.amdhsa_private_segment_fixed_size 0
		.amdhsa_kernarg_size 16
		.amdhsa_user_sgpr_count 6
		.amdhsa_user_sgpr_private_segment_buffer 1
		.amdhsa_user_sgpr_dispatch_ptr 0
		.amdhsa_user_sgpr_queue_ptr 0
		.amdhsa_user_sgpr_kernarg_segment_ptr 1
		.amdhsa_user_sgpr_dispatch_id 0
		.amdhsa_user_sgpr_flat_scratch_init 0
		.amdhsa_user_sgpr_kernarg_preload_length 0
		.amdhsa_user_sgpr_kernarg_preload_offset 0
		.amdhsa_user_sgpr_private_segment_size 0
		.amdhsa_uses_dynamic_stack 0
		.amdhsa_system_sgpr_private_segment_wavefront_offset 0
		.amdhsa_system_sgpr_workgroup_id_x 1
		.amdhsa_system_sgpr_workgroup_id_y 0
		.amdhsa_system_sgpr_workgroup_id_z 0
		.amdhsa_system_sgpr_workgroup_info 0
		.amdhsa_system_vgpr_workitem_id 0
		.amdhsa_next_free_vgpr 16
		.amdhsa_next_free_sgpr 7
		.amdhsa_accum_offset 16
		.amdhsa_reserve_vcc 1
		.amdhsa_reserve_flat_scratch 0
		.amdhsa_float_round_mode_32 0
		.amdhsa_float_round_mode_16_64 0
		.amdhsa_float_denorm_mode_32 3
		.amdhsa_float_denorm_mode_16_64 3
		.amdhsa_dx10_clamp 1
		.amdhsa_ieee_mode 1
		.amdhsa_fp16_overflow 0
		.amdhsa_tg_split 0
		.amdhsa_exception_fp_ieee_invalid_op 0
		.amdhsa_exception_fp_denorm_src 0
		.amdhsa_exception_fp_ieee_div_zero 0
		.amdhsa_exception_fp_ieee_overflow 0
		.amdhsa_exception_fp_ieee_underflow 0
		.amdhsa_exception_fp_ieee_inexact 0
		.amdhsa_exception_int_div_zero 0
	.end_amdhsa_kernel
	.section	.text._ZL21dequantize_block_q6_KIfEvPKvPT_,"axG",@progbits,_ZL21dequantize_block_q6_KIfEvPKvPT_,comdat
.Lfunc_end9:
	.size	_ZL21dequantize_block_q6_KIfEvPKvPT_, .Lfunc_end9-_ZL21dequantize_block_q6_KIfEvPKvPT_
                                        ; -- End function
	.section	.AMDGPU.csdata,"",@progbits
; Kernel info:
; codeLenInByte = 440
; NumSgprs: 11
; NumVgprs: 16
; NumAgprs: 0
; TotalNumVgprs: 16
; ScratchSize: 0
; MemoryBound: 0
; FloatMode: 240
; IeeeMode: 1
; LDSByteSize: 0 bytes/workgroup (compile time only)
; SGPRBlocks: 1
; VGPRBlocks: 1
; NumSGPRsForWavesPerEU: 11
; NumVGPRsForWavesPerEU: 16
; AccumOffset: 16
; Occupancy: 8
; WaveLimiterHint : 0
; COMPUTE_PGM_RSRC2:SCRATCH_EN: 0
; COMPUTE_PGM_RSRC2:USER_SGPR: 6
; COMPUTE_PGM_RSRC2:TRAP_HANDLER: 0
; COMPUTE_PGM_RSRC2:TGID_X_EN: 1
; COMPUTE_PGM_RSRC2:TGID_Y_EN: 0
; COMPUTE_PGM_RSRC2:TGID_Z_EN: 0
; COMPUTE_PGM_RSRC2:TIDIG_COMP_CNT: 0
; COMPUTE_PGM_RSRC3_GFX90A:ACCUM_OFFSET: 3
; COMPUTE_PGM_RSRC3_GFX90A:TG_SPLIT: 0
	.section	.text._ZL24dequantize_block_iq2_xxsIfEvPKvPT_,"axG",@progbits,_ZL24dequantize_block_iq2_xxsIfEvPKvPT_,comdat
	.globl	_ZL24dequantize_block_iq2_xxsIfEvPKvPT_ ; -- Begin function _ZL24dequantize_block_iq2_xxsIfEvPKvPT_
	.p2align	8
	.type	_ZL24dequantize_block_iq2_xxsIfEvPKvPT_,@function
_ZL24dequantize_block_iq2_xxsIfEvPKvPT_: ; @_ZL24dequantize_block_iq2_xxsIfEvPKvPT_
; %bb.0:
	s_load_dwordx4 s[0:3], s[4:5], 0x0
	s_lshl_b32 s4, s6, 8
	s_mov_b32 s5, 0
	s_lshl_b64 s[4:5], s[4:5], 2
	v_and_b32_e32 v4, 7, v0
	s_waitcnt lgkmcnt(0)
	s_add_u32 s4, s2, s4
	s_addc_u32 s5, s3, s5
	s_mul_hi_u32 s2, s6, 0x42
	s_mulk_i32 s6, 0x42
	s_add_u32 s0, s0, s6
	s_addc_u32 s1, s1, s2
	v_lshlrev_b32_e32 v5, 3, v4
	v_mov_b32_e32 v2, s1
	v_add_co_u32_e32 v3, vcc, s0, v5
	v_lshrrev_b32_e32 v1, 3, v0
	v_addc_co_u32_e32 v6, vcc, 0, v2, vcc
	v_add_co_u32_e32 v2, vcc, v3, v1
	v_addc_co_u32_e32 v3, vcc, 0, v6, vcc
	global_load_ubyte v6, v[2:3], off offset:2
	global_load_dword v7, v5, s[0:1] offset:6
	v_mov_b32_e32 v2, 0
	global_load_ushort v5, v2, s[0:1]
	s_getpc_b64 s[0:1]
	s_add_u32 s0, s0, _ZL11iq2xxs_grid@rel32@lo+4
	s_addc_u32 s1, s1, _ZL11iq2xxs_grid@rel32@hi+12
	v_mul_u32_u24_e32 v1, 7, v1
	s_getpc_b64 s[2:3]
	s_add_u32 s2, s2, _ZL12ksigns_iq2xs@rel32@lo+4
	s_addc_u32 s3, s3, _ZL12ksigns_iq2xs@rel32@hi+12
	v_and_b32_e32 v0, 0x3f8, v0
	v_lshlrev_b32_e32 v0, 2, v0
	s_waitcnt vmcnt(2)
	v_lshlrev_b32_e32 v6, 3, v6
	s_waitcnt vmcnt(1)
	v_bfe_u32 v10, v7, v1, 7
	global_load_dwordx2 v[2:3], v6, s[0:1]
	global_load_sbyte v11, v10, s[2:3]
	v_lshlrev_b32_e32 v1, 7, v4
	v_mov_b32_e32 v4, s5
	v_add_co_u32_e32 v1, vcc, s4, v1
	v_addc_co_u32_e32 v4, vcc, 0, v4, vcc
	v_add_co_u32_e32 v8, vcc, v1, v0
	s_waitcnt vmcnt(2)
	v_cvt_f32_f16_e32 v0, v5
	v_lshrrev_b32_e32 v1, 28, v7
	v_cvt_f32_ubyte0_e32 v1, v1
	v_add_f32_e32 v1, 0.5, v1
	v_mul_f32_e32 v0, v1, v0
	v_addc_co_u32_e32 v9, vcc, 0, v4, vcc
	v_mul_f32_e32 v0, 0x3e800000, v0
	s_waitcnt vmcnt(1)
	v_cvt_f32_ubyte0_e32 v1, v2
	s_waitcnt vmcnt(0)
	v_and_b32_e32 v4, 1, v11
	v_cvt_f32_ubyte1_e32 v5, v2
	v_and_b32_e32 v6, 2, v11
	v_cvt_f32_ubyte2_e32 v7, v2
	v_cvt_f32_ubyte3_e32 v2, v2
	v_cvt_f32_ubyte0_e32 v14, v3
	v_cvt_f32_ubyte1_e32 v16, v3
	v_cvt_f32_ubyte2_e32 v18, v3
	v_cvt_f32_ubyte3_e32 v3, v3
	v_mul_f32_e32 v1, v0, v1
	v_cmp_eq_u16_e32 vcc, 0, v4
	v_and_b32_e32 v12, 4, v11
	v_mul_f32_e32 v5, v0, v5
	v_mul_f32_e32 v7, v0, v7
	;; [unrolled: 1-line block ×7, first 2 shown]
	v_cndmask_b32_e64 v0, -v1, v1, vcc
	v_cmp_eq_u16_e32 vcc, 0, v6
	v_and_b32_e32 v13, 8, v11
	v_cndmask_b32_e64 v1, -v5, v5, vcc
	v_cmp_eq_u16_e32 vcc, 0, v12
	v_and_b32_e32 v15, 16, v11
	;; [unrolled: 3-line block ×3, first 2 shown]
	v_cndmask_b32_e64 v3, -v19, v19, vcc
	v_cmp_eq_u16_e32 vcc, 0, v15
	v_cndmask_b32_e64 v4, -v14, v14, vcc
	v_cmp_eq_u16_e32 vcc, 0, v17
	v_cndmask_b32_e64 v5, -v16, v16, vcc
	v_cmp_gt_u32_e32 vcc, 64, v10
	v_cndmask_b32_e64 v6, -v18, v18, vcc
	v_cmp_gt_i16_e32 vcc, 0, v11
	v_cndmask_b32_e64 v7, v20, -v20, vcc
	global_store_dwordx4 v[8:9], v[0:3], off
	global_store_dwordx4 v[8:9], v[4:7], off offset:16
	s_endpgm
	.section	.rodata,"a",@progbits
	.p2align	6, 0x0
	.amdhsa_kernel _ZL24dequantize_block_iq2_xxsIfEvPKvPT_
		.amdhsa_group_segment_fixed_size 0
		.amdhsa_private_segment_fixed_size 0
		.amdhsa_kernarg_size 16
		.amdhsa_user_sgpr_count 6
		.amdhsa_user_sgpr_private_segment_buffer 1
		.amdhsa_user_sgpr_dispatch_ptr 0
		.amdhsa_user_sgpr_queue_ptr 0
		.amdhsa_user_sgpr_kernarg_segment_ptr 1
		.amdhsa_user_sgpr_dispatch_id 0
		.amdhsa_user_sgpr_flat_scratch_init 0
		.amdhsa_user_sgpr_kernarg_preload_length 0
		.amdhsa_user_sgpr_kernarg_preload_offset 0
		.amdhsa_user_sgpr_private_segment_size 0
		.amdhsa_uses_dynamic_stack 0
		.amdhsa_system_sgpr_private_segment_wavefront_offset 0
		.amdhsa_system_sgpr_workgroup_id_x 1
		.amdhsa_system_sgpr_workgroup_id_y 0
		.amdhsa_system_sgpr_workgroup_id_z 0
		.amdhsa_system_sgpr_workgroup_info 0
		.amdhsa_system_vgpr_workitem_id 0
		.amdhsa_next_free_vgpr 21
		.amdhsa_next_free_sgpr 7
		.amdhsa_accum_offset 24
		.amdhsa_reserve_vcc 1
		.amdhsa_reserve_flat_scratch 0
		.amdhsa_float_round_mode_32 0
		.amdhsa_float_round_mode_16_64 0
		.amdhsa_float_denorm_mode_32 3
		.amdhsa_float_denorm_mode_16_64 3
		.amdhsa_dx10_clamp 1
		.amdhsa_ieee_mode 1
		.amdhsa_fp16_overflow 0
		.amdhsa_tg_split 0
		.amdhsa_exception_fp_ieee_invalid_op 0
		.amdhsa_exception_fp_denorm_src 0
		.amdhsa_exception_fp_ieee_div_zero 0
		.amdhsa_exception_fp_ieee_overflow 0
		.amdhsa_exception_fp_ieee_underflow 0
		.amdhsa_exception_fp_ieee_inexact 0
		.amdhsa_exception_int_div_zero 0
	.end_amdhsa_kernel
	.section	.text._ZL24dequantize_block_iq2_xxsIfEvPKvPT_,"axG",@progbits,_ZL24dequantize_block_iq2_xxsIfEvPKvPT_,comdat
.Lfunc_end10:
	.size	_ZL24dequantize_block_iq2_xxsIfEvPKvPT_, .Lfunc_end10-_ZL24dequantize_block_iq2_xxsIfEvPKvPT_
                                        ; -- End function
	.section	.AMDGPU.csdata,"",@progbits
; Kernel info:
; codeLenInByte = 472
; NumSgprs: 11
; NumVgprs: 21
; NumAgprs: 0
; TotalNumVgprs: 21
; ScratchSize: 0
; MemoryBound: 0
; FloatMode: 240
; IeeeMode: 1
; LDSByteSize: 0 bytes/workgroup (compile time only)
; SGPRBlocks: 1
; VGPRBlocks: 2
; NumSGPRsForWavesPerEU: 11
; NumVGPRsForWavesPerEU: 21
; AccumOffset: 24
; Occupancy: 8
; WaveLimiterHint : 0
; COMPUTE_PGM_RSRC2:SCRATCH_EN: 0
; COMPUTE_PGM_RSRC2:USER_SGPR: 6
; COMPUTE_PGM_RSRC2:TRAP_HANDLER: 0
; COMPUTE_PGM_RSRC2:TGID_X_EN: 1
; COMPUTE_PGM_RSRC2:TGID_Y_EN: 0
; COMPUTE_PGM_RSRC2:TGID_Z_EN: 0
; COMPUTE_PGM_RSRC2:TIDIG_COMP_CNT: 0
; COMPUTE_PGM_RSRC3_GFX90A:ACCUM_OFFSET: 5
; COMPUTE_PGM_RSRC3_GFX90A:TG_SPLIT: 0
	.section	.text._ZL23dequantize_block_iq2_xsIfEvPKvPT_,"axG",@progbits,_ZL23dequantize_block_iq2_xsIfEvPKvPT_,comdat
	.globl	_ZL23dequantize_block_iq2_xsIfEvPKvPT_ ; -- Begin function _ZL23dequantize_block_iq2_xsIfEvPKvPT_
	.p2align	8
	.type	_ZL23dequantize_block_iq2_xsIfEvPKvPT_,@function
_ZL23dequantize_block_iq2_xsIfEvPKvPT_: ; @_ZL23dequantize_block_iq2_xsIfEvPKvPT_
; %bb.0:
	s_load_dwordx4 s[0:3], s[4:5], 0x0
	s_lshl_b32 s4, s6, 8
	s_mov_b32 s5, 0
	s_lshl_b64 s[4:5], s[4:5], 2
	v_and_b32_e32 v1, 7, v0
	s_waitcnt lgkmcnt(0)
	s_add_u32 s7, s2, s4
	s_addc_u32 s8, s3, s5
	s_mul_hi_u32 s2, s6, 0x4a
	s_mulk_i32 s6, 0x4a
	s_add_u32 s0, s0, s6
	s_addc_u32 s1, s1, s2
	v_lshlrev_b32_e32 v2, 3, v1
	v_mov_b32_e32 v3, s1
	v_add_co_u32_e32 v2, vcc, s0, v2
	v_lshrrev_b32_e32 v6, 2, v0
	v_addc_co_u32_e32 v3, vcc, 0, v3, vcc
	v_and_b32_e32 v4, 0xfe, v6
	v_add_co_u32_e32 v2, vcc, v2, v4
	v_addc_co_u32_e32 v3, vcc, 0, v3, vcc
	global_load_ushort v7, v[2:3], off offset:2
	v_mov_b32_e32 v2, 0
	global_load_ushort v10, v2, s[0:1]
	global_load_ubyte v11, v1, s[0:1] offset:66
	s_getpc_b64 s[2:3]
	s_add_u32 s2, s2, _ZL10iq2xs_grid@rel32@lo+4
	s_addc_u32 s3, s3, _ZL10iq2xs_grid@rel32@hi+12
	v_mov_b32_e32 v3, 3
	s_getpc_b64 s[4:5]
	s_add_u32 s4, s4, _ZL12ksigns_iq2xs@rel32@lo+4
	s_addc_u32 s5, s5, _ZL12ksigns_iq2xs@rel32@hi+12
	v_mov_b32_e32 v4, s5
	v_lshlrev_b32_e32 v1, 7, v1
	v_and_b32_e32 v0, 0x3f8, v0
	v_lshlrev_b32_e32 v0, 2, v0
	s_waitcnt vmcnt(2)
	v_and_b32_e32 v2, 0x1ff, v7
	v_lshrrev_b16_e32 v5, 9, v7
	v_lshlrev_b32_sdwa v8, v3, v2 dst_sel:DWORD dst_unused:UNUSED_PAD src0_sel:DWORD src1_sel:WORD_0
	v_add_co_u32_e32 v2, vcc, s4, v5
	v_addc_co_u32_e32 v3, vcc, 0, v4, vcc
	global_load_dwordx2 v[4:5], v8, s[2:3]
	global_load_sbyte v12, v[2:3], off
	v_mov_b32_e32 v3, s8
	v_add_co_u32_e32 v1, vcc, s7, v1
	v_addc_co_u32_e32 v3, vcc, 0, v3, vcc
	v_and_b32_e32 v2, 0xfc, v6
	v_add_co_u32_e32 v8, vcc, v1, v0
	s_waitcnt vmcnt(3)
	v_cvt_f32_f16_e32 v0, v10
	s_waitcnt vmcnt(2)
	v_bfe_u32 v1, v11, v2, 4
	v_cvt_f32_ubyte0_e32 v1, v1
	v_add_f32_e32 v1, 0.5, v1
	v_mul_f32_e32 v0, v1, v0
	v_addc_co_u32_e32 v9, vcc, 0, v3, vcc
	v_mul_f32_e32 v0, 0x3e800000, v0
	s_waitcnt vmcnt(1)
	v_cvt_f32_ubyte0_e32 v1, v4
	s_waitcnt vmcnt(0)
	v_and_b32_e32 v2, 1, v12
	v_cvt_f32_ubyte1_e32 v3, v4
	v_and_b32_e32 v6, 2, v12
	v_cvt_f32_ubyte2_e32 v10, v4
	v_cvt_f32_ubyte3_e32 v4, v4
	v_cvt_f32_ubyte0_e32 v14, v5
	v_cvt_f32_ubyte1_e32 v16, v5
	v_cvt_f32_ubyte2_e32 v18, v5
	v_cvt_f32_ubyte3_e32 v5, v5
	v_mul_f32_e32 v1, v0, v1
	v_cmp_eq_u16_e32 vcc, 0, v2
	v_and_b32_e32 v11, 4, v12
	v_mul_f32_e32 v3, v0, v3
	v_mul_f32_e32 v10, v0, v10
	;; [unrolled: 1-line block ×7, first 2 shown]
	v_cndmask_b32_e64 v0, -v1, v1, vcc
	v_cmp_eq_u16_e32 vcc, 0, v6
	v_and_b32_e32 v13, 8, v12
	v_cndmask_b32_e64 v1, -v3, v3, vcc
	v_cmp_eq_u16_e32 vcc, 0, v11
	v_and_b32_e32 v15, 16, v12
	;; [unrolled: 3-line block ×3, first 2 shown]
	v_cndmask_b32_e64 v3, -v4, v4, vcc
	v_cmp_eq_u16_e32 vcc, 0, v15
	v_cndmask_b32_e64 v4, -v14, v14, vcc
	v_cmp_eq_u16_e32 vcc, 0, v17
	v_cndmask_b32_e64 v5, -v16, v16, vcc
	v_cmp_gt_i16_e32 vcc, 0, v7
	v_cndmask_b32_e64 v6, v18, -v18, vcc
	v_cmp_gt_i16_e32 vcc, 0, v12
	v_cndmask_b32_e64 v7, v19, -v19, vcc
	global_store_dwordx4 v[8:9], v[0:3], off
	global_store_dwordx4 v[8:9], v[4:7], off offset:16
	s_endpgm
	.section	.rodata,"a",@progbits
	.p2align	6, 0x0
	.amdhsa_kernel _ZL23dequantize_block_iq2_xsIfEvPKvPT_
		.amdhsa_group_segment_fixed_size 0
		.amdhsa_private_segment_fixed_size 0
		.amdhsa_kernarg_size 16
		.amdhsa_user_sgpr_count 6
		.amdhsa_user_sgpr_private_segment_buffer 1
		.amdhsa_user_sgpr_dispatch_ptr 0
		.amdhsa_user_sgpr_queue_ptr 0
		.amdhsa_user_sgpr_kernarg_segment_ptr 1
		.amdhsa_user_sgpr_dispatch_id 0
		.amdhsa_user_sgpr_flat_scratch_init 0
		.amdhsa_user_sgpr_kernarg_preload_length 0
		.amdhsa_user_sgpr_kernarg_preload_offset 0
		.amdhsa_user_sgpr_private_segment_size 0
		.amdhsa_uses_dynamic_stack 0
		.amdhsa_system_sgpr_private_segment_wavefront_offset 0
		.amdhsa_system_sgpr_workgroup_id_x 1
		.amdhsa_system_sgpr_workgroup_id_y 0
		.amdhsa_system_sgpr_workgroup_id_z 0
		.amdhsa_system_sgpr_workgroup_info 0
		.amdhsa_system_vgpr_workitem_id 0
		.amdhsa_next_free_vgpr 20
		.amdhsa_next_free_sgpr 9
		.amdhsa_accum_offset 20
		.amdhsa_reserve_vcc 1
		.amdhsa_reserve_flat_scratch 0
		.amdhsa_float_round_mode_32 0
		.amdhsa_float_round_mode_16_64 0
		.amdhsa_float_denorm_mode_32 3
		.amdhsa_float_denorm_mode_16_64 3
		.amdhsa_dx10_clamp 1
		.amdhsa_ieee_mode 1
		.amdhsa_fp16_overflow 0
		.amdhsa_tg_split 0
		.amdhsa_exception_fp_ieee_invalid_op 0
		.amdhsa_exception_fp_denorm_src 0
		.amdhsa_exception_fp_ieee_div_zero 0
		.amdhsa_exception_fp_ieee_overflow 0
		.amdhsa_exception_fp_ieee_underflow 0
		.amdhsa_exception_fp_ieee_inexact 0
		.amdhsa_exception_int_div_zero 0
	.end_amdhsa_kernel
	.section	.text._ZL23dequantize_block_iq2_xsIfEvPKvPT_,"axG",@progbits,_ZL23dequantize_block_iq2_xsIfEvPKvPT_,comdat
.Lfunc_end11:
	.size	_ZL23dequantize_block_iq2_xsIfEvPKvPT_, .Lfunc_end11-_ZL23dequantize_block_iq2_xsIfEvPKvPT_
                                        ; -- End function
	.section	.AMDGPU.csdata,"",@progbits
; Kernel info:
; codeLenInByte = 512
; NumSgprs: 13
; NumVgprs: 20
; NumAgprs: 0
; TotalNumVgprs: 20
; ScratchSize: 0
; MemoryBound: 0
; FloatMode: 240
; IeeeMode: 1
; LDSByteSize: 0 bytes/workgroup (compile time only)
; SGPRBlocks: 1
; VGPRBlocks: 2
; NumSGPRsForWavesPerEU: 13
; NumVGPRsForWavesPerEU: 20
; AccumOffset: 20
; Occupancy: 8
; WaveLimiterHint : 0
; COMPUTE_PGM_RSRC2:SCRATCH_EN: 0
; COMPUTE_PGM_RSRC2:USER_SGPR: 6
; COMPUTE_PGM_RSRC2:TRAP_HANDLER: 0
; COMPUTE_PGM_RSRC2:TGID_X_EN: 1
; COMPUTE_PGM_RSRC2:TGID_Y_EN: 0
; COMPUTE_PGM_RSRC2:TGID_Z_EN: 0
; COMPUTE_PGM_RSRC2:TIDIG_COMP_CNT: 0
; COMPUTE_PGM_RSRC3_GFX90A:ACCUM_OFFSET: 4
; COMPUTE_PGM_RSRC3_GFX90A:TG_SPLIT: 0
	.section	.text._ZL24dequantize_block_iq3_xxsIfEvPKvPT_,"axG",@progbits,_ZL24dequantize_block_iq3_xxsIfEvPKvPT_,comdat
	.globl	_ZL24dequantize_block_iq3_xxsIfEvPKvPT_ ; -- Begin function _ZL24dequantize_block_iq3_xxsIfEvPKvPT_
	.p2align	8
	.type	_ZL24dequantize_block_iq3_xxsIfEvPKvPT_,@function
_ZL24dequantize_block_iq3_xxsIfEvPKvPT_: ; @_ZL24dequantize_block_iq3_xxsIfEvPKvPT_
; %bb.0:
	s_load_dwordx4 s[0:3], s[4:5], 0x0
	s_lshl_b32 s4, s6, 8
	s_mov_b32 s5, 0
	s_lshl_b64 s[4:5], s[4:5], 2
	v_and_b32_e32 v4, 7, v0
	s_waitcnt lgkmcnt(0)
	s_add_u32 s4, s2, s4
	s_addc_u32 s5, s3, s5
	s_mul_hi_u32 s2, s6, 0x62
	s_mulk_i32 s6, 0x62
	s_add_u32 s0, s0, s6
	s_addc_u32 s1, s1, s2
	v_lshlrev_b32_e32 v2, 3, v4
	v_lshrrev_b32_e32 v1, 3, v0
	v_mov_b32_e32 v3, s1
	v_add_co_u32_e32 v2, vcc, s0, v2
	v_addc_co_u32_e32 v3, vcc, 0, v3, vcc
	v_lshlrev_b32_e32 v5, 1, v1
	v_add_co_u32_e32 v2, vcc, v2, v5
	v_addc_co_u32_e32 v3, vcc, 0, v3, vcc
	global_load_ushort v2, v[2:3], off offset:2
	v_lshlrev_b32_e32 v3, 2, v4
	global_load_dword v3, v3, s[0:1] offset:66
	v_mov_b32_e32 v5, 0
	global_load_ushort v5, v5, s[0:1]
	v_mov_b32_e32 v6, 2
	s_getpc_b64 s[0:1]
	s_add_u32 s0, s0, _ZL11iq3xxs_grid@rel32@lo+4
	s_addc_u32 s1, s1, _ZL11iq3xxs_grid@rel32@hi+12
	v_mul_u32_u24_e32 v1, 7, v1
	s_getpc_b64 s[2:3]
	s_add_u32 s2, s2, _ZL12ksigns_iq2xs@rel32@lo+4
	s_addc_u32 s3, s3, _ZL12ksigns_iq2xs@rel32@hi+12
	v_and_b32_e32 v0, 0x3f8, v0
	v_lshlrev_b32_e32 v0, 2, v0
	s_waitcnt vmcnt(2)
	v_lshlrev_b32_sdwa v7, v6, v2 dst_sel:DWORD dst_unused:UNUSED_PAD src0_sel:DWORD src1_sel:BYTE_0
	v_lshlrev_b32_sdwa v2, v6, v2 dst_sel:DWORD dst_unused:UNUSED_PAD src0_sel:DWORD src1_sel:BYTE_1
	s_waitcnt vmcnt(1)
	v_bfe_u32 v6, v3, v1, 7
	global_load_dword v1, v7, s[0:1]
	global_load_sbyte v10, v6, s[2:3]
	global_load_dword v11, v2, s[0:1]
	v_lshlrev_b32_e32 v2, 7, v4
	v_mov_b32_e32 v4, s5
	v_add_co_u32_e32 v2, vcc, s4, v2
	v_addc_co_u32_e32 v4, vcc, 0, v4, vcc
	v_add_co_u32_e32 v8, vcc, v2, v0
	s_waitcnt vmcnt(3)
	v_cvt_f32_f16_e32 v0, v5
	v_lshrrev_b32_e32 v2, 28, v3
	v_cvt_f32_ubyte0_e32 v2, v2
	v_add_f32_e32 v2, 0.5, v2
	v_mul_f32_e32 v0, v2, v0
	v_addc_co_u32_e32 v9, vcc, 0, v4, vcc
	v_mul_f32_e32 v0, 0.5, v0
	s_waitcnt vmcnt(2)
	v_cvt_f32_ubyte0_e32 v2, v1
	s_waitcnt vmcnt(1)
	v_and_b32_e32 v3, 1, v10
	s_waitcnt vmcnt(0)
	v_cvt_f32_ubyte0_e32 v4, v11
	v_and_b32_e32 v5, 16, v10
	v_cvt_f32_ubyte1_e32 v7, v1
	v_cvt_f32_ubyte1_e32 v13, v11
	v_cvt_f32_ubyte2_e32 v15, v1
	v_cvt_f32_ubyte2_e32 v17, v11
	v_cvt_f32_ubyte3_e32 v1, v1
	v_cvt_f32_ubyte3_e32 v11, v11
	v_mul_f32_e32 v2, v0, v2
	v_cmp_eq_u16_e32 vcc, 0, v3
	v_and_b32_e32 v12, 2, v10
	v_mul_f32_e32 v4, v0, v4
	v_mul_f32_e32 v7, v0, v7
	;; [unrolled: 1-line block ×7, first 2 shown]
	v_cndmask_b32_e64 v0, -v2, v2, vcc
	v_cmp_eq_u16_e32 vcc, 0, v5
	v_and_b32_e32 v14, 32, v10
	v_cndmask_b32_e64 v4, -v4, v4, vcc
	v_cmp_eq_u16_e32 vcc, 0, v12
	v_and_b32_e32 v16, 4, v10
	v_cndmask_b32_e64 v1, -v7, v7, vcc
	v_cmp_eq_u16_e32 vcc, 0, v14
	v_cndmask_b32_e64 v5, -v13, v13, vcc
	v_cmp_eq_u16_e32 vcc, 0, v16
	v_and_b32_e32 v18, 8, v10
	v_cndmask_b32_e64 v2, -v15, v15, vcc
	v_cmp_gt_u32_e32 vcc, 64, v6
	v_cndmask_b32_e64 v6, -v17, v17, vcc
	v_cmp_eq_u16_e32 vcc, 0, v18
	v_cndmask_b32_e64 v3, -v19, v19, vcc
	v_cmp_gt_i16_e32 vcc, 0, v10
	v_cndmask_b32_e64 v7, v11, -v11, vcc
	global_store_dwordx4 v[8:9], v[0:3], off
	global_store_dwordx4 v[8:9], v[4:7], off offset:16
	s_endpgm
	.section	.rodata,"a",@progbits
	.p2align	6, 0x0
	.amdhsa_kernel _ZL24dequantize_block_iq3_xxsIfEvPKvPT_
		.amdhsa_group_segment_fixed_size 0
		.amdhsa_private_segment_fixed_size 0
		.amdhsa_kernarg_size 16
		.amdhsa_user_sgpr_count 6
		.amdhsa_user_sgpr_private_segment_buffer 1
		.amdhsa_user_sgpr_dispatch_ptr 0
		.amdhsa_user_sgpr_queue_ptr 0
		.amdhsa_user_sgpr_kernarg_segment_ptr 1
		.amdhsa_user_sgpr_dispatch_id 0
		.amdhsa_user_sgpr_flat_scratch_init 0
		.amdhsa_user_sgpr_kernarg_preload_length 0
		.amdhsa_user_sgpr_kernarg_preload_offset 0
		.amdhsa_user_sgpr_private_segment_size 0
		.amdhsa_uses_dynamic_stack 0
		.amdhsa_system_sgpr_private_segment_wavefront_offset 0
		.amdhsa_system_sgpr_workgroup_id_x 1
		.amdhsa_system_sgpr_workgroup_id_y 0
		.amdhsa_system_sgpr_workgroup_id_z 0
		.amdhsa_system_sgpr_workgroup_info 0
		.amdhsa_system_vgpr_workitem_id 0
		.amdhsa_next_free_vgpr 20
		.amdhsa_next_free_sgpr 7
		.amdhsa_accum_offset 20
		.amdhsa_reserve_vcc 1
		.amdhsa_reserve_flat_scratch 0
		.amdhsa_float_round_mode_32 0
		.amdhsa_float_round_mode_16_64 0
		.amdhsa_float_denorm_mode_32 3
		.amdhsa_float_denorm_mode_16_64 3
		.amdhsa_dx10_clamp 1
		.amdhsa_ieee_mode 1
		.amdhsa_fp16_overflow 0
		.amdhsa_tg_split 0
		.amdhsa_exception_fp_ieee_invalid_op 0
		.amdhsa_exception_fp_denorm_src 0
		.amdhsa_exception_fp_ieee_div_zero 0
		.amdhsa_exception_fp_ieee_overflow 0
		.amdhsa_exception_fp_ieee_underflow 0
		.amdhsa_exception_fp_ieee_inexact 0
		.amdhsa_exception_int_div_zero 0
	.end_amdhsa_kernel
	.section	.text._ZL24dequantize_block_iq3_xxsIfEvPKvPT_,"axG",@progbits,_ZL24dequantize_block_iq3_xxsIfEvPKvPT_,comdat
.Lfunc_end12:
	.size	_ZL24dequantize_block_iq3_xxsIfEvPKvPT_, .Lfunc_end12-_ZL24dequantize_block_iq3_xxsIfEvPKvPT_
                                        ; -- End function
	.section	.AMDGPU.csdata,"",@progbits
; Kernel info:
; codeLenInByte = 504
; NumSgprs: 11
; NumVgprs: 20
; NumAgprs: 0
; TotalNumVgprs: 20
; ScratchSize: 0
; MemoryBound: 0
; FloatMode: 240
; IeeeMode: 1
; LDSByteSize: 0 bytes/workgroup (compile time only)
; SGPRBlocks: 1
; VGPRBlocks: 2
; NumSGPRsForWavesPerEU: 11
; NumVGPRsForWavesPerEU: 20
; AccumOffset: 20
; Occupancy: 8
; WaveLimiterHint : 0
; COMPUTE_PGM_RSRC2:SCRATCH_EN: 0
; COMPUTE_PGM_RSRC2:USER_SGPR: 6
; COMPUTE_PGM_RSRC2:TRAP_HANDLER: 0
; COMPUTE_PGM_RSRC2:TGID_X_EN: 1
; COMPUTE_PGM_RSRC2:TGID_Y_EN: 0
; COMPUTE_PGM_RSRC2:TGID_Z_EN: 0
; COMPUTE_PGM_RSRC2:TIDIG_COMP_CNT: 0
; COMPUTE_PGM_RSRC3_GFX90A:ACCUM_OFFSET: 4
; COMPUTE_PGM_RSRC3_GFX90A:TG_SPLIT: 0
	.section	.text._ZL22dequantize_block_iq1_sIfEvPKvPT_,"axG",@progbits,_ZL22dequantize_block_iq1_sIfEvPKvPT_,comdat
	.globl	_ZL22dequantize_block_iq1_sIfEvPKvPT_ ; -- Begin function _ZL22dequantize_block_iq1_sIfEvPKvPT_
	.p2align	8
	.type	_ZL22dequantize_block_iq1_sIfEvPKvPT_,@function
_ZL22dequantize_block_iq1_sIfEvPKvPT_:  ; @_ZL22dequantize_block_iq1_sIfEvPKvPT_
; %bb.0:
	s_load_dwordx4 s[0:3], s[4:5], 0x0
	s_mov_b32 s7, 0
	s_lshl_b64 s[4:5], s[6:7], 10
	v_and_b32_e32 v4, 7, v0
	v_lshlrev_b32_e32 v2, 1, v4
	s_waitcnt lgkmcnt(0)
	s_add_u32 s4, s2, s4
	s_addc_u32 s5, s3, s5
	s_mul_i32 s3, s6, 50
	s_mul_hi_u32 s2, s6, 50
	s_add_u32 s0, s0, s3
	s_addc_u32 s1, s1, s2
	v_lshrrev_b32_e32 v1, 3, v0
	global_load_ushort v5, v2, s[0:1] offset:34
	v_lshlrev_b32_e32 v2, 2, v4
	v_add_co_u32_e32 v2, vcc, v2, v1
	v_addc_co_u32_e64 v3, s[2:3], 0, 0, vcc
	v_mov_b32_e32 v6, s1
	v_add_co_u32_e32 v2, vcc, s0, v2
	v_addc_co_u32_e32 v3, vcc, v6, v3, vcc
	global_load_ubyte v2, v[2:3], off offset:2
	v_mov_b32_e32 v3, 0
	v_mul_u32_u24_e32 v1, 3, v1
	global_load_ushort v3, v3, s[0:1]
	s_movk_i32 s6, 0x700
	s_getpc_b64 s[2:3]
	s_add_u32 s2, s2, _ZL13iq1s_grid_gpu@rel32@lo+4
	s_addc_u32 s3, s3, _ZL13iq1s_grid_gpu@rel32@hi+12
	v_lshlrev_b32_e32 v4, 7, v4
	v_and_b32_e32 v0, 0x3f8, v0
	v_mov_b32_e32 v7, s5
	v_add_co_u32_e32 v4, vcc, s4, v4
	v_lshlrev_b32_e32 v0, 2, v0
	v_addc_co_u32_e32 v7, vcc, 0, v7, vcc
	v_add_co_u32_e32 v8, vcc, v4, v0
	v_addc_co_u32_e32 v9, vcc, 0, v7, vcc
	v_mov_b32_e32 v6, 0xbf600000
	s_waitcnt vmcnt(2)
	v_lshrrev_b32_sdwa v1, v1, v5 dst_sel:DWORD dst_unused:UNUSED_PAD src0_sel:DWORD src1_sel:WORD_0
	v_lshlrev_b32_e32 v1, 8, v1
	v_cmp_lt_i16_e32 vcc, -1, v5
	s_waitcnt vmcnt(1)
	v_and_or_b32 v1, v1, s6, v2
	v_lshlrev_b32_e32 v1, 3, v1
	global_load_dword v1, v1, s[2:3]
	v_mov_b32_e32 v2, 0xbf900000
	v_cndmask_b32_e32 v0, v2, v6, vcc
	v_lshrrev_b16_e32 v2, 11, v5
	s_waitcnt vmcnt(1)
	v_cvt_f32_f16_e32 v3, v3
	v_and_b32_e32 v2, 14, v2
	v_or_b32_e32 v2, 1, v2
	v_cvt_f32_ubyte0_e32 v2, v2
	v_mul_f32_e32 v6, v3, v2
	s_waitcnt vmcnt(0)
	v_and_b32_e32 v4, 0xf0f0f0f, v1
	v_bfe_u32 v2, v1, 8, 4
	v_and_b32_e32 v5, 15, v1
	v_bfe_u32 v7, v1, 16, 4
	v_bfe_u32 v10, v1, 12, 4
	;; [unrolled: 1-line block ×3, first 2 shown]
	v_lshrrev_b32_e32 v13, 28, v1
	v_bfe_u32 v1, v1, 20, 4
	v_cvt_f32_ubyte0_e32 v3, v2
	v_cvt_f32_ubyte0_e32 v2, v5
	v_cvt_f32_ubyte3_e32 v5, v4
	v_cvt_f32_ubyte0_e32 v4, v7
	v_cvt_f32_ubyte0_e32 v11, v10
	;; [unrolled: 1-line block ×5, first 2 shown]
	v_pk_add_f32 v[2:3], v[0:1], v[2:3] op_sel_hi:[0,1]
	v_pk_add_f32 v[4:5], v[0:1], v[4:5] op_sel_hi:[0,1]
	;; [unrolled: 1-line block ×4, first 2 shown]
	v_pk_mul_f32 v[0:1], v[6:7], v[2:3] op_sel_hi:[0,1]
	v_pk_mul_f32 v[2:3], v[6:7], v[4:5] op_sel_hi:[0,1]
	;; [unrolled: 1-line block ×4, first 2 shown]
	global_store_dwordx4 v[8:9], v[0:3], off
	global_store_dwordx4 v[8:9], v[4:7], off offset:16
	s_endpgm
	.section	.rodata,"a",@progbits
	.p2align	6, 0x0
	.amdhsa_kernel _ZL22dequantize_block_iq1_sIfEvPKvPT_
		.amdhsa_group_segment_fixed_size 0
		.amdhsa_private_segment_fixed_size 0
		.amdhsa_kernarg_size 16
		.amdhsa_user_sgpr_count 6
		.amdhsa_user_sgpr_private_segment_buffer 1
		.amdhsa_user_sgpr_dispatch_ptr 0
		.amdhsa_user_sgpr_queue_ptr 0
		.amdhsa_user_sgpr_kernarg_segment_ptr 1
		.amdhsa_user_sgpr_dispatch_id 0
		.amdhsa_user_sgpr_flat_scratch_init 0
		.amdhsa_user_sgpr_kernarg_preload_length 0
		.amdhsa_user_sgpr_kernarg_preload_offset 0
		.amdhsa_user_sgpr_private_segment_size 0
		.amdhsa_uses_dynamic_stack 0
		.amdhsa_system_sgpr_private_segment_wavefront_offset 0
		.amdhsa_system_sgpr_workgroup_id_x 1
		.amdhsa_system_sgpr_workgroup_id_y 0
		.amdhsa_system_sgpr_workgroup_id_z 0
		.amdhsa_system_sgpr_workgroup_info 0
		.amdhsa_system_vgpr_workitem_id 0
		.amdhsa_next_free_vgpr 14
		.amdhsa_next_free_sgpr 8
		.amdhsa_accum_offset 16
		.amdhsa_reserve_vcc 1
		.amdhsa_reserve_flat_scratch 0
		.amdhsa_float_round_mode_32 0
		.amdhsa_float_round_mode_16_64 0
		.amdhsa_float_denorm_mode_32 3
		.amdhsa_float_denorm_mode_16_64 3
		.amdhsa_dx10_clamp 1
		.amdhsa_ieee_mode 1
		.amdhsa_fp16_overflow 0
		.amdhsa_tg_split 0
		.amdhsa_exception_fp_ieee_invalid_op 0
		.amdhsa_exception_fp_denorm_src 0
		.amdhsa_exception_fp_ieee_div_zero 0
		.amdhsa_exception_fp_ieee_overflow 0
		.amdhsa_exception_fp_ieee_underflow 0
		.amdhsa_exception_fp_ieee_inexact 0
		.amdhsa_exception_int_div_zero 0
	.end_amdhsa_kernel
	.section	.text._ZL22dequantize_block_iq1_sIfEvPKvPT_,"axG",@progbits,_ZL22dequantize_block_iq1_sIfEvPKvPT_,comdat
.Lfunc_end13:
	.size	_ZL22dequantize_block_iq1_sIfEvPKvPT_, .Lfunc_end13-_ZL22dequantize_block_iq1_sIfEvPKvPT_
                                        ; -- End function
	.section	.AMDGPU.csdata,"",@progbits
; Kernel info:
; codeLenInByte = 444
; NumSgprs: 12
; NumVgprs: 14
; NumAgprs: 0
; TotalNumVgprs: 14
; ScratchSize: 0
; MemoryBound: 0
; FloatMode: 240
; IeeeMode: 1
; LDSByteSize: 0 bytes/workgroup (compile time only)
; SGPRBlocks: 1
; VGPRBlocks: 1
; NumSGPRsForWavesPerEU: 12
; NumVGPRsForWavesPerEU: 14
; AccumOffset: 16
; Occupancy: 8
; WaveLimiterHint : 0
; COMPUTE_PGM_RSRC2:SCRATCH_EN: 0
; COMPUTE_PGM_RSRC2:USER_SGPR: 6
; COMPUTE_PGM_RSRC2:TRAP_HANDLER: 0
; COMPUTE_PGM_RSRC2:TGID_X_EN: 1
; COMPUTE_PGM_RSRC2:TGID_Y_EN: 0
; COMPUTE_PGM_RSRC2:TGID_Z_EN: 0
; COMPUTE_PGM_RSRC2:TIDIG_COMP_CNT: 0
; COMPUTE_PGM_RSRC3_GFX90A:ACCUM_OFFSET: 3
; COMPUTE_PGM_RSRC3_GFX90A:TG_SPLIT: 0
	.section	.text._ZL23dequantize_block_iq4_nlIfEvPKvPT_,"axG",@progbits,_ZL23dequantize_block_iq4_nlIfEvPKvPT_,comdat
	.globl	_ZL23dequantize_block_iq4_nlIfEvPKvPT_ ; -- Begin function _ZL23dequantize_block_iq4_nlIfEvPKvPT_
	.p2align	8
	.type	_ZL23dequantize_block_iq4_nlIfEvPKvPT_,@function
_ZL23dequantize_block_iq4_nlIfEvPKvPT_: ; @_ZL23dequantize_block_iq4_nlIfEvPKvPT_
; %bb.0:
	s_load_dwordx4 s[0:3], s[4:5], 0x0
	s_lshl_b32 s4, s6, 3
	s_mul_i32 s5, s6, 0x90
	s_mul_hi_u32 s4, s4, 18
	v_and_b32_e32 v4, 7, v0
	s_waitcnt lgkmcnt(0)
	s_add_u32 s0, s0, s5
	s_addc_u32 s1, s1, s4
	v_lshrrev_b32_e32 v0, 1, v0
	v_and_b32_e32 v5, 0x1fc, v0
	v_mad_u64_u32 v[0:1], s[0:1], v4, 18, s[0:1]
	v_add_co_u32_e32 v2, vcc, v0, v5
	v_addc_co_u32_e32 v3, vcc, 0, v1, vcc
	global_load_dword v6, v[2:3], off offset:2
	global_load_ushort v7, v[0:1], off
	s_mov_b32 s1, 0
	s_lshl_b32 s0, s6, 8
	s_lshl_b64 s[0:1], s[0:1], 2
	s_add_u32 s2, s2, s0
	v_mov_b32_e32 v0, 4
	s_addc_u32 s3, s3, s1
	s_getpc_b64 s[0:1]
	s_add_u32 s0, s0, _ZL13kvalues_iq4nl@rel32@lo+4
	s_addc_u32 s1, s1, _ZL13kvalues_iq4nl@rel32@hi+12
	v_mov_b32_e32 v8, s1
	s_waitcnt vmcnt(1)
	v_lshrrev_b16_e32 v2, 4, v6
	v_lshrrev_b16_sdwa v0, v0, v6 dst_sel:DWORD dst_unused:UNUSED_PAD src0_sel:DWORD src1_sel:BYTE_3
	v_lshrrev_b32_e32 v1, 8, v6
	v_and_b32_e32 v2, 15, v2
	v_add_co_u32_e32 v0, vcc, s0, v0
	v_lshrrev_b16_e32 v3, 4, v1
	v_addc_co_u32_e32 v1, vcc, 0, v8, vcc
	v_and_b32_e32 v2, 0xffff, v2
	v_and_b32_e32 v9, 15, v6
	v_bfe_u32 v10, v6, 8, 4
	v_bfe_u32 v11, v6, 16, 4
	;; [unrolled: 1-line block ×4, first 2 shown]
	v_and_b32_e32 v6, 15, v3
	v_add_co_u32_e32 v2, vcc, s0, v2
	v_addc_co_u32_e32 v3, vcc, 0, v8, vcc
	v_and_b32_e32 v6, 0xffff, v6
	global_load_sbyte v14, v9, s[0:1]
	global_load_sbyte v15, v[2:3], off
	global_load_sbyte v16, v10, s[0:1]
	global_load_sbyte v17, v11, s[0:1]
	;; [unrolled: 1-line block ×4, first 2 shown]
	v_add_co_u32_e32 v2, vcc, s0, v6
	v_addc_co_u32_e32 v3, vcc, 0, v8, vcc
	global_load_sbyte v11, v[0:1], off
	global_load_sbyte v12, v[2:3], off
	v_lshlrev_b32_e32 v0, 7, v4
	v_mov_b32_e32 v2, s3
	v_add_co_u32_e32 v0, vcc, s2, v0
	v_lshlrev_b32_e32 v1, 2, v5
	v_addc_co_u32_e32 v2, vcc, 0, v2, vcc
	v_add_co_u32_e32 v8, vcc, v0, v1
	v_addc_co_u32_e32 v9, vcc, 0, v2, vcc
	s_waitcnt vmcnt(8)
	v_cvt_f32_f16_e32 v4, v7
	s_waitcnt vmcnt(7)
	v_cvt_f32_i32_e32 v0, v14
	s_waitcnt vmcnt(6)
	v_cvt_f32_i32_e32 v10, v15
	;; [unrolled: 2-line block ×6, first 2 shown]
	v_pk_mul_f32 v[0:1], v[4:5], v[0:1] op_sel_hi:[0,1]
	s_waitcnt vmcnt(1)
	v_cvt_f32_i32_e32 v7, v11
	s_waitcnt vmcnt(0)
	v_cvt_f32_i32_e32 v11, v12
	v_pk_mul_f32 v[2:3], v[4:5], v[2:3] op_sel_hi:[0,1]
	v_pk_mul_f32 v[6:7], v[4:5], v[6:7] op_sel_hi:[0,1]
	;; [unrolled: 1-line block ×3, first 2 shown]
	global_store_dwordx4 v[8:9], v[0:3], off
	global_store_dwordx4 v[8:9], v[4:7], off offset:64
	s_endpgm
	.section	.rodata,"a",@progbits
	.p2align	6, 0x0
	.amdhsa_kernel _ZL23dequantize_block_iq4_nlIfEvPKvPT_
		.amdhsa_group_segment_fixed_size 0
		.amdhsa_private_segment_fixed_size 0
		.amdhsa_kernarg_size 16
		.amdhsa_user_sgpr_count 6
		.amdhsa_user_sgpr_private_segment_buffer 1
		.amdhsa_user_sgpr_dispatch_ptr 0
		.amdhsa_user_sgpr_queue_ptr 0
		.amdhsa_user_sgpr_kernarg_segment_ptr 1
		.amdhsa_user_sgpr_dispatch_id 0
		.amdhsa_user_sgpr_flat_scratch_init 0
		.amdhsa_user_sgpr_kernarg_preload_length 0
		.amdhsa_user_sgpr_kernarg_preload_offset 0
		.amdhsa_user_sgpr_private_segment_size 0
		.amdhsa_uses_dynamic_stack 0
		.amdhsa_system_sgpr_private_segment_wavefront_offset 0
		.amdhsa_system_sgpr_workgroup_id_x 1
		.amdhsa_system_sgpr_workgroup_id_y 0
		.amdhsa_system_sgpr_workgroup_id_z 0
		.amdhsa_system_sgpr_workgroup_info 0
		.amdhsa_system_vgpr_workitem_id 0
		.amdhsa_next_free_vgpr 20
		.amdhsa_next_free_sgpr 7
		.amdhsa_accum_offset 20
		.amdhsa_reserve_vcc 1
		.amdhsa_reserve_flat_scratch 0
		.amdhsa_float_round_mode_32 0
		.amdhsa_float_round_mode_16_64 0
		.amdhsa_float_denorm_mode_32 3
		.amdhsa_float_denorm_mode_16_64 3
		.amdhsa_dx10_clamp 1
		.amdhsa_ieee_mode 1
		.amdhsa_fp16_overflow 0
		.amdhsa_tg_split 0
		.amdhsa_exception_fp_ieee_invalid_op 0
		.amdhsa_exception_fp_denorm_src 0
		.amdhsa_exception_fp_ieee_div_zero 0
		.amdhsa_exception_fp_ieee_overflow 0
		.amdhsa_exception_fp_ieee_underflow 0
		.amdhsa_exception_fp_ieee_inexact 0
		.amdhsa_exception_int_div_zero 0
	.end_amdhsa_kernel
	.section	.text._ZL23dequantize_block_iq4_nlIfEvPKvPT_,"axG",@progbits,_ZL23dequantize_block_iq4_nlIfEvPKvPT_,comdat
.Lfunc_end14:
	.size	_ZL23dequantize_block_iq4_nlIfEvPKvPT_, .Lfunc_end14-_ZL23dequantize_block_iq4_nlIfEvPKvPT_
                                        ; -- End function
	.section	.AMDGPU.csdata,"",@progbits
; Kernel info:
; codeLenInByte = 456
; NumSgprs: 11
; NumVgprs: 20
; NumAgprs: 0
; TotalNumVgprs: 20
; ScratchSize: 0
; MemoryBound: 0
; FloatMode: 240
; IeeeMode: 1
; LDSByteSize: 0 bytes/workgroup (compile time only)
; SGPRBlocks: 1
; VGPRBlocks: 2
; NumSGPRsForWavesPerEU: 11
; NumVGPRsForWavesPerEU: 20
; AccumOffset: 20
; Occupancy: 8
; WaveLimiterHint : 0
; COMPUTE_PGM_RSRC2:SCRATCH_EN: 0
; COMPUTE_PGM_RSRC2:USER_SGPR: 6
; COMPUTE_PGM_RSRC2:TRAP_HANDLER: 0
; COMPUTE_PGM_RSRC2:TGID_X_EN: 1
; COMPUTE_PGM_RSRC2:TGID_Y_EN: 0
; COMPUTE_PGM_RSRC2:TGID_Z_EN: 0
; COMPUTE_PGM_RSRC2:TIDIG_COMP_CNT: 0
; COMPUTE_PGM_RSRC3_GFX90A:ACCUM_OFFSET: 4
; COMPUTE_PGM_RSRC3_GFX90A:TG_SPLIT: 0
	.section	.text._ZL22dequantize_block_iq3_sIfEvPKvPT_,"axG",@progbits,_ZL22dequantize_block_iq3_sIfEvPKvPT_,comdat
	.globl	_ZL22dequantize_block_iq3_sIfEvPKvPT_ ; -- Begin function _ZL22dequantize_block_iq3_sIfEvPKvPT_
	.p2align	8
	.type	_ZL22dequantize_block_iq3_sIfEvPKvPT_,@function
_ZL22dequantize_block_iq3_sIfEvPKvPT_:  ; @_ZL22dequantize_block_iq3_sIfEvPKvPT_
; %bb.0:
	s_load_dwordx4 s[0:3], s[4:5], 0x0
	s_lshl_b32 s4, s6, 8
	s_mov_b32 s5, 0
	s_lshl_b64 s[4:5], s[4:5], 2
	v_and_b32_e32 v4, 7, v0
	s_waitcnt lgkmcnt(0)
	s_add_u32 s2, s2, s4
	s_addc_u32 s3, s3, s5
	s_mul_hi_u32 s4, s6, 0x6e
	s_mulk_i32 s6, 0x6e
	s_add_u32 s0, s0, s6
	s_addc_u32 s1, s1, s4
	v_lshlrev_b32_e32 v2, 3, v4
	v_lshrrev_b32_e32 v1, 3, v0
	v_mov_b32_e32 v3, s1
	v_add_co_u32_e32 v2, vcc, s0, v2
	v_addc_co_u32_e32 v3, vcc, 0, v3, vcc
	v_lshlrev_b32_e32 v5, 1, v1
	v_add_co_u32_e32 v2, vcc, v2, v5
	v_addc_co_u32_e32 v3, vcc, 0, v3, vcc
	global_load_ubyte v6, v4, s[0:1] offset:66
	v_bfe_u32 v7, v0, 1, 2
	global_load_ushort v2, v[2:3], off offset:2
	v_mov_b32_e32 v3, 0
	v_lshl_add_u32 v1, v4, 2, v1
	global_load_ubyte v10, v7, s[0:1] offset:106
	global_load_sbyte v11, v1, s[0:1] offset:74
	global_load_ushort v12, v3, s[0:1]
	v_sub_u32_e32 v1, 8, v5
	s_movk_i32 s4, 0x100
	v_sub_u32_e32 v3, 7, v5
	s_getpc_b64 s[0:1]
	s_add_u32 s0, s0, _ZL10iq3xs_grid@rel32@lo+4
	s_addc_u32 s1, s1, _ZL10iq3xs_grid@rel32@hi+12
	s_waitcnt vmcnt(4)
	v_lshlrev_b32_e32 v1, v1, v6
	v_lshlrev_b32_e32 v3, v3, v6
	s_waitcnt vmcnt(3)
	v_and_b32_e32 v5, 0xff, v2
	v_lshrrev_b16_e32 v2, 8, v2
	v_and_or_b32 v1, v1, s4, v5
	v_and_or_b32 v2, v3, s4, v2
	v_lshlrev_b32_e32 v1, 2, v1
	v_lshlrev_b32_e32 v2, 2, v2
	global_load_dword v3, v1, s[0:1]
	global_load_dword v5, v2, s[0:1]
	v_lshlrev_b32_e32 v2, 7, v4
	v_and_b32_e32 v1, 0x3f8, v0
	v_mov_b32_e32 v4, s3
	v_add_co_u32_e32 v2, vcc, s2, v2
	v_lshlrev_b32_e32 v0, 2, v0
	v_lshlrev_b32_e32 v1, 2, v1
	v_addc_co_u32_e32 v4, vcc, 0, v4, vcc
	v_and_b32_e32 v0, 4, v0
	v_add_co_u32_e32 v8, vcc, v2, v1
	s_waitcnt vmcnt(2)
	v_cvt_f32_f16_e32 v1, v12
	v_bfe_u32 v0, v10, v0, 4
	v_cvt_f32_ubyte0_e32 v0, v0
	v_add_f32_e32 v0, 0.5, v0
	v_mul_f32_e32 v0, v0, v1
	v_addc_co_u32_e32 v9, vcc, 0, v4, vcc
	v_and_b32_e32 v2, 1, v11
	v_mul_f32_e32 v0, 0.5, v0
	v_and_b32_e32 v4, 16, v11
	v_cmp_eq_u16_e32 vcc, 0, v2
	v_and_b32_e32 v6, 2, v11
	v_and_b32_e32 v7, 32, v11
	;; [unrolled: 1-line block ×5, first 2 shown]
	s_waitcnt vmcnt(1)
	v_cvt_f32_ubyte0_e32 v1, v3
	s_waitcnt vmcnt(0)
	v_cvt_f32_ubyte0_e32 v14, v5
	v_cvt_f32_ubyte1_e32 v15, v3
	v_cvt_f32_ubyte1_e32 v16, v5
	v_cvt_f32_ubyte2_e32 v17, v3
	v_cvt_f32_ubyte2_e32 v18, v5
	v_cvt_f32_ubyte3_e32 v3, v3
	v_cvt_f32_ubyte3_e32 v5, v5
	v_mul_f32_e32 v1, v0, v1
	v_mul_f32_e32 v14, v0, v14
	;; [unrolled: 1-line block ×8, first 2 shown]
	v_cndmask_b32_e64 v0, -v1, v1, vcc
	v_cmp_eq_u16_e32 vcc, 0, v4
	v_cndmask_b32_e64 v4, -v14, v14, vcc
	v_cmp_eq_u16_e32 vcc, 0, v6
	;; [unrolled: 2-line block ×6, first 2 shown]
	v_cndmask_b32_e64 v3, -v3, v3, vcc
	v_cmp_gt_i16_e32 vcc, 0, v11
	v_cndmask_b32_e64 v7, v19, -v19, vcc
	global_store_dwordx4 v[8:9], v[0:3], off
	global_store_dwordx4 v[8:9], v[4:7], off offset:16
	s_endpgm
	.section	.rodata,"a",@progbits
	.p2align	6, 0x0
	.amdhsa_kernel _ZL22dequantize_block_iq3_sIfEvPKvPT_
		.amdhsa_group_segment_fixed_size 0
		.amdhsa_private_segment_fixed_size 0
		.amdhsa_kernarg_size 16
		.amdhsa_user_sgpr_count 6
		.amdhsa_user_sgpr_private_segment_buffer 1
		.amdhsa_user_sgpr_dispatch_ptr 0
		.amdhsa_user_sgpr_queue_ptr 0
		.amdhsa_user_sgpr_kernarg_segment_ptr 1
		.amdhsa_user_sgpr_dispatch_id 0
		.amdhsa_user_sgpr_flat_scratch_init 0
		.amdhsa_user_sgpr_kernarg_preload_length 0
		.amdhsa_user_sgpr_kernarg_preload_offset 0
		.amdhsa_user_sgpr_private_segment_size 0
		.amdhsa_uses_dynamic_stack 0
		.amdhsa_system_sgpr_private_segment_wavefront_offset 0
		.amdhsa_system_sgpr_workgroup_id_x 1
		.amdhsa_system_sgpr_workgroup_id_y 0
		.amdhsa_system_sgpr_workgroup_id_z 0
		.amdhsa_system_sgpr_workgroup_info 0
		.amdhsa_system_vgpr_workitem_id 0
		.amdhsa_next_free_vgpr 20
		.amdhsa_next_free_sgpr 7
		.amdhsa_accum_offset 20
		.amdhsa_reserve_vcc 1
		.amdhsa_reserve_flat_scratch 0
		.amdhsa_float_round_mode_32 0
		.amdhsa_float_round_mode_16_64 0
		.amdhsa_float_denorm_mode_32 3
		.amdhsa_float_denorm_mode_16_64 3
		.amdhsa_dx10_clamp 1
		.amdhsa_ieee_mode 1
		.amdhsa_fp16_overflow 0
		.amdhsa_tg_split 0
		.amdhsa_exception_fp_ieee_invalid_op 0
		.amdhsa_exception_fp_denorm_src 0
		.amdhsa_exception_fp_ieee_div_zero 0
		.amdhsa_exception_fp_ieee_overflow 0
		.amdhsa_exception_fp_ieee_underflow 0
		.amdhsa_exception_fp_ieee_inexact 0
		.amdhsa_exception_int_div_zero 0
	.end_amdhsa_kernel
	.section	.text._ZL22dequantize_block_iq3_sIfEvPKvPT_,"axG",@progbits,_ZL22dequantize_block_iq3_sIfEvPKvPT_,comdat
.Lfunc_end15:
	.size	_ZL22dequantize_block_iq3_sIfEvPKvPT_, .Lfunc_end15-_ZL22dequantize_block_iq3_sIfEvPKvPT_
                                        ; -- End function
	.section	.AMDGPU.csdata,"",@progbits
; Kernel info:
; codeLenInByte = 540
; NumSgprs: 11
; NumVgprs: 20
; NumAgprs: 0
; TotalNumVgprs: 20
; ScratchSize: 0
; MemoryBound: 0
; FloatMode: 240
; IeeeMode: 1
; LDSByteSize: 0 bytes/workgroup (compile time only)
; SGPRBlocks: 1
; VGPRBlocks: 2
; NumSGPRsForWavesPerEU: 11
; NumVGPRsForWavesPerEU: 20
; AccumOffset: 20
; Occupancy: 8
; WaveLimiterHint : 0
; COMPUTE_PGM_RSRC2:SCRATCH_EN: 0
; COMPUTE_PGM_RSRC2:USER_SGPR: 6
; COMPUTE_PGM_RSRC2:TRAP_HANDLER: 0
; COMPUTE_PGM_RSRC2:TGID_X_EN: 1
; COMPUTE_PGM_RSRC2:TGID_Y_EN: 0
; COMPUTE_PGM_RSRC2:TGID_Z_EN: 0
; COMPUTE_PGM_RSRC2:TIDIG_COMP_CNT: 0
; COMPUTE_PGM_RSRC3_GFX90A:ACCUM_OFFSET: 4
; COMPUTE_PGM_RSRC3_GFX90A:TG_SPLIT: 0
	.section	.text._ZL22dequantize_block_iq2_sIfEvPKvPT_,"axG",@progbits,_ZL22dequantize_block_iq2_sIfEvPKvPT_,comdat
	.globl	_ZL22dequantize_block_iq2_sIfEvPKvPT_ ; -- Begin function _ZL22dequantize_block_iq2_sIfEvPKvPT_
	.p2align	8
	.type	_ZL22dequantize_block_iq2_sIfEvPKvPT_,@function
_ZL22dequantize_block_iq2_sIfEvPKvPT_:  ; @_ZL22dequantize_block_iq2_sIfEvPKvPT_
; %bb.0:
	s_load_dwordx4 s[0:3], s[4:5], 0x0
	s_lshl_b32 s4, s6, 8
	s_mov_b32 s5, 0
	s_lshl_b64 s[4:5], s[4:5], 2
	v_and_b32_e32 v4, 7, v0
	s_waitcnt lgkmcnt(0)
	s_add_u32 s4, s2, s4
	s_addc_u32 s5, s3, s5
	s_mul_hi_u32 s2, s6, 0x52
	s_mulk_i32 s6, 0x52
	s_add_u32 s0, s0, s6
	v_lshrrev_b32_e32 v1, 3, v0
	s_addc_u32 s1, s1, s2
	v_lshlrev_b32_e32 v2, 2, v4
	v_add_u32_e32 v3, v2, v1
	global_load_ubyte v5, v4, s[0:1] offset:66
	global_load_ubyte v6, v3, s[0:1] offset:2
	v_add_co_u32_e32 v2, vcc, v1, v2
	v_addc_co_u32_e64 v3, s[2:3], 0, 0, vcc
	s_add_u32 s2, s0, 2
	s_addc_u32 s3, s1, 0
	v_mov_b32_e32 v8, s3
	v_add_co_u32_e32 v2, vcc, s2, v2
	v_addc_co_u32_e32 v3, vcc, v8, v3, vcc
	v_lshlrev_b32_e32 v1, 1, v1
	v_mov_b32_e32 v7, 0
	global_load_sbyte v10, v[2:3], off offset:32
	global_load_ushort v11, v7, s[0:1]
	global_load_ubyte v12, v4, s[0:1] offset:74
	v_sub_u32_e32 v1, 8, v1
	s_movk_i32 s2, 0x300
	s_getpc_b64 s[0:1]
	s_add_u32 s0, s0, _ZL9iq2s_grid@rel32@lo+4
	s_addc_u32 s1, s1, _ZL9iq2s_grid@rel32@hi+12
	v_lshlrev_b32_e32 v4, 7, v4
	v_add_co_u32_e32 v4, vcc, s4, v4
	s_waitcnt vmcnt(4)
	v_lshlrev_b32_e32 v1, v1, v5
	s_waitcnt vmcnt(3)
	v_and_or_b32 v1, v1, s2, v6
	v_lshlrev_b32_e32 v1, 3, v1
	global_load_dwordx2 v[2:3], v1, s[0:1]
	v_and_b32_e32 v1, 0x3f8, v0
	v_mov_b32_e32 v5, s5
	v_lshrrev_b32_e32 v0, 2, v0
	v_lshlrev_b32_e32 v1, 2, v1
	v_addc_co_u32_e32 v5, vcc, 0, v5, vcc
	v_and_b32_e32 v0, 0xfc, v0
	v_add_co_u32_e32 v8, vcc, v4, v1
	v_addc_co_u32_e32 v9, vcc, 0, v5, vcc
	s_waitcnt vmcnt(2)
	v_cvt_f32_f16_e32 v1, v11
	s_waitcnt vmcnt(1)
	v_bfe_u32 v0, v12, v0, 4
	v_cvt_f32_ubyte0_e32 v0, v0
	v_add_f32_e32 v0, 0.5, v0
	v_mul_f32_e32 v0, v0, v1
	v_and_b32_e32 v4, 1, v10
	v_mul_f32_e32 v0, 0x3e800000, v0
	v_and_b32_e32 v5, 2, v10
	v_cmp_eq_u16_e32 vcc, 0, v4
	v_and_b32_e32 v6, 4, v10
	v_and_b32_e32 v7, 8, v10
	;; [unrolled: 1-line block ×5, first 2 shown]
	s_waitcnt vmcnt(0)
	v_cvt_f32_ubyte0_e32 v1, v2
	v_cvt_f32_ubyte1_e32 v14, v2
	v_cvt_f32_ubyte2_e32 v15, v2
	v_cvt_f32_ubyte3_e32 v2, v2
	v_cvt_f32_ubyte0_e32 v16, v3
	v_cvt_f32_ubyte1_e32 v17, v3
	v_cvt_f32_ubyte2_e32 v18, v3
	v_cvt_f32_ubyte3_e32 v3, v3
	v_mul_f32_e32 v1, v0, v1
	v_mul_f32_e32 v14, v0, v14
	;; [unrolled: 1-line block ×8, first 2 shown]
	v_cndmask_b32_e64 v0, -v1, v1, vcc
	v_cmp_eq_u16_e32 vcc, 0, v5
	v_cndmask_b32_e64 v1, -v14, v14, vcc
	v_cmp_eq_u16_e32 vcc, 0, v6
	;; [unrolled: 2-line block ×6, first 2 shown]
	v_cndmask_b32_e64 v6, -v18, v18, vcc
	v_cmp_gt_i16_e32 vcc, 0, v10
	v_cndmask_b32_e64 v7, v20, -v20, vcc
	global_store_dwordx4 v[8:9], v[0:3], off
	global_store_dwordx4 v[8:9], v[4:7], off offset:16
	s_endpgm
	.section	.rodata,"a",@progbits
	.p2align	6, 0x0
	.amdhsa_kernel _ZL22dequantize_block_iq2_sIfEvPKvPT_
		.amdhsa_group_segment_fixed_size 0
		.amdhsa_private_segment_fixed_size 0
		.amdhsa_kernarg_size 16
		.amdhsa_user_sgpr_count 6
		.amdhsa_user_sgpr_private_segment_buffer 1
		.amdhsa_user_sgpr_dispatch_ptr 0
		.amdhsa_user_sgpr_queue_ptr 0
		.amdhsa_user_sgpr_kernarg_segment_ptr 1
		.amdhsa_user_sgpr_dispatch_id 0
		.amdhsa_user_sgpr_flat_scratch_init 0
		.amdhsa_user_sgpr_kernarg_preload_length 0
		.amdhsa_user_sgpr_kernarg_preload_offset 0
		.amdhsa_user_sgpr_private_segment_size 0
		.amdhsa_uses_dynamic_stack 0
		.amdhsa_system_sgpr_private_segment_wavefront_offset 0
		.amdhsa_system_sgpr_workgroup_id_x 1
		.amdhsa_system_sgpr_workgroup_id_y 0
		.amdhsa_system_sgpr_workgroup_id_z 0
		.amdhsa_system_sgpr_workgroup_info 0
		.amdhsa_system_vgpr_workitem_id 0
		.amdhsa_next_free_vgpr 21
		.amdhsa_next_free_sgpr 7
		.amdhsa_accum_offset 24
		.amdhsa_reserve_vcc 1
		.amdhsa_reserve_flat_scratch 0
		.amdhsa_float_round_mode_32 0
		.amdhsa_float_round_mode_16_64 0
		.amdhsa_float_denorm_mode_32 3
		.amdhsa_float_denorm_mode_16_64 3
		.amdhsa_dx10_clamp 1
		.amdhsa_ieee_mode 1
		.amdhsa_fp16_overflow 0
		.amdhsa_tg_split 0
		.amdhsa_exception_fp_ieee_invalid_op 0
		.amdhsa_exception_fp_denorm_src 0
		.amdhsa_exception_fp_ieee_div_zero 0
		.amdhsa_exception_fp_ieee_overflow 0
		.amdhsa_exception_fp_ieee_underflow 0
		.amdhsa_exception_fp_ieee_inexact 0
		.amdhsa_exception_int_div_zero 0
	.end_amdhsa_kernel
	.section	.text._ZL22dequantize_block_iq2_sIfEvPKvPT_,"axG",@progbits,_ZL22dequantize_block_iq2_sIfEvPKvPT_,comdat
.Lfunc_end16:
	.size	_ZL22dequantize_block_iq2_sIfEvPKvPT_, .Lfunc_end16-_ZL22dequantize_block_iq2_sIfEvPKvPT_
                                        ; -- End function
	.section	.AMDGPU.csdata,"",@progbits
; Kernel info:
; codeLenInByte = 508
; NumSgprs: 11
; NumVgprs: 21
; NumAgprs: 0
; TotalNumVgprs: 21
; ScratchSize: 0
; MemoryBound: 0
; FloatMode: 240
; IeeeMode: 1
; LDSByteSize: 0 bytes/workgroup (compile time only)
; SGPRBlocks: 1
; VGPRBlocks: 2
; NumSGPRsForWavesPerEU: 11
; NumVGPRsForWavesPerEU: 21
; AccumOffset: 24
; Occupancy: 8
; WaveLimiterHint : 0
; COMPUTE_PGM_RSRC2:SCRATCH_EN: 0
; COMPUTE_PGM_RSRC2:USER_SGPR: 6
; COMPUTE_PGM_RSRC2:TRAP_HANDLER: 0
; COMPUTE_PGM_RSRC2:TGID_X_EN: 1
; COMPUTE_PGM_RSRC2:TGID_Y_EN: 0
; COMPUTE_PGM_RSRC2:TGID_Z_EN: 0
; COMPUTE_PGM_RSRC2:TIDIG_COMP_CNT: 0
; COMPUTE_PGM_RSRC3_GFX90A:ACCUM_OFFSET: 5
; COMPUTE_PGM_RSRC3_GFX90A:TG_SPLIT: 0
	.section	.text._ZL23dequantize_block_iq4_xsIfEvPKvPT_,"axG",@progbits,_ZL23dequantize_block_iq4_xsIfEvPKvPT_,comdat
	.globl	_ZL23dequantize_block_iq4_xsIfEvPKvPT_ ; -- Begin function _ZL23dequantize_block_iq4_xsIfEvPKvPT_
	.p2align	8
	.type	_ZL23dequantize_block_iq4_xsIfEvPKvPT_,@function
_ZL23dequantize_block_iq4_xsIfEvPKvPT_: ; @_ZL23dequantize_block_iq4_xsIfEvPKvPT_
; %bb.0:
	s_load_dwordx4 s[0:3], s[4:5], 0x0
	s_lshl_b32 s4, s6, 8
	s_mov_b32 s5, 0
	s_lshl_b64 s[4:5], s[4:5], 2
	v_and_b32_e32 v1, 7, v0
	s_waitcnt lgkmcnt(0)
	s_add_u32 s2, s2, s4
	s_addc_u32 s3, s3, s5
	s_mul_hi_u32 s4, s6, 0x88
	s_mulk_i32 s6, 0x88
	v_lshrrev_b32_e32 v2, 1, v0
	s_add_u32 s0, s0, s6
	v_and_b32_e32 v6, 0x1fc, v2
	s_addc_u32 s1, s1, s4
	v_lshlrev_b32_e32 v2, 4, v1
	v_mov_b32_e32 v3, s1
	v_add_co_u32_e32 v2, vcc, s0, v2
	v_addc_co_u32_e32 v3, vcc, 0, v3, vcc
	v_add_co_u32_e32 v2, vcc, v2, v6
	v_addc_co_u32_e32 v3, vcc, 0, v3, vcc
	global_load_dword v2, v[2:3], off offset:8
	v_mov_b32_e32 v3, 0
	global_load_dword v7, v3, s[0:1]
	v_bfe_u32 v3, v0, 1, 2
	global_load_ubyte v8, v3, s[0:1] offset:4
	v_mov_b32_e32 v3, 4
	s_getpc_b64 s[0:1]
	s_add_u32 s0, s0, _ZL13kvalues_iq4nl@rel32@lo+4
	s_addc_u32 s1, s1, _ZL13kvalues_iq4nl@rel32@hi+12
	v_mov_b32_e32 v9, s1
	v_lshlrev_b32_e32 v0, 2, v0
	v_and_b32_e32 v0, 4, v0
	s_waitcnt vmcnt(2)
	v_lshrrev_b32_e32 v4, 8, v2
	v_and_b32_e32 v10, 15, v2
	v_lshrrev_b16_e32 v5, 4, v2
	v_bfe_u32 v11, v2, 8, 4
	v_bfe_u32 v12, v2, 16, 4
	;; [unrolled: 1-line block ×4, first 2 shown]
	v_lshrrev_b16_sdwa v2, v3, v2 dst_sel:DWORD dst_unused:UNUSED_PAD src0_sel:DWORD src1_sel:BYTE_3
	v_and_b32_e32 v5, 15, v5
	v_add_co_u32_e32 v2, vcc, s0, v2
	v_lshrrev_b16_e32 v4, 4, v4
	v_addc_co_u32_e32 v3, vcc, 0, v9, vcc
	v_and_b32_e32 v5, 0xffff, v5
	v_and_b32_e32 v15, 15, v4
	v_add_co_u32_e32 v4, vcc, s0, v5
	v_addc_co_u32_e32 v5, vcc, 0, v9, vcc
	v_and_b32_e32 v15, 0xffff, v15
	global_load_sbyte v16, v10, s[0:1]
	global_load_sbyte v17, v[4:5], off
	global_load_sbyte v18, v11, s[0:1]
	global_load_sbyte v19, v12, s[0:1]
	global_load_sbyte v20, v13, s[0:1]
	global_load_sbyte v21, v14, s[0:1]
	v_add_co_u32_e32 v4, vcc, s0, v15
	v_addc_co_u32_e32 v5, vcc, 0, v9, vcc
	global_load_sbyte v11, v[2:3], off
	global_load_sbyte v12, v[4:5], off
	v_lshlrev_b32_e32 v2, 7, v1
	v_lshlrev_b32_e32 v1, 1, v1
	s_waitcnt vmcnt(9)
	v_lshrrev_b32_sdwa v1, v1, v7 dst_sel:DWORD dst_unused:UNUSED_PAD src0_sel:DWORD src1_sel:WORD_1
	s_waitcnt vmcnt(8)
	v_bfe_u32 v0, v8, v0, 4
	v_lshlrev_b32_e32 v1, 4, v1
	v_and_or_b32 v0, v1, 48, v0
	v_subrev_u32_e32 v0, 32, v0
	v_cvt_f32_f16_e32 v5, v7
	v_cvt_f32_i32_e32 v0, v0
	v_mov_b32_e32 v4, s3
	v_add_co_u32_e32 v2, vcc, s2, v2
	v_lshlrev_b32_e32 v3, 2, v6
	v_addc_co_u32_e32 v4, vcc, 0, v4, vcc
	v_add_co_u32_e32 v8, vcc, v2, v3
	v_addc_co_u32_e32 v9, vcc, 0, v4, vcc
	v_mul_f32_e32 v4, v5, v0
	s_waitcnt vmcnt(7)
	v_cvt_f32_i32_e32 v0, v16
	s_waitcnt vmcnt(6)
	v_cvt_f32_i32_e32 v10, v17
	;; [unrolled: 2-line block ×6, first 2 shown]
	v_pk_mul_f32 v[0:1], v[4:5], v[0:1] op_sel_hi:[0,1]
	s_waitcnt vmcnt(1)
	v_cvt_f32_i32_e32 v7, v11
	s_waitcnt vmcnt(0)
	v_cvt_f32_i32_e32 v11, v12
	v_pk_mul_f32 v[2:3], v[4:5], v[2:3] op_sel_hi:[0,1]
	v_pk_mul_f32 v[6:7], v[4:5], v[6:7] op_sel_hi:[0,1]
	;; [unrolled: 1-line block ×3, first 2 shown]
	global_store_dwordx4 v[8:9], v[0:3], off
	global_store_dwordx4 v[8:9], v[4:7], off offset:64
	s_endpgm
	.section	.rodata,"a",@progbits
	.p2align	6, 0x0
	.amdhsa_kernel _ZL23dequantize_block_iq4_xsIfEvPKvPT_
		.amdhsa_group_segment_fixed_size 0
		.amdhsa_private_segment_fixed_size 0
		.amdhsa_kernarg_size 16
		.amdhsa_user_sgpr_count 6
		.amdhsa_user_sgpr_private_segment_buffer 1
		.amdhsa_user_sgpr_dispatch_ptr 0
		.amdhsa_user_sgpr_queue_ptr 0
		.amdhsa_user_sgpr_kernarg_segment_ptr 1
		.amdhsa_user_sgpr_dispatch_id 0
		.amdhsa_user_sgpr_flat_scratch_init 0
		.amdhsa_user_sgpr_kernarg_preload_length 0
		.amdhsa_user_sgpr_kernarg_preload_offset 0
		.amdhsa_user_sgpr_private_segment_size 0
		.amdhsa_uses_dynamic_stack 0
		.amdhsa_system_sgpr_private_segment_wavefront_offset 0
		.amdhsa_system_sgpr_workgroup_id_x 1
		.amdhsa_system_sgpr_workgroup_id_y 0
		.amdhsa_system_sgpr_workgroup_id_z 0
		.amdhsa_system_sgpr_workgroup_info 0
		.amdhsa_system_vgpr_workitem_id 0
		.amdhsa_next_free_vgpr 22
		.amdhsa_next_free_sgpr 7
		.amdhsa_accum_offset 24
		.amdhsa_reserve_vcc 1
		.amdhsa_reserve_flat_scratch 0
		.amdhsa_float_round_mode_32 0
		.amdhsa_float_round_mode_16_64 0
		.amdhsa_float_denorm_mode_32 3
		.amdhsa_float_denorm_mode_16_64 3
		.amdhsa_dx10_clamp 1
		.amdhsa_ieee_mode 1
		.amdhsa_fp16_overflow 0
		.amdhsa_tg_split 0
		.amdhsa_exception_fp_ieee_invalid_op 0
		.amdhsa_exception_fp_denorm_src 0
		.amdhsa_exception_fp_ieee_div_zero 0
		.amdhsa_exception_fp_ieee_overflow 0
		.amdhsa_exception_fp_ieee_underflow 0
		.amdhsa_exception_fp_ieee_inexact 0
		.amdhsa_exception_int_div_zero 0
	.end_amdhsa_kernel
	.section	.text._ZL23dequantize_block_iq4_xsIfEvPKvPT_,"axG",@progbits,_ZL23dequantize_block_iq4_xsIfEvPKvPT_,comdat
.Lfunc_end17:
	.size	_ZL23dequantize_block_iq4_xsIfEvPKvPT_, .Lfunc_end17-_ZL23dequantize_block_iq4_xsIfEvPKvPT_
                                        ; -- End function
	.section	.AMDGPU.csdata,"",@progbits
; Kernel info:
; codeLenInByte = 536
; NumSgprs: 11
; NumVgprs: 22
; NumAgprs: 0
; TotalNumVgprs: 22
; ScratchSize: 0
; MemoryBound: 0
; FloatMode: 240
; IeeeMode: 1
; LDSByteSize: 0 bytes/workgroup (compile time only)
; SGPRBlocks: 1
; VGPRBlocks: 2
; NumSGPRsForWavesPerEU: 11
; NumVGPRsForWavesPerEU: 22
; AccumOffset: 24
; Occupancy: 8
; WaveLimiterHint : 0
; COMPUTE_PGM_RSRC2:SCRATCH_EN: 0
; COMPUTE_PGM_RSRC2:USER_SGPR: 6
; COMPUTE_PGM_RSRC2:TRAP_HANDLER: 0
; COMPUTE_PGM_RSRC2:TGID_X_EN: 1
; COMPUTE_PGM_RSRC2:TGID_Y_EN: 0
; COMPUTE_PGM_RSRC2:TGID_Z_EN: 0
; COMPUTE_PGM_RSRC2:TIDIG_COMP_CNT: 0
; COMPUTE_PGM_RSRC3_GFX90A:ACCUM_OFFSET: 5
; COMPUTE_PGM_RSRC3_GFX90A:TG_SPLIT: 0
	.section	.text._ZL22dequantize_block_iq1_mIfEvPKvPT_,"axG",@progbits,_ZL22dequantize_block_iq1_mIfEvPKvPT_,comdat
	.globl	_ZL22dequantize_block_iq1_mIfEvPKvPT_ ; -- Begin function _ZL22dequantize_block_iq1_mIfEvPKvPT_
	.p2align	8
	.type	_ZL22dequantize_block_iq1_mIfEvPKvPT_,@function
_ZL22dequantize_block_iq1_mIfEvPKvPT_:  ; @_ZL22dequantize_block_iq1_mIfEvPKvPT_
; %bb.0:
	s_load_dwordx4 s[0:3], s[4:5], 0x0
	s_mov_b32 s7, 0
	s_lshl_b64 s[4:5], s[6:7], 10
	v_and_b32_e32 v4, 7, v0
	v_lshlrev_b32_e32 v2, 1, v4
	s_waitcnt lgkmcnt(0)
	s_add_u32 s4, s2, s4
	s_addc_u32 s5, s3, s5
	s_mul_i32 s3, s6, 56
	s_mul_hi_u32 s2, s6, 56
	s_add_u32 s0, s0, s3
	v_lshrrev_b32_e32 v3, 4, v0
	s_addc_u32 s1, s1, s2
	v_add_co_u32_e32 v5, vcc, v2, v3
	v_addc_co_u32_e64 v3, s[2:3], 0, 0, vcc
	v_mov_b32_e32 v6, s1
	v_add_co_u32_e32 v2, vcc, s0, v5
	v_addc_co_u32_e32 v3, vcc, v6, v3, vcc
	v_lshrrev_b32_e32 v1, 3, v0
	global_load_ubyte v6, v[2:3], off offset:32
	v_lshlrev_b32_e32 v2, 2, v4
	v_add_co_u32_e32 v1, vcc, v2, v1
	v_addc_co_u32_e64 v3, s[2:3], 0, 0, vcc
	v_mov_b32_e32 v7, s1
	v_add_co_u32_e32 v2, vcc, s0, v1
	v_addc_co_u32_e32 v3, vcc, v7, v3, vcc
	global_load_ubyte v1, v[2:3], off
	v_mov_b32_e32 v2, 0
	global_load_dwordx2 v[2:3], v2, s[0:1] offset:48
	v_lshrrev_b32_e32 v7, 1, v5
	v_lshrrev_b32_e32 v8, 1, v0
	v_and_b32_e32 v7, 62, v7
	global_load_ushort v7, v7, s[0:1] offset:48
	v_and_b32_e32 v8, 4, v8
	s_movk_i32 s2, 0x700
	s_getpc_b64 s[0:1]
	s_add_u32 s0, s0, _ZL13iq1s_grid_gpu@rel32@lo+4
	s_addc_u32 s1, s1, _ZL13iq1s_grid_gpu@rel32@hi+12
	v_lshlrev_b32_e32 v4, 7, v4
	v_and_b32_e32 v0, 0x3f8, v0
	v_add_co_u32_e32 v4, vcc, s4, v4
	v_mov_b32_e32 v10, 0xffff
	v_lshlrev_b32_e32 v0, 2, v0
	v_and_b32_e32 v5, 3, v5
	v_mul_u32_u24_e32 v5, 3, v5
	v_mov_b32_e32 v11, 0xbf900000
	v_mov_b32_e32 v12, 0xbf600000
	s_waitcnt vmcnt(3)
	v_lshrrev_b32_e32 v6, v8, v6
	v_lshlrev_b32_e32 v8, 8, v6
	s_waitcnt vmcnt(2)
	v_and_or_b32 v1, v8, s2, v1
	v_lshlrev_b32_e32 v1, 3, v1
	global_load_dword v1, v1, s[0:1]
	v_mov_b32_e32 v8, s5
	v_addc_co_u32_e32 v9, vcc, 0, v8, vcc
	v_add_co_u32_e32 v8, vcc, v4, v0
	s_waitcnt vmcnt(2)
	v_and_b32_sdwa v0, v10, v2 dst_sel:DWORD dst_unused:UNUSED_PAD src0_sel:DWORD src1_sel:WORD_1
	s_mov_b32 s0, 0x40008
	v_lshl_or_b32 v0, v3, 16, v0
	v_pk_lshrrev_b16 v0, s0, v0
	v_bfe_u32 v2, v2, 12, 4
	v_and_b32_e32 v0, 0xf0000f0, v0
	s_mov_b32 s1, 0xf000
	v_or_b32_e32 v2, v0, v2
	v_and_b32_sdwa v4, v3, s1 dst_sel:DWORD dst_unused:UNUSED_PAD src0_sel:WORD_1 src1_sel:DWORD
	v_or_b32_sdwa v0, v2, v0 dst_sel:DWORD dst_unused:UNUSED_PAD src0_sel:DWORD src1_sel:WORD_1
	v_or_b32_e32 v0, v0, v4
	s_waitcnt vmcnt(1)
	v_lshrrev_b32_e32 v5, v5, v7
	v_cvt_f32_f16_e32 v2, v0
	v_lshlrev_b32_e32 v3, 1, v5
	v_and_or_b32 v3, v3, 14, 1
	v_addc_co_u32_e32 v9, vcc, 0, v9, vcc
	v_cvt_f32_ubyte0_e32 v3, v3
	v_and_b32_e32 v0, 8, v6
	v_cmp_eq_u32_e32 vcc, 0, v0
	v_mul_f32_e32 v6, v2, v3
	v_cndmask_b32_e32 v0, v11, v12, vcc
	s_waitcnt vmcnt(0)
	v_and_b32_e32 v4, 0xf0f0f0f, v1
	v_bfe_u32 v2, v1, 8, 4
	v_and_b32_e32 v5, 15, v1
	v_bfe_u32 v7, v1, 16, 4
	v_bfe_u32 v10, v1, 12, 4
	;; [unrolled: 1-line block ×3, first 2 shown]
	v_lshrrev_b32_e32 v13, 28, v1
	v_bfe_u32 v1, v1, 20, 4
	v_cvt_f32_ubyte0_e32 v3, v2
	v_cvt_f32_ubyte0_e32 v2, v5
	v_cvt_f32_ubyte3_e32 v5, v4
	v_cvt_f32_ubyte0_e32 v4, v7
	v_cvt_f32_ubyte0_e32 v11, v10
	;; [unrolled: 1-line block ×5, first 2 shown]
	v_pk_add_f32 v[2:3], v[0:1], v[2:3] op_sel_hi:[0,1]
	v_pk_add_f32 v[4:5], v[0:1], v[4:5] op_sel_hi:[0,1]
	;; [unrolled: 1-line block ×4, first 2 shown]
	v_pk_mul_f32 v[0:1], v[6:7], v[2:3] op_sel_hi:[0,1]
	v_pk_mul_f32 v[2:3], v[6:7], v[4:5] op_sel_hi:[0,1]
	;; [unrolled: 1-line block ×4, first 2 shown]
	global_store_dwordx4 v[8:9], v[0:3], off
	global_store_dwordx4 v[8:9], v[4:7], off offset:16
	s_endpgm
	.section	.rodata,"a",@progbits
	.p2align	6, 0x0
	.amdhsa_kernel _ZL22dequantize_block_iq1_mIfEvPKvPT_
		.amdhsa_group_segment_fixed_size 0
		.amdhsa_private_segment_fixed_size 0
		.amdhsa_kernarg_size 16
		.amdhsa_user_sgpr_count 6
		.amdhsa_user_sgpr_private_segment_buffer 1
		.amdhsa_user_sgpr_dispatch_ptr 0
		.amdhsa_user_sgpr_queue_ptr 0
		.amdhsa_user_sgpr_kernarg_segment_ptr 1
		.amdhsa_user_sgpr_dispatch_id 0
		.amdhsa_user_sgpr_flat_scratch_init 0
		.amdhsa_user_sgpr_kernarg_preload_length 0
		.amdhsa_user_sgpr_kernarg_preload_offset 0
		.amdhsa_user_sgpr_private_segment_size 0
		.amdhsa_uses_dynamic_stack 0
		.amdhsa_system_sgpr_private_segment_wavefront_offset 0
		.amdhsa_system_sgpr_workgroup_id_x 1
		.amdhsa_system_sgpr_workgroup_id_y 0
		.amdhsa_system_sgpr_workgroup_id_z 0
		.amdhsa_system_sgpr_workgroup_info 0
		.amdhsa_system_vgpr_workitem_id 0
		.amdhsa_next_free_vgpr 14
		.amdhsa_next_free_sgpr 8
		.amdhsa_accum_offset 16
		.amdhsa_reserve_vcc 1
		.amdhsa_reserve_flat_scratch 0
		.amdhsa_float_round_mode_32 0
		.amdhsa_float_round_mode_16_64 0
		.amdhsa_float_denorm_mode_32 3
		.amdhsa_float_denorm_mode_16_64 3
		.amdhsa_dx10_clamp 1
		.amdhsa_ieee_mode 1
		.amdhsa_fp16_overflow 0
		.amdhsa_tg_split 0
		.amdhsa_exception_fp_ieee_invalid_op 0
		.amdhsa_exception_fp_denorm_src 0
		.amdhsa_exception_fp_ieee_div_zero 0
		.amdhsa_exception_fp_ieee_overflow 0
		.amdhsa_exception_fp_ieee_underflow 0
		.amdhsa_exception_fp_ieee_inexact 0
		.amdhsa_exception_int_div_zero 0
	.end_amdhsa_kernel
	.section	.text._ZL22dequantize_block_iq1_mIfEvPKvPT_,"axG",@progbits,_ZL22dequantize_block_iq1_mIfEvPKvPT_,comdat
.Lfunc_end18:
	.size	_ZL22dequantize_block_iq1_mIfEvPKvPT_, .Lfunc_end18-_ZL22dequantize_block_iq1_mIfEvPKvPT_
                                        ; -- End function
	.section	.AMDGPU.csdata,"",@progbits
; Kernel info:
; codeLenInByte = 596
; NumSgprs: 12
; NumVgprs: 14
; NumAgprs: 0
; TotalNumVgprs: 14
; ScratchSize: 0
; MemoryBound: 0
; FloatMode: 240
; IeeeMode: 1
; LDSByteSize: 0 bytes/workgroup (compile time only)
; SGPRBlocks: 1
; VGPRBlocks: 1
; NumSGPRsForWavesPerEU: 12
; NumVGPRsForWavesPerEU: 14
; AccumOffset: 16
; Occupancy: 8
; WaveLimiterHint : 0
; COMPUTE_PGM_RSRC2:SCRATCH_EN: 0
; COMPUTE_PGM_RSRC2:USER_SGPR: 6
; COMPUTE_PGM_RSRC2:TRAP_HANDLER: 0
; COMPUTE_PGM_RSRC2:TGID_X_EN: 1
; COMPUTE_PGM_RSRC2:TGID_Y_EN: 0
; COMPUTE_PGM_RSRC2:TGID_Z_EN: 0
; COMPUTE_PGM_RSRC2:TIDIG_COMP_CNT: 0
; COMPUTE_PGM_RSRC3_GFX90A:ACCUM_OFFSET: 3
; COMPUTE_PGM_RSRC3_GFX90A:TG_SPLIT: 0
	.section	.text._ZL16dequantize_blockILi32ELi2EXadL_ZL15dequantize_q4_0PKviiR7__half2EEN3c104HalfEEvS1_PT2_l,"axG",@progbits,_ZL16dequantize_blockILi32ELi2EXadL_ZL15dequantize_q4_0PKviiR7__half2EEN3c104HalfEEvS1_PT2_l,comdat
	.globl	_ZL16dequantize_blockILi32ELi2EXadL_ZL15dequantize_q4_0PKviiR7__half2EEN3c104HalfEEvS1_PT2_l ; -- Begin function _ZL16dequantize_blockILi32ELi2EXadL_ZL15dequantize_q4_0PKviiR7__half2EEN3c104HalfEEvS1_PT2_l
	.p2align	8
	.type	_ZL16dequantize_blockILi32ELi2EXadL_ZL15dequantize_q4_0PKviiR7__half2EEN3c104HalfEEvS1_PT2_l,@function
_ZL16dequantize_blockILi32ELi2EXadL_ZL15dequantize_q4_0PKviiR7__half2EEN3c104HalfEEvS1_PT2_l: ; @_ZL16dequantize_blockILi32ELi2EXadL_ZL15dequantize_q4_0PKviiR7__half2EEN3c104HalfEEvS1_PT2_l
; %bb.0:
	s_load_dword s2, s[4:5], 0x24
	s_load_dwordx2 s[0:1], s[4:5], 0x10
	v_mov_b32_e32 v1, 0
	v_mov_b32_e32 v2, s6
	s_waitcnt lgkmcnt(0)
	s_and_b32 s2, s2, 0xffff
	v_mad_u64_u32 v[2:3], s[2:3], s2, v2, v[0:1]
	v_lshlrev_b64 v[0:1], 1, v[2:3]
	v_cmp_gt_i64_e32 vcc, s[0:1], v[0:1]
	s_and_saveexec_b64 s[0:1], vcc
	s_cbranch_execz .LBB19_2
; %bb.1:
	s_load_dwordx4 s[0:3], s[4:5], 0x0
	v_and_b32_e32 v1, 15, v2
	v_alignbit_b32 v2, v3, v2, 4
	s_waitcnt lgkmcnt(0)
	v_mad_i64_i32 v[2:3], s[0:1], v2, 18, s[0:1]
	v_add_co_u32_e32 v4, vcc, v2, v1
	v_addc_co_u32_e32 v5, vcc, 0, v3, vcc
	global_load_ubyte v6, v[4:5], off offset:2
	global_load_ushort v7, v[2:3], off
	s_movk_i32 s1, 0xffe0
	v_and_or_b32 v0, v0, s1, v1
	v_ashrrev_i32_e32 v1, 31, v0
	v_lshlrev_b64 v[0:1], 1, v[0:1]
	v_mov_b32_e32 v2, s3
	v_add_co_u32_e32 v0, vcc, s2, v0
	s_mov_b32 s0, 0xc800
	v_addc_co_u32_e32 v1, vcc, v2, v1, vcc
	s_waitcnt vmcnt(1)
	v_and_b32_e32 v3, 15, v6
	v_lshrrev_b32_e32 v4, 4, v6
	v_cvt_f32_ubyte0_e32 v3, v3
	v_cvt_f32_ubyte0_e32 v4, v4
	v_cvt_f16_f32_e32 v3, v3
	v_cvt_f16_f32_e32 v4, v4
	v_pack_b32_f16 v2, v3, v4
	v_pk_add_f16 v2, v2, s0 op_sel_hi:[1,0]
	s_waitcnt vmcnt(0)
	v_pk_mul_f16 v2, v7, v2 op_sel_hi:[0,1]
	global_store_short v[0:1], v2, off
	global_store_short_d16_hi v[0:1], v2, off offset:32
.LBB19_2:
	s_endpgm
	.section	.rodata,"a",@progbits
	.p2align	6, 0x0
	.amdhsa_kernel _ZL16dequantize_blockILi32ELi2EXadL_ZL15dequantize_q4_0PKviiR7__half2EEN3c104HalfEEvS1_PT2_l
		.amdhsa_group_segment_fixed_size 0
		.amdhsa_private_segment_fixed_size 0
		.amdhsa_kernarg_size 280
		.amdhsa_user_sgpr_count 6
		.amdhsa_user_sgpr_private_segment_buffer 1
		.amdhsa_user_sgpr_dispatch_ptr 0
		.amdhsa_user_sgpr_queue_ptr 0
		.amdhsa_user_sgpr_kernarg_segment_ptr 1
		.amdhsa_user_sgpr_dispatch_id 0
		.amdhsa_user_sgpr_flat_scratch_init 0
		.amdhsa_user_sgpr_kernarg_preload_length 0
		.amdhsa_user_sgpr_kernarg_preload_offset 0
		.amdhsa_user_sgpr_private_segment_size 0
		.amdhsa_uses_dynamic_stack 0
		.amdhsa_system_sgpr_private_segment_wavefront_offset 0
		.amdhsa_system_sgpr_workgroup_id_x 1
		.amdhsa_system_sgpr_workgroup_id_y 0
		.amdhsa_system_sgpr_workgroup_id_z 0
		.amdhsa_system_sgpr_workgroup_info 0
		.amdhsa_system_vgpr_workitem_id 0
		.amdhsa_next_free_vgpr 8
		.amdhsa_next_free_sgpr 7
		.amdhsa_accum_offset 8
		.amdhsa_reserve_vcc 1
		.amdhsa_reserve_flat_scratch 0
		.amdhsa_float_round_mode_32 0
		.amdhsa_float_round_mode_16_64 0
		.amdhsa_float_denorm_mode_32 3
		.amdhsa_float_denorm_mode_16_64 3
		.amdhsa_dx10_clamp 1
		.amdhsa_ieee_mode 1
		.amdhsa_fp16_overflow 0
		.amdhsa_tg_split 0
		.amdhsa_exception_fp_ieee_invalid_op 0
		.amdhsa_exception_fp_denorm_src 0
		.amdhsa_exception_fp_ieee_div_zero 0
		.amdhsa_exception_fp_ieee_overflow 0
		.amdhsa_exception_fp_ieee_underflow 0
		.amdhsa_exception_fp_ieee_inexact 0
		.amdhsa_exception_int_div_zero 0
	.end_amdhsa_kernel
	.section	.text._ZL16dequantize_blockILi32ELi2EXadL_ZL15dequantize_q4_0PKviiR7__half2EEN3c104HalfEEvS1_PT2_l,"axG",@progbits,_ZL16dequantize_blockILi32ELi2EXadL_ZL15dequantize_q4_0PKviiR7__half2EEN3c104HalfEEvS1_PT2_l,comdat
.Lfunc_end19:
	.size	_ZL16dequantize_blockILi32ELi2EXadL_ZL15dequantize_q4_0PKviiR7__half2EEN3c104HalfEEvS1_PT2_l, .Lfunc_end19-_ZL16dequantize_blockILi32ELi2EXadL_ZL15dequantize_q4_0PKviiR7__half2EEN3c104HalfEEvS1_PT2_l
                                        ; -- End function
	.section	.AMDGPU.csdata,"",@progbits
; Kernel info:
; codeLenInByte = 240
; NumSgprs: 11
; NumVgprs: 8
; NumAgprs: 0
; TotalNumVgprs: 8
; ScratchSize: 0
; MemoryBound: 0
; FloatMode: 240
; IeeeMode: 1
; LDSByteSize: 0 bytes/workgroup (compile time only)
; SGPRBlocks: 1
; VGPRBlocks: 0
; NumSGPRsForWavesPerEU: 11
; NumVGPRsForWavesPerEU: 8
; AccumOffset: 8
; Occupancy: 8
; WaveLimiterHint : 0
; COMPUTE_PGM_RSRC2:SCRATCH_EN: 0
; COMPUTE_PGM_RSRC2:USER_SGPR: 6
; COMPUTE_PGM_RSRC2:TRAP_HANDLER: 0
; COMPUTE_PGM_RSRC2:TGID_X_EN: 1
; COMPUTE_PGM_RSRC2:TGID_Y_EN: 0
; COMPUTE_PGM_RSRC2:TGID_Z_EN: 0
; COMPUTE_PGM_RSRC2:TIDIG_COMP_CNT: 0
; COMPUTE_PGM_RSRC3_GFX90A:ACCUM_OFFSET: 1
; COMPUTE_PGM_RSRC3_GFX90A:TG_SPLIT: 0
	.section	.text._ZL16dequantize_blockILi32ELi2EXadL_ZL15dequantize_q4_1PKviiR7__half2EEN3c104HalfEEvS1_PT2_l,"axG",@progbits,_ZL16dequantize_blockILi32ELi2EXadL_ZL15dequantize_q4_1PKviiR7__half2EEN3c104HalfEEvS1_PT2_l,comdat
	.globl	_ZL16dequantize_blockILi32ELi2EXadL_ZL15dequantize_q4_1PKviiR7__half2EEN3c104HalfEEvS1_PT2_l ; -- Begin function _ZL16dequantize_blockILi32ELi2EXadL_ZL15dequantize_q4_1PKviiR7__half2EEN3c104HalfEEvS1_PT2_l
	.p2align	8
	.type	_ZL16dequantize_blockILi32ELi2EXadL_ZL15dequantize_q4_1PKviiR7__half2EEN3c104HalfEEvS1_PT2_l,@function
_ZL16dequantize_blockILi32ELi2EXadL_ZL15dequantize_q4_1PKviiR7__half2EEN3c104HalfEEvS1_PT2_l: ; @_ZL16dequantize_blockILi32ELi2EXadL_ZL15dequantize_q4_1PKviiR7__half2EEN3c104HalfEEvS1_PT2_l
; %bb.0:
	s_load_dword s2, s[4:5], 0x24
	s_load_dwordx2 s[0:1], s[4:5], 0x10
	v_mov_b32_e32 v1, 0
	v_mov_b32_e32 v2, s6
	s_waitcnt lgkmcnt(0)
	s_and_b32 s2, s2, 0xffff
	v_mad_u64_u32 v[2:3], s[2:3], s2, v2, v[0:1]
	v_lshlrev_b64 v[0:1], 1, v[2:3]
	v_cmp_gt_i64_e32 vcc, s[0:1], v[0:1]
	s_and_saveexec_b64 s[0:1], vcc
	s_cbranch_execz .LBB20_2
; %bb.1:
	s_load_dwordx4 s[0:3], s[4:5], 0x0
	v_and_b32_e32 v1, 15, v2
	v_alignbit_b32 v2, v3, v2, 4
	s_waitcnt lgkmcnt(0)
	v_mad_i64_i32 v[2:3], s[0:1], v2, 20, s[0:1]
	v_add_co_u32_e32 v4, vcc, v2, v1
	v_addc_co_u32_e32 v5, vcc, 0, v3, vcc
	global_load_ubyte v6, v[4:5], off offset:4
	global_load_dword v7, v[2:3], off
	s_movk_i32 s0, 0xffe0
	v_and_or_b32 v0, v0, s0, v1
	v_ashrrev_i32_e32 v1, 31, v0
	v_lshlrev_b64 v[0:1], 1, v[0:1]
	v_mov_b32_e32 v2, s3
	v_add_co_u32_e32 v0, vcc, s2, v0
	v_addc_co_u32_e32 v1, vcc, v2, v1, vcc
	s_waitcnt vmcnt(1)
	v_and_b32_e32 v3, 15, v6
	v_lshrrev_b32_e32 v4, 4, v6
	v_cvt_f32_ubyte0_e32 v3, v3
	v_cvt_f32_ubyte0_e32 v4, v4
	v_cvt_f16_f32_e32 v3, v3
	v_cvt_f16_f32_e32 v4, v4
	v_pack_b32_f16 v2, v3, v4
	s_waitcnt vmcnt(0)
	v_pk_fma_f16 v2, v7, v2, v7 op_sel:[0,0,1] op_sel_hi:[0,1,1]
	global_store_short v[0:1], v2, off
	global_store_short_d16_hi v[0:1], v2, off offset:32
.LBB20_2:
	s_endpgm
	.section	.rodata,"a",@progbits
	.p2align	6, 0x0
	.amdhsa_kernel _ZL16dequantize_blockILi32ELi2EXadL_ZL15dequantize_q4_1PKviiR7__half2EEN3c104HalfEEvS1_PT2_l
		.amdhsa_group_segment_fixed_size 0
		.amdhsa_private_segment_fixed_size 0
		.amdhsa_kernarg_size 280
		.amdhsa_user_sgpr_count 6
		.amdhsa_user_sgpr_private_segment_buffer 1
		.amdhsa_user_sgpr_dispatch_ptr 0
		.amdhsa_user_sgpr_queue_ptr 0
		.amdhsa_user_sgpr_kernarg_segment_ptr 1
		.amdhsa_user_sgpr_dispatch_id 0
		.amdhsa_user_sgpr_flat_scratch_init 0
		.amdhsa_user_sgpr_kernarg_preload_length 0
		.amdhsa_user_sgpr_kernarg_preload_offset 0
		.amdhsa_user_sgpr_private_segment_size 0
		.amdhsa_uses_dynamic_stack 0
		.amdhsa_system_sgpr_private_segment_wavefront_offset 0
		.amdhsa_system_sgpr_workgroup_id_x 1
		.amdhsa_system_sgpr_workgroup_id_y 0
		.amdhsa_system_sgpr_workgroup_id_z 0
		.amdhsa_system_sgpr_workgroup_info 0
		.amdhsa_system_vgpr_workitem_id 0
		.amdhsa_next_free_vgpr 8
		.amdhsa_next_free_sgpr 7
		.amdhsa_accum_offset 8
		.amdhsa_reserve_vcc 1
		.amdhsa_reserve_flat_scratch 0
		.amdhsa_float_round_mode_32 0
		.amdhsa_float_round_mode_16_64 0
		.amdhsa_float_denorm_mode_32 3
		.amdhsa_float_denorm_mode_16_64 3
		.amdhsa_dx10_clamp 1
		.amdhsa_ieee_mode 1
		.amdhsa_fp16_overflow 0
		.amdhsa_tg_split 0
		.amdhsa_exception_fp_ieee_invalid_op 0
		.amdhsa_exception_fp_denorm_src 0
		.amdhsa_exception_fp_ieee_div_zero 0
		.amdhsa_exception_fp_ieee_overflow 0
		.amdhsa_exception_fp_ieee_underflow 0
		.amdhsa_exception_fp_ieee_inexact 0
		.amdhsa_exception_int_div_zero 0
	.end_amdhsa_kernel
	.section	.text._ZL16dequantize_blockILi32ELi2EXadL_ZL15dequantize_q4_1PKviiR7__half2EEN3c104HalfEEvS1_PT2_l,"axG",@progbits,_ZL16dequantize_blockILi32ELi2EXadL_ZL15dequantize_q4_1PKviiR7__half2EEN3c104HalfEEvS1_PT2_l,comdat
.Lfunc_end20:
	.size	_ZL16dequantize_blockILi32ELi2EXadL_ZL15dequantize_q4_1PKviiR7__half2EEN3c104HalfEEvS1_PT2_l, .Lfunc_end20-_ZL16dequantize_blockILi32ELi2EXadL_ZL15dequantize_q4_1PKviiR7__half2EEN3c104HalfEEvS1_PT2_l
                                        ; -- End function
	.section	.AMDGPU.csdata,"",@progbits
; Kernel info:
; codeLenInByte = 224
; NumSgprs: 11
; NumVgprs: 8
; NumAgprs: 0
; TotalNumVgprs: 8
; ScratchSize: 0
; MemoryBound: 0
; FloatMode: 240
; IeeeMode: 1
; LDSByteSize: 0 bytes/workgroup (compile time only)
; SGPRBlocks: 1
; VGPRBlocks: 0
; NumSGPRsForWavesPerEU: 11
; NumVGPRsForWavesPerEU: 8
; AccumOffset: 8
; Occupancy: 8
; WaveLimiterHint : 0
; COMPUTE_PGM_RSRC2:SCRATCH_EN: 0
; COMPUTE_PGM_RSRC2:USER_SGPR: 6
; COMPUTE_PGM_RSRC2:TRAP_HANDLER: 0
; COMPUTE_PGM_RSRC2:TGID_X_EN: 1
; COMPUTE_PGM_RSRC2:TGID_Y_EN: 0
; COMPUTE_PGM_RSRC2:TGID_Z_EN: 0
; COMPUTE_PGM_RSRC2:TIDIG_COMP_CNT: 0
; COMPUTE_PGM_RSRC3_GFX90A:ACCUM_OFFSET: 1
; COMPUTE_PGM_RSRC3_GFX90A:TG_SPLIT: 0
	.section	.text._ZL16dequantize_blockILi32ELi2EXadL_ZL15dequantize_q5_0PKviiR7__half2EEN3c104HalfEEvS1_PT2_l,"axG",@progbits,_ZL16dequantize_blockILi32ELi2EXadL_ZL15dequantize_q5_0PKviiR7__half2EEN3c104HalfEEvS1_PT2_l,comdat
	.globl	_ZL16dequantize_blockILi32ELi2EXadL_ZL15dequantize_q5_0PKviiR7__half2EEN3c104HalfEEvS1_PT2_l ; -- Begin function _ZL16dequantize_blockILi32ELi2EXadL_ZL15dequantize_q5_0PKviiR7__half2EEN3c104HalfEEvS1_PT2_l
	.p2align	8
	.type	_ZL16dequantize_blockILi32ELi2EXadL_ZL15dequantize_q5_0PKviiR7__half2EEN3c104HalfEEvS1_PT2_l,@function
_ZL16dequantize_blockILi32ELi2EXadL_ZL15dequantize_q5_0PKviiR7__half2EEN3c104HalfEEvS1_PT2_l: ; @_ZL16dequantize_blockILi32ELi2EXadL_ZL15dequantize_q5_0PKviiR7__half2EEN3c104HalfEEvS1_PT2_l
; %bb.0:
	s_load_dword s2, s[4:5], 0x24
	s_load_dwordx2 s[0:1], s[4:5], 0x10
	v_mov_b32_e32 v1, 0
	v_mov_b32_e32 v2, s6
	s_waitcnt lgkmcnt(0)
	s_and_b32 s2, s2, 0xffff
	v_mad_u64_u32 v[2:3], s[2:3], s2, v2, v[0:1]
	v_lshlrev_b64 v[0:1], 1, v[2:3]
	v_cmp_gt_i64_e32 vcc, s[0:1], v[0:1]
	s_and_saveexec_b64 s[0:1], vcc
	s_cbranch_execz .LBB21_2
; %bb.1:
	s_load_dwordx4 s[0:3], s[4:5], 0x0
	v_alignbit_b32 v1, v3, v2, 4
	v_and_b32_e32 v4, 15, v2
	s_movk_i32 s4, 0xffe0
	v_and_or_b32 v0, v0, s4, v4
	s_waitcnt lgkmcnt(0)
	v_mad_i64_i32 v[2:3], s[0:1], v1, 22, s[0:1]
	global_load_dword v5, v[2:3], off
	global_load_ushort v6, v[2:3], off offset:4
	v_add_co_u32_e32 v2, vcc, v2, v4
	v_addc_co_u32_e32 v3, vcc, 0, v3, vcc
	global_load_ubyte v2, v[2:3], off offset:6
	s_mov_b32 s0, 0x1000706
	v_add_u32_e32 v3, 12, v4
	v_ashrrev_i32_e32 v1, 31, v0
	s_mov_b32 s1, 0xcc00
	v_lshlrev_b64 v[0:1], 1, v[0:1]
	v_mov_b32_e32 v7, s3
	v_add_co_u32_e32 v0, vcc, s2, v0
	v_addc_co_u32_e32 v1, vcc, v7, v1, vcc
	s_waitcnt vmcnt(1)
	v_perm_b32 v6, v5, v6, s0
	v_lshrrev_b32_e32 v4, v4, v6
	v_lshrrev_b32_e32 v3, v3, v6
	v_lshlrev_b32_e32 v4, 4, v4
	s_waitcnt vmcnt(0)
	v_and_b32_e32 v6, 15, v2
	v_lshrrev_b16_e32 v2, 4, v2
	v_and_or_b32 v2, v3, 16, v2
	v_and_or_b32 v3, v4, 16, v6
	v_cvt_f32_ubyte0_e32 v2, v2
	v_cvt_f32_ubyte0_e32 v3, v3
	v_cvt_f16_f32_e32 v2, v2
	v_cvt_f16_f32_e32 v3, v3
	v_pack_b32_f16 v2, v3, v2
	v_pk_add_f16 v2, v2, s1 op_sel_hi:[1,0]
	v_pk_mul_f16 v2, v5, v2 op_sel_hi:[0,1]
	global_store_short v[0:1], v2, off
	global_store_short_d16_hi v[0:1], v2, off offset:32
.LBB21_2:
	s_endpgm
	.section	.rodata,"a",@progbits
	.p2align	6, 0x0
	.amdhsa_kernel _ZL16dequantize_blockILi32ELi2EXadL_ZL15dequantize_q5_0PKviiR7__half2EEN3c104HalfEEvS1_PT2_l
		.amdhsa_group_segment_fixed_size 0
		.amdhsa_private_segment_fixed_size 0
		.amdhsa_kernarg_size 280
		.amdhsa_user_sgpr_count 6
		.amdhsa_user_sgpr_private_segment_buffer 1
		.amdhsa_user_sgpr_dispatch_ptr 0
		.amdhsa_user_sgpr_queue_ptr 0
		.amdhsa_user_sgpr_kernarg_segment_ptr 1
		.amdhsa_user_sgpr_dispatch_id 0
		.amdhsa_user_sgpr_flat_scratch_init 0
		.amdhsa_user_sgpr_kernarg_preload_length 0
		.amdhsa_user_sgpr_kernarg_preload_offset 0
		.amdhsa_user_sgpr_private_segment_size 0
		.amdhsa_uses_dynamic_stack 0
		.amdhsa_system_sgpr_private_segment_wavefront_offset 0
		.amdhsa_system_sgpr_workgroup_id_x 1
		.amdhsa_system_sgpr_workgroup_id_y 0
		.amdhsa_system_sgpr_workgroup_id_z 0
		.amdhsa_system_sgpr_workgroup_info 0
		.amdhsa_system_vgpr_workitem_id 0
		.amdhsa_next_free_vgpr 8
		.amdhsa_next_free_sgpr 7
		.amdhsa_accum_offset 8
		.amdhsa_reserve_vcc 1
		.amdhsa_reserve_flat_scratch 0
		.amdhsa_float_round_mode_32 0
		.amdhsa_float_round_mode_16_64 0
		.amdhsa_float_denorm_mode_32 3
		.amdhsa_float_denorm_mode_16_64 3
		.amdhsa_dx10_clamp 1
		.amdhsa_ieee_mode 1
		.amdhsa_fp16_overflow 0
		.amdhsa_tg_split 0
		.amdhsa_exception_fp_ieee_invalid_op 0
		.amdhsa_exception_fp_denorm_src 0
		.amdhsa_exception_fp_ieee_div_zero 0
		.amdhsa_exception_fp_ieee_overflow 0
		.amdhsa_exception_fp_ieee_underflow 0
		.amdhsa_exception_fp_ieee_inexact 0
		.amdhsa_exception_int_div_zero 0
	.end_amdhsa_kernel
	.section	.text._ZL16dequantize_blockILi32ELi2EXadL_ZL15dequantize_q5_0PKviiR7__half2EEN3c104HalfEEvS1_PT2_l,"axG",@progbits,_ZL16dequantize_blockILi32ELi2EXadL_ZL15dequantize_q5_0PKviiR7__half2EEN3c104HalfEEvS1_PT2_l,comdat
.Lfunc_end21:
	.size	_ZL16dequantize_blockILi32ELi2EXadL_ZL15dequantize_q5_0PKviiR7__half2EEN3c104HalfEEvS1_PT2_l, .Lfunc_end21-_ZL16dequantize_blockILi32ELi2EXadL_ZL15dequantize_q5_0PKviiR7__half2EEN3c104HalfEEvS1_PT2_l
                                        ; -- End function
	.section	.AMDGPU.csdata,"",@progbits
; Kernel info:
; codeLenInByte = 296
; NumSgprs: 11
; NumVgprs: 8
; NumAgprs: 0
; TotalNumVgprs: 8
; ScratchSize: 0
; MemoryBound: 0
; FloatMode: 240
; IeeeMode: 1
; LDSByteSize: 0 bytes/workgroup (compile time only)
; SGPRBlocks: 1
; VGPRBlocks: 0
; NumSGPRsForWavesPerEU: 11
; NumVGPRsForWavesPerEU: 8
; AccumOffset: 8
; Occupancy: 8
; WaveLimiterHint : 0
; COMPUTE_PGM_RSRC2:SCRATCH_EN: 0
; COMPUTE_PGM_RSRC2:USER_SGPR: 6
; COMPUTE_PGM_RSRC2:TRAP_HANDLER: 0
; COMPUTE_PGM_RSRC2:TGID_X_EN: 1
; COMPUTE_PGM_RSRC2:TGID_Y_EN: 0
; COMPUTE_PGM_RSRC2:TGID_Z_EN: 0
; COMPUTE_PGM_RSRC2:TIDIG_COMP_CNT: 0
; COMPUTE_PGM_RSRC3_GFX90A:ACCUM_OFFSET: 1
; COMPUTE_PGM_RSRC3_GFX90A:TG_SPLIT: 0
	.section	.text._ZL16dequantize_blockILi32ELi2EXadL_ZL15dequantize_q5_1PKviiR7__half2EEN3c104HalfEEvS1_PT2_l,"axG",@progbits,_ZL16dequantize_blockILi32ELi2EXadL_ZL15dequantize_q5_1PKviiR7__half2EEN3c104HalfEEvS1_PT2_l,comdat
	.globl	_ZL16dequantize_blockILi32ELi2EXadL_ZL15dequantize_q5_1PKviiR7__half2EEN3c104HalfEEvS1_PT2_l ; -- Begin function _ZL16dequantize_blockILi32ELi2EXadL_ZL15dequantize_q5_1PKviiR7__half2EEN3c104HalfEEvS1_PT2_l
	.p2align	8
	.type	_ZL16dequantize_blockILi32ELi2EXadL_ZL15dequantize_q5_1PKviiR7__half2EEN3c104HalfEEvS1_PT2_l,@function
_ZL16dequantize_blockILi32ELi2EXadL_ZL15dequantize_q5_1PKviiR7__half2EEN3c104HalfEEvS1_PT2_l: ; @_ZL16dequantize_blockILi32ELi2EXadL_ZL15dequantize_q5_1PKviiR7__half2EEN3c104HalfEEvS1_PT2_l
; %bb.0:
	s_load_dword s2, s[4:5], 0x24
	s_load_dwordx2 s[0:1], s[4:5], 0x10
	v_mov_b32_e32 v1, 0
	v_mov_b32_e32 v2, s6
	s_waitcnt lgkmcnt(0)
	s_and_b32 s2, s2, 0xffff
	v_mad_u64_u32 v[2:3], s[2:3], s2, v2, v[0:1]
	v_lshlrev_b64 v[0:1], 1, v[2:3]
	v_cmp_gt_i64_e32 vcc, s[0:1], v[0:1]
	s_and_saveexec_b64 s[0:1], vcc
	s_cbranch_execz .LBB22_2
; %bb.1:
	s_load_dwordx4 s[0:3], s[4:5], 0x0
	v_alignbit_b32 v1, v3, v2, 4
	v_and_b32_e32 v6, 15, v2
	s_waitcnt lgkmcnt(0)
	v_mad_i64_i32 v[2:3], s[0:1], v1, 24, s[0:1]
	global_load_ushort v7, v[2:3], off offset:6
	v_add_co_u32_e32 v4, vcc, v2, v6
	v_addc_co_u32_e32 v5, vcc, 0, v3, vcc
	global_load_ubyte v8, v[4:5], off offset:8
	global_load_ushort v9, v[2:3], off offset:4
	global_load_dword v10, v[2:3], off
	v_add_u32_e32 v2, 12, v6
	s_movk_i32 s0, 0xffe0
	v_and_or_b32 v0, v0, s0, v6
	v_ashrrev_i32_e32 v1, 31, v0
	v_lshlrev_b64 v[0:1], 1, v[0:1]
	v_mov_b32_e32 v3, s3
	v_add_co_u32_e32 v0, vcc, s2, v0
	v_addc_co_u32_e32 v1, vcc, v3, v1, vcc
	s_waitcnt vmcnt(3)
	v_lshrrev_b16_e32 v4, 8, v7
	v_and_b32_e32 v5, 0xff, v7
	v_lshlrev_b32_e32 v4, 24, v4
	v_lshlrev_b32_e32 v5, 16, v5
	s_waitcnt vmcnt(1)
	v_or3_b32 v4, v5, v9, v4
	v_lshrrev_b32_e32 v5, v6, v4
	v_and_b32_e32 v7, 15, v8
	v_lshrrev_b16_e32 v8, 4, v8
	v_lshrrev_b32_e32 v2, v2, v4
	v_lshlrev_b32_e32 v4, 4, v5
	v_and_or_b32 v2, v2, 16, v8
	v_and_or_b32 v4, v4, 16, v7
	v_cvt_f32_ubyte0_e32 v2, v2
	v_cvt_f32_ubyte0_e32 v4, v4
	v_cvt_f16_f32_e32 v2, v2
	v_cvt_f16_f32_e32 v4, v4
	v_pack_b32_f16 v2, v4, v2
	s_waitcnt vmcnt(0)
	v_pk_fma_f16 v2, v10, v2, v10 op_sel:[0,0,1] op_sel_hi:[0,1,1]
	global_store_short v[0:1], v2, off
	global_store_short_d16_hi v[0:1], v2, off offset:32
.LBB22_2:
	s_endpgm
	.section	.rodata,"a",@progbits
	.p2align	6, 0x0
	.amdhsa_kernel _ZL16dequantize_blockILi32ELi2EXadL_ZL15dequantize_q5_1PKviiR7__half2EEN3c104HalfEEvS1_PT2_l
		.amdhsa_group_segment_fixed_size 0
		.amdhsa_private_segment_fixed_size 0
		.amdhsa_kernarg_size 280
		.amdhsa_user_sgpr_count 6
		.amdhsa_user_sgpr_private_segment_buffer 1
		.amdhsa_user_sgpr_dispatch_ptr 0
		.amdhsa_user_sgpr_queue_ptr 0
		.amdhsa_user_sgpr_kernarg_segment_ptr 1
		.amdhsa_user_sgpr_dispatch_id 0
		.amdhsa_user_sgpr_flat_scratch_init 0
		.amdhsa_user_sgpr_kernarg_preload_length 0
		.amdhsa_user_sgpr_kernarg_preload_offset 0
		.amdhsa_user_sgpr_private_segment_size 0
		.amdhsa_uses_dynamic_stack 0
		.amdhsa_system_sgpr_private_segment_wavefront_offset 0
		.amdhsa_system_sgpr_workgroup_id_x 1
		.amdhsa_system_sgpr_workgroup_id_y 0
		.amdhsa_system_sgpr_workgroup_id_z 0
		.amdhsa_system_sgpr_workgroup_info 0
		.amdhsa_system_vgpr_workitem_id 0
		.amdhsa_next_free_vgpr 11
		.amdhsa_next_free_sgpr 7
		.amdhsa_accum_offset 12
		.amdhsa_reserve_vcc 1
		.amdhsa_reserve_flat_scratch 0
		.amdhsa_float_round_mode_32 0
		.amdhsa_float_round_mode_16_64 0
		.amdhsa_float_denorm_mode_32 3
		.amdhsa_float_denorm_mode_16_64 3
		.amdhsa_dx10_clamp 1
		.amdhsa_ieee_mode 1
		.amdhsa_fp16_overflow 0
		.amdhsa_tg_split 0
		.amdhsa_exception_fp_ieee_invalid_op 0
		.amdhsa_exception_fp_denorm_src 0
		.amdhsa_exception_fp_ieee_div_zero 0
		.amdhsa_exception_fp_ieee_overflow 0
		.amdhsa_exception_fp_ieee_underflow 0
		.amdhsa_exception_fp_ieee_inexact 0
		.amdhsa_exception_int_div_zero 0
	.end_amdhsa_kernel
	.section	.text._ZL16dequantize_blockILi32ELi2EXadL_ZL15dequantize_q5_1PKviiR7__half2EEN3c104HalfEEvS1_PT2_l,"axG",@progbits,_ZL16dequantize_blockILi32ELi2EXadL_ZL15dequantize_q5_1PKviiR7__half2EEN3c104HalfEEvS1_PT2_l,comdat
.Lfunc_end22:
	.size	_ZL16dequantize_blockILi32ELi2EXadL_ZL15dequantize_q5_1PKviiR7__half2EEN3c104HalfEEvS1_PT2_l, .Lfunc_end22-_ZL16dequantize_blockILi32ELi2EXadL_ZL15dequantize_q5_1PKviiR7__half2EEN3c104HalfEEvS1_PT2_l
                                        ; -- End function
	.section	.AMDGPU.csdata,"",@progbits
; Kernel info:
; codeLenInByte = 304
; NumSgprs: 11
; NumVgprs: 11
; NumAgprs: 0
; TotalNumVgprs: 11
; ScratchSize: 0
; MemoryBound: 0
; FloatMode: 240
; IeeeMode: 1
; LDSByteSize: 0 bytes/workgroup (compile time only)
; SGPRBlocks: 1
; VGPRBlocks: 1
; NumSGPRsForWavesPerEU: 11
; NumVGPRsForWavesPerEU: 11
; AccumOffset: 12
; Occupancy: 8
; WaveLimiterHint : 0
; COMPUTE_PGM_RSRC2:SCRATCH_EN: 0
; COMPUTE_PGM_RSRC2:USER_SGPR: 6
; COMPUTE_PGM_RSRC2:TRAP_HANDLER: 0
; COMPUTE_PGM_RSRC2:TGID_X_EN: 1
; COMPUTE_PGM_RSRC2:TGID_Y_EN: 0
; COMPUTE_PGM_RSRC2:TGID_Z_EN: 0
; COMPUTE_PGM_RSRC2:TIDIG_COMP_CNT: 0
; COMPUTE_PGM_RSRC3_GFX90A:ACCUM_OFFSET: 2
; COMPUTE_PGM_RSRC3_GFX90A:TG_SPLIT: 0
	.section	.text._ZL16dequantize_blockILi32ELi1EXadL_ZL15dequantize_q8_0PKviiR7__half2EEN3c104HalfEEvS1_PT2_l,"axG",@progbits,_ZL16dequantize_blockILi32ELi1EXadL_ZL15dequantize_q8_0PKviiR7__half2EEN3c104HalfEEvS1_PT2_l,comdat
	.globl	_ZL16dequantize_blockILi32ELi1EXadL_ZL15dequantize_q8_0PKviiR7__half2EEN3c104HalfEEvS1_PT2_l ; -- Begin function _ZL16dequantize_blockILi32ELi1EXadL_ZL15dequantize_q8_0PKviiR7__half2EEN3c104HalfEEvS1_PT2_l
	.p2align	8
	.type	_ZL16dequantize_blockILi32ELi1EXadL_ZL15dequantize_q8_0PKviiR7__half2EEN3c104HalfEEvS1_PT2_l,@function
_ZL16dequantize_blockILi32ELi1EXadL_ZL15dequantize_q8_0PKviiR7__half2EEN3c104HalfEEvS1_PT2_l: ; @_ZL16dequantize_blockILi32ELi1EXadL_ZL15dequantize_q8_0PKviiR7__half2EEN3c104HalfEEvS1_PT2_l
; %bb.0:
	s_load_dword s2, s[4:5], 0x24
	s_load_dwordx2 s[0:1], s[4:5], 0x10
	v_mov_b32_e32 v1, 0
	v_mov_b32_e32 v2, s6
	s_waitcnt lgkmcnt(0)
	s_and_b32 s2, s2, 0xffff
	v_mad_u64_u32 v[2:3], s[2:3], s2, v2, v[0:1]
	v_lshlrev_b64 v[4:5], 1, v[2:3]
	v_cmp_gt_i64_e32 vcc, s[0:1], v[4:5]
	s_and_saveexec_b64 s[0:1], vcc
	s_cbranch_execz .LBB23_2
; %bb.1:
	s_load_dwordx4 s[0:3], s[4:5], 0x0
	v_alignbit_b32 v3, v3, v2, 4
	v_and_b32_e32 v0, 30, v4
	s_waitcnt lgkmcnt(0)
	v_mad_i64_i32 v[4:5], s[0:1], v3, 34, s[0:1]
	v_add_co_u32_e32 v6, vcc, v4, v0
	v_addc_co_u32_e32 v7, vcc, 0, v5, vcc
	global_load_ushort v8, v[6:7], off offset:2
	global_load_ushort v9, v[4:5], off
	v_lshlrev_b32_e32 v3, 1, v2
	v_mov_b32_e32 v2, v1
	v_ashrrev_i64 v[0:1], 31, v[2:3]
	v_mov_b32_e32 v2, s3
	v_add_co_u32_e32 v0, vcc, s2, v0
	v_addc_co_u32_e32 v1, vcc, v2, v1, vcc
	s_waitcnt vmcnt(1)
	v_cvt_f16_i16_sdwa v2, sext(v8) dst_sel:DWORD dst_unused:UNUSED_PAD src0_sel:BYTE_0
	v_cvt_f16_i16_sdwa v3, sext(v8) dst_sel:DWORD dst_unused:UNUSED_PAD src0_sel:BYTE_1
	v_pack_b32_f16 v2, v2, v3
	s_waitcnt vmcnt(0)
	v_pk_mul_f16 v2, v9, v2 op_sel_hi:[0,1]
	global_store_short v[0:1], v2, off
	global_store_short_d16_hi v[0:1], v2, off offset:2
.LBB23_2:
	s_endpgm
	.section	.rodata,"a",@progbits
	.p2align	6, 0x0
	.amdhsa_kernel _ZL16dequantize_blockILi32ELi1EXadL_ZL15dequantize_q8_0PKviiR7__half2EEN3c104HalfEEvS1_PT2_l
		.amdhsa_group_segment_fixed_size 0
		.amdhsa_private_segment_fixed_size 0
		.amdhsa_kernarg_size 280
		.amdhsa_user_sgpr_count 6
		.amdhsa_user_sgpr_private_segment_buffer 1
		.amdhsa_user_sgpr_dispatch_ptr 0
		.amdhsa_user_sgpr_queue_ptr 0
		.amdhsa_user_sgpr_kernarg_segment_ptr 1
		.amdhsa_user_sgpr_dispatch_id 0
		.amdhsa_user_sgpr_flat_scratch_init 0
		.amdhsa_user_sgpr_kernarg_preload_length 0
		.amdhsa_user_sgpr_kernarg_preload_offset 0
		.amdhsa_user_sgpr_private_segment_size 0
		.amdhsa_uses_dynamic_stack 0
		.amdhsa_system_sgpr_private_segment_wavefront_offset 0
		.amdhsa_system_sgpr_workgroup_id_x 1
		.amdhsa_system_sgpr_workgroup_id_y 0
		.amdhsa_system_sgpr_workgroup_id_z 0
		.amdhsa_system_sgpr_workgroup_info 0
		.amdhsa_system_vgpr_workitem_id 0
		.amdhsa_next_free_vgpr 10
		.amdhsa_next_free_sgpr 7
		.amdhsa_accum_offset 12
		.amdhsa_reserve_vcc 1
		.amdhsa_reserve_flat_scratch 0
		.amdhsa_float_round_mode_32 0
		.amdhsa_float_round_mode_16_64 0
		.amdhsa_float_denorm_mode_32 3
		.amdhsa_float_denorm_mode_16_64 3
		.amdhsa_dx10_clamp 1
		.amdhsa_ieee_mode 1
		.amdhsa_fp16_overflow 0
		.amdhsa_tg_split 0
		.amdhsa_exception_fp_ieee_invalid_op 0
		.amdhsa_exception_fp_denorm_src 0
		.amdhsa_exception_fp_ieee_div_zero 0
		.amdhsa_exception_fp_ieee_overflow 0
		.amdhsa_exception_fp_ieee_underflow 0
		.amdhsa_exception_fp_ieee_inexact 0
		.amdhsa_exception_int_div_zero 0
	.end_amdhsa_kernel
	.section	.text._ZL16dequantize_blockILi32ELi1EXadL_ZL15dequantize_q8_0PKviiR7__half2EEN3c104HalfEEvS1_PT2_l,"axG",@progbits,_ZL16dequantize_blockILi32ELi1EXadL_ZL15dequantize_q8_0PKviiR7__half2EEN3c104HalfEEvS1_PT2_l,comdat
.Lfunc_end23:
	.size	_ZL16dequantize_blockILi32ELi1EXadL_ZL15dequantize_q8_0PKviiR7__half2EEN3c104HalfEEvS1_PT2_l, .Lfunc_end23-_ZL16dequantize_blockILi32ELi1EXadL_ZL15dequantize_q8_0PKviiR7__half2EEN3c104HalfEEvS1_PT2_l
                                        ; -- End function
	.section	.AMDGPU.csdata,"",@progbits
; Kernel info:
; codeLenInByte = 208
; NumSgprs: 11
; NumVgprs: 10
; NumAgprs: 0
; TotalNumVgprs: 10
; ScratchSize: 0
; MemoryBound: 0
; FloatMode: 240
; IeeeMode: 1
; LDSByteSize: 0 bytes/workgroup (compile time only)
; SGPRBlocks: 1
; VGPRBlocks: 1
; NumSGPRsForWavesPerEU: 11
; NumVGPRsForWavesPerEU: 10
; AccumOffset: 12
; Occupancy: 8
; WaveLimiterHint : 0
; COMPUTE_PGM_RSRC2:SCRATCH_EN: 0
; COMPUTE_PGM_RSRC2:USER_SGPR: 6
; COMPUTE_PGM_RSRC2:TRAP_HANDLER: 0
; COMPUTE_PGM_RSRC2:TGID_X_EN: 1
; COMPUTE_PGM_RSRC2:TGID_Y_EN: 0
; COMPUTE_PGM_RSRC2:TGID_Z_EN: 0
; COMPUTE_PGM_RSRC2:TIDIG_COMP_CNT: 0
; COMPUTE_PGM_RSRC3_GFX90A:ACCUM_OFFSET: 2
; COMPUTE_PGM_RSRC3_GFX90A:TG_SPLIT: 0
	.section	.text._ZL21dequantize_block_q2_KIN3c104HalfEEvPKvPT_,"axG",@progbits,_ZL21dequantize_block_q2_KIN3c104HalfEEvPKvPT_,comdat
	.globl	_ZL21dequantize_block_q2_KIN3c104HalfEEvPKvPT_ ; -- Begin function _ZL21dequantize_block_q2_KIN3c104HalfEEvPKvPT_
	.p2align	8
	.type	_ZL21dequantize_block_q2_KIN3c104HalfEEvPKvPT_,@function
_ZL21dequantize_block_q2_KIN3c104HalfEEvPKvPT_: ; @_ZL21dequantize_block_q2_KIN3c104HalfEEvPKvPT_
; %bb.0:
	s_load_dwordx4 s[0:3], s[4:5], 0x0
	s_mul_i32 s5, s6, 0x54
	v_lshrrev_b32_e32 v1, 5, v0
	v_bfe_u32 v2, v0, 4, 1
	s_mul_hi_u32 s4, s6, 0x54
	s_waitcnt lgkmcnt(0)
	s_add_u32 s0, s0, s5
	v_lshl_or_b32 v2, v1, 3, v2
	s_addc_u32 s1, s1, s4
	global_load_ubyte v3, v2, s[0:1]
	global_load_ubyte v4, v0, s[0:1] offset:16
	global_load_ubyte v5, v2, s[0:1] offset:2
	;; [unrolled: 1-line block ×4, first 2 shown]
	s_load_dword s4, s[0:1], 0x50
	s_mov_b32 s1, 0
	s_lshl_b32 s0, s6, 8
	s_lshl_b64 s[0:1], s[0:1], 1
	s_add_u32 s0, s2, s0
	v_lshlrev_b32_e32 v1, 8, v1
	s_addc_u32 s1, s3, s1
	v_and_b32_e32 v0, 31, v0
	v_mov_b32_e32 v2, s1
	v_add_co_u32_e32 v1, vcc, s0, v1
	v_lshlrev_b32_e32 v0, 1, v0
	v_addc_co_u32_e32 v2, vcc, 0, v2, vcc
	v_add_co_u32_e32 v0, vcc, v1, v0
	v_addc_co_u32_e32 v1, vcc, 0, v2, vcc
	s_waitcnt lgkmcnt(0)
	s_lshr_b32 s0, s4, 16
	s_waitcnt vmcnt(4)
	v_and_b32_e32 v2, 15, v3
	s_waitcnt vmcnt(3)
	v_and_b32_e32 v8, 3, v4
	;; [unrolled: 2-line block ×3, first 2 shown]
	v_bfe_u32 v10, v4, 2, 2
	s_waitcnt vmcnt(1)
	v_and_b32_e32 v11, 15, v6
	v_bfe_u32 v12, v4, 4, 2
	s_waitcnt vmcnt(0)
	v_and_b32_e32 v13, 15, v7
	v_lshrrev_b32_e32 v4, 6, v4
	v_mul_u32_u24_sdwa v2, v8, v2 dst_sel:DWORD dst_unused:UNUSED_PAD src0_sel:DWORD src1_sel:WORD_0
	v_mul_u32_u24_sdwa v8, v10, v9 dst_sel:DWORD dst_unused:UNUSED_PAD src0_sel:DWORD src1_sel:WORD_0
	;; [unrolled: 1-line block ×4, first 2 shown]
	v_cvt_f32_ubyte0_e32 v2, v2
	v_cvt_f32_ubyte0_e32 v8, v8
	;; [unrolled: 1-line block ×4, first 2 shown]
	v_cvt_f16_f32_e32 v2, v2
	v_lshrrev_b16_e32 v3, 4, v3
	v_cvt_f16_f32_e32 v8, v8
	v_cvt_f16_f32_e32 v9, v9
	;; [unrolled: 1-line block ×3, first 2 shown]
	v_lshrrev_b16_e32 v5, 4, v5
	v_lshrrev_b16_e32 v6, 4, v6
	;; [unrolled: 1-line block ×3, first 2 shown]
	v_cvt_f16_u16_e32 v3, v3
	v_cvt_f16_u16_e32 v5, v5
	;; [unrolled: 1-line block ×4, first 2 shown]
	v_mul_f16_e32 v3, s0, v3
	v_mul_f16_e32 v5, s0, v5
	v_mul_f16_e32 v6, s0, v6
	v_mul_f16_e32 v7, s0, v7
	v_fma_f16 v2, s4, v2, -v3
	v_fma_f16 v3, s4, v8, -v5
	;; [unrolled: 1-line block ×4, first 2 shown]
	global_store_short v[0:1], v2, off
	global_store_short v[0:1], v3, off offset:64
	global_store_short v[0:1], v5, off offset:128
	;; [unrolled: 1-line block ×3, first 2 shown]
	s_endpgm
	.section	.rodata,"a",@progbits
	.p2align	6, 0x0
	.amdhsa_kernel _ZL21dequantize_block_q2_KIN3c104HalfEEvPKvPT_
		.amdhsa_group_segment_fixed_size 0
		.amdhsa_private_segment_fixed_size 0
		.amdhsa_kernarg_size 16
		.amdhsa_user_sgpr_count 6
		.amdhsa_user_sgpr_private_segment_buffer 1
		.amdhsa_user_sgpr_dispatch_ptr 0
		.amdhsa_user_sgpr_queue_ptr 0
		.amdhsa_user_sgpr_kernarg_segment_ptr 1
		.amdhsa_user_sgpr_dispatch_id 0
		.amdhsa_user_sgpr_flat_scratch_init 0
		.amdhsa_user_sgpr_kernarg_preload_length 0
		.amdhsa_user_sgpr_kernarg_preload_offset 0
		.amdhsa_user_sgpr_private_segment_size 0
		.amdhsa_uses_dynamic_stack 0
		.amdhsa_system_sgpr_private_segment_wavefront_offset 0
		.amdhsa_system_sgpr_workgroup_id_x 1
		.amdhsa_system_sgpr_workgroup_id_y 0
		.amdhsa_system_sgpr_workgroup_id_z 0
		.amdhsa_system_sgpr_workgroup_info 0
		.amdhsa_system_vgpr_workitem_id 0
		.amdhsa_next_free_vgpr 14
		.amdhsa_next_free_sgpr 7
		.amdhsa_accum_offset 16
		.amdhsa_reserve_vcc 1
		.amdhsa_reserve_flat_scratch 0
		.amdhsa_float_round_mode_32 0
		.amdhsa_float_round_mode_16_64 0
		.amdhsa_float_denorm_mode_32 3
		.amdhsa_float_denorm_mode_16_64 3
		.amdhsa_dx10_clamp 1
		.amdhsa_ieee_mode 1
		.amdhsa_fp16_overflow 0
		.amdhsa_tg_split 0
		.amdhsa_exception_fp_ieee_invalid_op 0
		.amdhsa_exception_fp_denorm_src 0
		.amdhsa_exception_fp_ieee_div_zero 0
		.amdhsa_exception_fp_ieee_overflow 0
		.amdhsa_exception_fp_ieee_underflow 0
		.amdhsa_exception_fp_ieee_inexact 0
		.amdhsa_exception_int_div_zero 0
	.end_amdhsa_kernel
	.section	.text._ZL21dequantize_block_q2_KIN3c104HalfEEvPKvPT_,"axG",@progbits,_ZL21dequantize_block_q2_KIN3c104HalfEEvPKvPT_,comdat
.Lfunc_end24:
	.size	_ZL21dequantize_block_q2_KIN3c104HalfEEvPKvPT_, .Lfunc_end24-_ZL21dequantize_block_q2_KIN3c104HalfEEvPKvPT_
                                        ; -- End function
	.section	.AMDGPU.csdata,"",@progbits
; Kernel info:
; codeLenInByte = 404
; NumSgprs: 11
; NumVgprs: 14
; NumAgprs: 0
; TotalNumVgprs: 14
; ScratchSize: 0
; MemoryBound: 0
; FloatMode: 240
; IeeeMode: 1
; LDSByteSize: 0 bytes/workgroup (compile time only)
; SGPRBlocks: 1
; VGPRBlocks: 1
; NumSGPRsForWavesPerEU: 11
; NumVGPRsForWavesPerEU: 14
; AccumOffset: 16
; Occupancy: 8
; WaveLimiterHint : 0
; COMPUTE_PGM_RSRC2:SCRATCH_EN: 0
; COMPUTE_PGM_RSRC2:USER_SGPR: 6
; COMPUTE_PGM_RSRC2:TRAP_HANDLER: 0
; COMPUTE_PGM_RSRC2:TGID_X_EN: 1
; COMPUTE_PGM_RSRC2:TGID_Y_EN: 0
; COMPUTE_PGM_RSRC2:TGID_Z_EN: 0
; COMPUTE_PGM_RSRC2:TIDIG_COMP_CNT: 0
; COMPUTE_PGM_RSRC3_GFX90A:ACCUM_OFFSET: 3
; COMPUTE_PGM_RSRC3_GFX90A:TG_SPLIT: 0
	.section	.text._ZL21dequantize_block_q3_KIN3c104HalfEEvPKvPT_,"axG",@progbits,_ZL21dequantize_block_q3_KIN3c104HalfEEvPKvPT_,comdat
	.globl	_ZL21dequantize_block_q3_KIN3c104HalfEEvPKvPT_ ; -- Begin function _ZL21dequantize_block_q3_KIN3c104HalfEEvPKvPT_
	.p2align	8
	.type	_ZL21dequantize_block_q3_KIN3c104HalfEEvPKvPT_,@function
_ZL21dequantize_block_q3_KIN3c104HalfEEvPKvPT_: ; @_ZL21dequantize_block_q3_KIN3c104HalfEEvPKvPT_
; %bb.0:
	v_lshrrev_b32_e32 v4, 5, v0
	v_lshrrev_b32_e32 v6, 3, v0
	v_lshlrev_b32_e32 v1, 2, v4
	s_load_dwordx4 s[0:3], s[4:5], 0x0
	v_sub_u32_e32 v5, v6, v1
	v_lshlrev_b32_e32 v1, 1, v5
	v_bfe_u32 v8, v0, 2, 1
	v_lshl_add_u32 v11, v4, 3, v1
	v_or_b32_e32 v10, v11, v8
	v_cmp_lt_i32_e32 vcc, 3, v10
                                        ; implicit-def: $vgpr2_vgpr3
                                        ; implicit-def: $vgpr7
                                        ; implicit-def: $vgpr9
	s_and_saveexec_b64 s[4:5], vcc
	s_xor_b64 s[4:5], exec, s[4:5]
	s_cbranch_execz .LBB25_10
; %bb.1:
	v_cmp_lt_u32_e32 vcc, 7, v11
                                        ; implicit-def: $vgpr2_vgpr3
                                        ; implicit-def: $vgpr7
                                        ; implicit-def: $vgpr9
	s_and_saveexec_b64 s[8:9], vcc
	s_xor_b64 s[8:9], exec, s[8:9]
	s_cbranch_execz .LBB25_7
; %bb.2:
	s_mul_i32 s13, s6, 0x6e
	s_mul_hi_u32 s12, s6, 0x6e
	s_waitcnt lgkmcnt(0)
	s_add_u32 s10, s0, s13
	v_add_u32_e32 v2, -8, v10
	s_addc_u32 s11, s1, s12
	global_load_ubyte v2, v2, s[10:11] offset:96
	v_cmp_lt_u32_e32 vcc, 11, v11
	s_mov_b32 s7, 0
                                        ; implicit-def: $vgpr9
	s_waitcnt vmcnt(0)
	v_lshrrev_b16_e32 v7, 4, v2
	s_and_saveexec_b64 s[10:11], vcc
	s_xor_b64 s[10:11], exec, s[10:11]
	s_cbranch_execz .LBB25_4
; %bb.3:
	s_add_u32 s14, s0, s13
	v_add_u32_e32 v2, -4, v10
	s_addc_u32 s15, s1, s12
	global_load_ubyte v2, v2, s[14:15] offset:96
                                        ; implicit-def: $vgpr10
	s_waitcnt vmcnt(0)
	v_lshrrev_b16_e32 v9, 2, v2
.LBB25_4:
	s_or_saveexec_b64 s[10:11], s[10:11]
	v_pk_mov_b32 v[2:3], s[6:7], s[6:7] op_sel:[0,1]
	s_xor_b64 exec, exec, s[10:11]
	s_cbranch_execz .LBB25_6
; %bb.5:
	s_add_u32 s14, s0, s13
	s_addc_u32 s15, s1, s12
	global_load_ubyte v9, v10, s[14:15] offset:96
	v_pk_mov_b32 v[2:3], s[6:7], s[6:7] op_sel:[0,1]
.LBB25_6:
	s_or_b64 exec, exec, s[10:11]
                                        ; implicit-def: $vgpr10
.LBB25_7:
	s_andn2_saveexec_b64 s[8:9], s[8:9]
	s_cbranch_execz .LBB25_9
; %bb.8:
	s_mul_i32 s10, s6, 0x6e
	s_mul_hi_u32 s7, s6, 0x6e
	s_waitcnt lgkmcnt(0)
	s_add_u32 s10, s0, s10
	s_addc_u32 s11, s1, s7
	global_load_ubyte v2, v10, s[10:11] offset:96
	global_load_ubyte v3, v10, s[10:11] offset:100
	s_mov_b32 s7, 0
	s_waitcnt vmcnt(1)
	v_and_b32_e32 v7, 15, v2
	s_waitcnt vmcnt(0)
	v_lshlrev_b16_e32 v9, 2, v3
	v_pk_mov_b32 v[2:3], s[6:7], s[6:7] op_sel:[0,1]
.LBB25_9:
	s_or_b64 exec, exec, s[8:9]
                                        ; implicit-def: $vgpr10
.LBB25_10:
	s_andn2_saveexec_b64 s[4:5], s[4:5]
	s_cbranch_execz .LBB25_12
; %bb.11:
	s_mul_i32 s8, s6, 0x6e
	s_mul_hi_u32 s7, s6, 0x6e
	s_waitcnt lgkmcnt(0)
	s_add_u32 s8, s0, s8
	s_addc_u32 s7, s1, s7
	v_ashrrev_i32_e32 v3, 31, v10
	v_mov_b32_e32 v7, s7
	v_add_co_u32_e32 v2, vcc, s8, v10
	v_addc_co_u32_e32 v3, vcc, v7, v3, vcc
	global_load_ubyte v7, v[2:3], off offset:96
	global_load_ubyte v9, v[2:3], off offset:104
	s_mov_b32 s7, 0
	v_pk_mov_b32 v[2:3], s[6:7], s[6:7] op_sel:[0,1]
	s_waitcnt vmcnt(1)
	v_and_b32_e32 v7, 15, v7
	s_waitcnt vmcnt(0)
	v_lshlrev_b16_e32 v9, 4, v9
.LBB25_12:
	s_or_b64 exec, exec, s[4:5]
	v_lshlrev_b32_e32 v10, 2, v0
	v_and_b32_e32 v10, 12, v10
	v_lshl_or_b32 v8, v8, 4, v10
	s_movk_i32 s4, 0x6e
	s_waitcnt lgkmcnt(0)
	v_pk_mov_b32 v[10:11], s[0:1], s[0:1] op_sel:[0,1]
	v_mad_u64_u32 v[10:11], s[0:1], v2, s4, v[10:11]
	v_mov_b32_e32 v2, v11
	v_mad_u64_u32 v[2:3], s[0:1], v3, s4, v[2:3]
	v_mov_b32_e32 v11, v2
	v_add_co_u32_e32 v2, vcc, v10, v8
	v_and_b32_e32 v0, 0x3e0, v0
	v_addc_co_u32_e32 v3, vcc, 0, v11, vcc
	v_add_co_u32_e32 v12, vcc, v2, v0
	v_addc_co_u32_e32 v13, vcc, 0, v3, vcc
	global_load_dword v0, v[12:13], off offset:32
	global_load_dword v14, v[2:3], off
	global_load_ushort v15, v[10:11], off offset:108
	s_waitcnt vmcnt(3)
	v_and_b32_e32 v3, 48, v9
	s_lshl_b32 s0, s6, 8
	s_mov_b32 s1, 0
	v_mov_b32_e32 v9, 32
	v_or_b32_e32 v7, v3, v7
	s_lshl_b64 s[0:1], s[0:1], 1
	v_sub_u32_sdwa v7, v7, v9 dst_sel:DWORD dst_unused:UNUSED_PAD src0_sel:BYTE_0 src1_sel:DWORD
	s_add_u32 s0, s2, s0
	v_lshlrev_b32_e32 v4, 8, v4
	v_lshlrev_b32_e32 v2, 5, v5
	v_cvt_f32_i32_e32 v7, v7
	s_addc_u32 s1, s3, s1
	v_ashrrev_i32_e32 v3, 31, v2
	v_mov_b32_e32 v9, s1
	v_add_co_u32_e32 v4, vcc, s0, v4
	v_lshlrev_b64 v[2:3], 1, v[2:3]
	v_addc_co_u32_e32 v9, vcc, 0, v9, vcc
	v_lshlrev_b32_e64 v6, v6, 1
	v_add_co_u32_e32 v2, vcc, v4, v2
	v_mov_b32_e32 v5, 0
	v_addc_co_u32_e32 v3, vcc, v9, v3, vcc
	v_cvt_f16_f32_e32 v4, v7
	v_lshlrev_b32_e32 v8, 1, v8
	s_waitcnt vmcnt(2)
	v_lshrrev_b32_sdwa v7, v1, v0 dst_sel:DWORD dst_unused:UNUSED_PAD src0_sel:DWORD src1_sel:BYTE_0
	v_lshrrev_b32_sdwa v9, v1, v0 dst_sel:DWORD dst_unused:UNUSED_PAD src0_sel:DWORD src1_sel:BYTE_1
	v_lshrrev_b32_sdwa v10, v1, v0 dst_sel:DWORD dst_unused:UNUSED_PAD src0_sel:DWORD src1_sel:BYTE_3
	v_lshrrev_b32_sdwa v0, v1, v0 dst_sel:DWORD dst_unused:UNUSED_PAD src0_sel:DWORD src1_sel:BYTE_2
	s_waitcnt vmcnt(1)
	v_and_b32_e32 v1, v14, v6
	v_and_b32_sdwa v11, v14, v6 dst_sel:DWORD dst_unused:UNUSED_PAD src0_sel:WORD_1 src1_sel:DWORD
	v_and_b32_sdwa v12, v6, v14 dst_sel:DWORD dst_unused:UNUSED_PAD src0_sel:DWORD src1_sel:BYTE_3
	v_and_b32_sdwa v6, v6, v14 dst_sel:DWORD dst_unused:UNUSED_PAD src0_sel:DWORD src1_sel:BYTE_1
	v_cmp_ne_u32_sdwa s[0:1], v1, v5 src0_sel:BYTE_0 src1_sel:DWORD
	v_cmp_ne_u32_e32 vcc, 0, v6
	v_cndmask_b32_e64 v1, -4, 0, s[0:1]
	v_cndmask_b32_e64 v6, -4, 0, vcc
	v_cmp_ne_u32_e32 vcc, 0, v12
	v_cmp_ne_u32_sdwa s[0:1], v11, v5 src0_sel:BYTE_0 src1_sel:DWORD
	v_cndmask_b32_e64 v12, -4, 0, vcc
	v_cndmask_b32_e64 v5, -4, 0, s[0:1]
	v_and_or_b32 v0, v0, 3, v5
	v_and_or_b32 v5, v10, 3, v12
	v_and_or_b32 v6, v9, 3, v6
	v_and_or_b32 v1, v7, 3, v1
	v_cvt_f32_i32_e32 v1, v1
	v_cvt_f32_i32_e32 v6, v6
	;; [unrolled: 1-line block ×4, first 2 shown]
	v_cvt_f16_f32_e32 v7, v1
	v_cvt_f16_f32_e32 v6, v6
	;; [unrolled: 1-line block ×4, first 2 shown]
	v_add_co_u32_e32 v0, vcc, v2, v8
	v_addc_co_u32_e32 v1, vcc, 0, v3, vcc
	s_waitcnt vmcnt(0)
	v_mul_f16_e32 v2, v15, v4
	v_pack_b32_f16 v3, v9, v5
	v_pack_b32_f16 v4, v7, v6
	v_pk_mul_f16 v3, v2, v3 op_sel_hi:[0,1]
	v_pk_mul_f16 v2, v2, v4 op_sel_hi:[0,1]
	global_store_dwordx2 v[0:1], v[2:3], off
	s_endpgm
	.section	.rodata,"a",@progbits
	.p2align	6, 0x0
	.amdhsa_kernel _ZL21dequantize_block_q3_KIN3c104HalfEEvPKvPT_
		.amdhsa_group_segment_fixed_size 0
		.amdhsa_private_segment_fixed_size 0
		.amdhsa_kernarg_size 16
		.amdhsa_user_sgpr_count 6
		.amdhsa_user_sgpr_private_segment_buffer 1
		.amdhsa_user_sgpr_dispatch_ptr 0
		.amdhsa_user_sgpr_queue_ptr 0
		.amdhsa_user_sgpr_kernarg_segment_ptr 1
		.amdhsa_user_sgpr_dispatch_id 0
		.amdhsa_user_sgpr_flat_scratch_init 0
		.amdhsa_user_sgpr_kernarg_preload_length 0
		.amdhsa_user_sgpr_kernarg_preload_offset 0
		.amdhsa_user_sgpr_private_segment_size 0
		.amdhsa_uses_dynamic_stack 0
		.amdhsa_system_sgpr_private_segment_wavefront_offset 0
		.amdhsa_system_sgpr_workgroup_id_x 1
		.amdhsa_system_sgpr_workgroup_id_y 0
		.amdhsa_system_sgpr_workgroup_id_z 0
		.amdhsa_system_sgpr_workgroup_info 0
		.amdhsa_system_vgpr_workitem_id 0
		.amdhsa_next_free_vgpr 16
		.amdhsa_next_free_sgpr 16
		.amdhsa_accum_offset 16
		.amdhsa_reserve_vcc 1
		.amdhsa_reserve_flat_scratch 0
		.amdhsa_float_round_mode_32 0
		.amdhsa_float_round_mode_16_64 0
		.amdhsa_float_denorm_mode_32 3
		.amdhsa_float_denorm_mode_16_64 3
		.amdhsa_dx10_clamp 1
		.amdhsa_ieee_mode 1
		.amdhsa_fp16_overflow 0
		.amdhsa_tg_split 0
		.amdhsa_exception_fp_ieee_invalid_op 0
		.amdhsa_exception_fp_denorm_src 0
		.amdhsa_exception_fp_ieee_div_zero 0
		.amdhsa_exception_fp_ieee_overflow 0
		.amdhsa_exception_fp_ieee_underflow 0
		.amdhsa_exception_fp_ieee_inexact 0
		.amdhsa_exception_int_div_zero 0
	.end_amdhsa_kernel
	.section	.text._ZL21dequantize_block_q3_KIN3c104HalfEEvPKvPT_,"axG",@progbits,_ZL21dequantize_block_q3_KIN3c104HalfEEvPKvPT_,comdat
.Lfunc_end25:
	.size	_ZL21dequantize_block_q3_KIN3c104HalfEEvPKvPT_, .Lfunc_end25-_ZL21dequantize_block_q3_KIN3c104HalfEEvPKvPT_
                                        ; -- End function
	.section	.AMDGPU.csdata,"",@progbits
; Kernel info:
; codeLenInByte = 868
; NumSgprs: 20
; NumVgprs: 16
; NumAgprs: 0
; TotalNumVgprs: 16
; ScratchSize: 0
; MemoryBound: 0
; FloatMode: 240
; IeeeMode: 1
; LDSByteSize: 0 bytes/workgroup (compile time only)
; SGPRBlocks: 2
; VGPRBlocks: 1
; NumSGPRsForWavesPerEU: 20
; NumVGPRsForWavesPerEU: 16
; AccumOffset: 16
; Occupancy: 8
; WaveLimiterHint : 0
; COMPUTE_PGM_RSRC2:SCRATCH_EN: 0
; COMPUTE_PGM_RSRC2:USER_SGPR: 6
; COMPUTE_PGM_RSRC2:TRAP_HANDLER: 0
; COMPUTE_PGM_RSRC2:TGID_X_EN: 1
; COMPUTE_PGM_RSRC2:TGID_Y_EN: 0
; COMPUTE_PGM_RSRC2:TGID_Z_EN: 0
; COMPUTE_PGM_RSRC2:TIDIG_COMP_CNT: 0
; COMPUTE_PGM_RSRC3_GFX90A:ACCUM_OFFSET: 3
; COMPUTE_PGM_RSRC3_GFX90A:TG_SPLIT: 0
	.section	.text._ZL21dequantize_block_q4_KIN3c104HalfEEvPKvPT_,"axG",@progbits,_ZL21dequantize_block_q4_KIN3c104HalfEEvPKvPT_,comdat
	.globl	_ZL21dequantize_block_q4_KIN3c104HalfEEvPKvPT_ ; -- Begin function _ZL21dequantize_block_q4_KIN3c104HalfEEvPKvPT_
	.p2align	8
	.type	_ZL21dequantize_block_q4_KIN3c104HalfEEvPKvPT_,@function
_ZL21dequantize_block_q4_KIN3c104HalfEEvPKvPT_: ; @_ZL21dequantize_block_q4_KIN3c104HalfEEvPKvPT_
; %bb.0:
	s_load_dwordx2 s[0:1], s[4:5], 0x0
	s_mul_i32 s3, s6, 0x90
	v_lshrrev_b32_e32 v1, 3, v0
	s_mul_hi_u32 s2, s6, 0x90
	v_lshlrev_b32_e32 v2, 1, v1
	s_waitcnt lgkmcnt(0)
	s_add_u32 s8, s0, s3
	s_addc_u32 s9, s1, s2
	v_mov_b32_e32 v3, s9
	v_add_co_u32_e64 v4, s[0:1], s8, v2
	v_cmp_lt_u32_e32 vcc, 15, v0
	v_addc_co_u32_e64 v5, s[0:1], 0, v3, s[0:1]
                                        ; implicit-def: $vgpr7
                                        ; implicit-def: $vgpr6
	s_and_saveexec_b64 s[0:1], vcc
	s_xor_b64 s[0:1], exec, s[0:1]
	s_cbranch_execz .LBB26_2
; %bb.1:
	global_load_ubyte v3, v[4:5], off offset:8
	global_load_ubyte v6, v[4:5], off
	global_load_ubyte v7, v[4:5], off offset:4
	s_waitcnt vmcnt(2)
	v_and_b32_e32 v4, 15, v3
	s_waitcnt vmcnt(1)
	v_lshrrev_b16_e32 v5, 2, v6
	s_waitcnt vmcnt(0)
	v_lshrrev_b16_e32 v6, 2, v7
	v_lshrrev_b16_e32 v3, 4, v3
	v_and_b32_e32 v5, 48, v5
	v_and_b32_e32 v7, 48, v6
	v_or_b32_e32 v6, v5, v4
	v_or_b32_e32 v7, v7, v3
                                        ; implicit-def: $vgpr4_vgpr5
.LBB26_2:
	s_andn2_saveexec_b64 s[0:1], s[0:1]
	s_cbranch_execz .LBB26_4
; %bb.3:
	global_load_ubyte v3, v[4:5], off offset:4
	global_load_ubyte v7, v[4:5], off offset:8
	s_waitcnt vmcnt(1)
	v_and_b32_e32 v6, 63, v3
	s_waitcnt vmcnt(0)
	v_and_b32_e32 v7, 63, v7
.LBB26_4:
	s_or_b64 exec, exec, s[0:1]
	s_load_dwordx2 s[2:3], s[4:5], 0x8
	s_load_dword s7, s[8:9], 0x0
	s_add_u32 s0, s8, 4
	s_addc_u32 s1, s9, 0
	v_mov_b32_e32 v3, s1
	v_add_co_u32_e64 v2, s[0:1], s0, v2
	v_addc_co_u32_e64 v3, s[0:1], 0, v3, s[0:1]
                                        ; implicit-def: $vgpr5
                                        ; implicit-def: $vgpr4
	s_and_saveexec_b64 s[0:1], vcc
	s_xor_b64 s[0:1], exec, s[0:1]
	s_cbranch_execz .LBB26_6
; %bb.5:
	global_load_ubyte v4, v[2:3], off offset:5
	global_load_ubyte v5, v[2:3], off offset:-3
	global_load_ubyte v8, v[2:3], off offset:1
	s_waitcnt vmcnt(2)
	v_and_b32_e32 v2, 15, v4
	s_waitcnt vmcnt(1)
	v_lshrrev_b16_e32 v3, 2, v5
	v_lshrrev_b16_e32 v5, 4, v4
	s_waitcnt vmcnt(0)
	v_lshrrev_b16_e32 v4, 2, v8
	v_and_b32_e32 v3, 48, v3
	v_and_b32_e32 v8, 48, v4
	v_or_b32_e32 v4, v3, v2
	v_or_b32_e32 v5, v8, v5
                                        ; implicit-def: $vgpr2_vgpr3
.LBB26_6:
	s_andn2_saveexec_b64 s[0:1], s[0:1]
	s_cbranch_execz .LBB26_8
; %bb.7:
	global_load_ubyte v4, v[2:3], off offset:1
	global_load_ubyte v5, v[2:3], off offset:5
	s_waitcnt vmcnt(1)
	v_and_b32_e32 v4, 63, v4
	s_waitcnt vmcnt(0)
	v_and_b32_e32 v5, 63, v5
.LBB26_8:
	s_or_b64 exec, exec, s[0:1]
	v_lshlrev_b32_e32 v2, 5, v1
	v_mov_b32_e32 v3, s9
	v_add_co_u32_e32 v2, vcc, s8, v2
	v_lshlrev_b32_e32 v0, 2, v0
	v_addc_co_u32_e32 v3, vcc, 0, v3, vcc
	v_and_b32_e32 v0, 28, v0
	v_add_co_u32_e32 v2, vcc, v2, v0
	v_addc_co_u32_e32 v3, vcc, 0, v3, vcc
	global_load_dword v2, v[2:3], off offset:16
	s_mov_b32 s1, 0
	s_lshl_b32 s0, s6, 8
	s_waitcnt lgkmcnt(0)
	s_lshr_b32 s4, s7, 16
	s_lshl_b64 s[0:1], s[0:1], 1
	s_add_u32 s0, s2, s0
	v_lshlrev_b32_e32 v1, 7, v1
	s_addc_u32 s1, s3, s1
	v_mov_b32_e32 v9, s1
	v_add_co_u32_e32 v1, vcc, s0, v1
	v_lshlrev_b32_e32 v0, 1, v0
	v_addc_co_u32_e32 v9, vcc, 0, v9, vcc
	v_add_co_u32_e32 v0, vcc, v1, v0
	v_cvt_f16_u16_sdwa v3, v7 dst_sel:DWORD dst_unused:UNUSED_PAD src0_sel:BYTE_0
	v_mov_b32_e32 v7, 15
	v_mov_b32_e32 v8, 4
	v_addc_co_u32_e32 v1, vcc, 0, v9, vcc
	v_cvt_f16_u16_sdwa v6, v6 dst_sel:DWORD dst_unused:UNUSED_PAD src0_sel:BYTE_0
	v_cvt_f16_u16_sdwa v4, v4 dst_sel:DWORD dst_unused:UNUSED_PAD src0_sel:BYTE_0
	;; [unrolled: 1-line block ×3, first 2 shown]
	v_mul_f16_e32 v3, s4, v3
	v_mul_f16_e32 v6, s7, v6
	;; [unrolled: 1-line block ×4, first 2 shown]
	s_waitcnt vmcnt(0)
	v_lshrrev_b32_e32 v9, 8, v2
	v_and_b32_e32 v10, 15, v2
	v_lshrrev_b16_e32 v11, 4, v2
	v_and_b32_sdwa v12, v2, v7 dst_sel:DWORD dst_unused:UNUSED_PAD src0_sel:WORD_1 src1_sel:DWORD
	v_lshrrev_b32_e32 v13, 20, v2
	v_and_b32_sdwa v7, v2, v7 dst_sel:DWORD dst_unused:UNUSED_PAD src0_sel:BYTE_3 src1_sel:DWORD
	v_lshrrev_b16_sdwa v2, v8, v2 dst_sel:DWORD dst_unused:UNUSED_PAD src0_sel:DWORD src1_sel:BYTE_3
	v_cvt_f16_u16_e32 v8, v10
	v_and_b32_e32 v10, 15, v11
	v_and_b32_e32 v11, 15, v9
	v_lshrrev_b16_e32 v9, 4, v9
	v_cvt_f16_u16_e32 v12, v12
	v_and_b32_e32 v13, 15, v13
	v_cvt_f16_u16_e32 v7, v7
	v_cvt_f16_u16_e32 v2, v2
	;; [unrolled: 1-line block ×3, first 2 shown]
	v_and_b32_e32 v9, 15, v9
	v_fma_f16 v8, v6, v8, -v3
	v_cvt_f16_u16_e32 v10, v10
	v_fma_f16 v12, v6, v12, -v3
	v_cvt_f16_u16_e32 v13, v13
	v_fma_f16 v7, v6, v7, -v3
	v_fma_f16 v14, v4, v2, -v5
	;; [unrolled: 1-line block ×3, first 2 shown]
	v_cvt_f16_u16_e32 v6, v9
	v_fma_f16 v10, v4, v10, -v5
	v_fma_f16 v9, v4, v13, -v5
	;; [unrolled: 1-line block ×3, first 2 shown]
	v_pack_b32_f16 v3, v12, v7
	v_pack_b32_f16 v2, v8, v2
	;; [unrolled: 1-line block ×4, first 2 shown]
	global_store_dwordx2 v[0:1], v[2:3], off
	global_store_dwordx2 v[0:1], v[4:5], off offset:64
	s_endpgm
	.section	.rodata,"a",@progbits
	.p2align	6, 0x0
	.amdhsa_kernel _ZL21dequantize_block_q4_KIN3c104HalfEEvPKvPT_
		.amdhsa_group_segment_fixed_size 0
		.amdhsa_private_segment_fixed_size 0
		.amdhsa_kernarg_size 16
		.amdhsa_user_sgpr_count 6
		.amdhsa_user_sgpr_private_segment_buffer 1
		.amdhsa_user_sgpr_dispatch_ptr 0
		.amdhsa_user_sgpr_queue_ptr 0
		.amdhsa_user_sgpr_kernarg_segment_ptr 1
		.amdhsa_user_sgpr_dispatch_id 0
		.amdhsa_user_sgpr_flat_scratch_init 0
		.amdhsa_user_sgpr_kernarg_preload_length 0
		.amdhsa_user_sgpr_kernarg_preload_offset 0
		.amdhsa_user_sgpr_private_segment_size 0
		.amdhsa_uses_dynamic_stack 0
		.amdhsa_system_sgpr_private_segment_wavefront_offset 0
		.amdhsa_system_sgpr_workgroup_id_x 1
		.amdhsa_system_sgpr_workgroup_id_y 0
		.amdhsa_system_sgpr_workgroup_id_z 0
		.amdhsa_system_sgpr_workgroup_info 0
		.amdhsa_system_vgpr_workitem_id 0
		.amdhsa_next_free_vgpr 15
		.amdhsa_next_free_sgpr 10
		.amdhsa_accum_offset 16
		.amdhsa_reserve_vcc 1
		.amdhsa_reserve_flat_scratch 0
		.amdhsa_float_round_mode_32 0
		.amdhsa_float_round_mode_16_64 0
		.amdhsa_float_denorm_mode_32 3
		.amdhsa_float_denorm_mode_16_64 3
		.amdhsa_dx10_clamp 1
		.amdhsa_ieee_mode 1
		.amdhsa_fp16_overflow 0
		.amdhsa_tg_split 0
		.amdhsa_exception_fp_ieee_invalid_op 0
		.amdhsa_exception_fp_denorm_src 0
		.amdhsa_exception_fp_ieee_div_zero 0
		.amdhsa_exception_fp_ieee_overflow 0
		.amdhsa_exception_fp_ieee_underflow 0
		.amdhsa_exception_fp_ieee_inexact 0
		.amdhsa_exception_int_div_zero 0
	.end_amdhsa_kernel
	.section	.text._ZL21dequantize_block_q4_KIN3c104HalfEEvPKvPT_,"axG",@progbits,_ZL21dequantize_block_q4_KIN3c104HalfEEvPKvPT_,comdat
.Lfunc_end26:
	.size	_ZL21dequantize_block_q4_KIN3c104HalfEEvPKvPT_, .Lfunc_end26-_ZL21dequantize_block_q4_KIN3c104HalfEEvPKvPT_
                                        ; -- End function
	.section	.AMDGPU.csdata,"",@progbits
; Kernel info:
; codeLenInByte = 724
; NumSgprs: 14
; NumVgprs: 15
; NumAgprs: 0
; TotalNumVgprs: 15
; ScratchSize: 0
; MemoryBound: 0
; FloatMode: 240
; IeeeMode: 1
; LDSByteSize: 0 bytes/workgroup (compile time only)
; SGPRBlocks: 1
; VGPRBlocks: 1
; NumSGPRsForWavesPerEU: 14
; NumVGPRsForWavesPerEU: 15
; AccumOffset: 16
; Occupancy: 8
; WaveLimiterHint : 0
; COMPUTE_PGM_RSRC2:SCRATCH_EN: 0
; COMPUTE_PGM_RSRC2:USER_SGPR: 6
; COMPUTE_PGM_RSRC2:TRAP_HANDLER: 0
; COMPUTE_PGM_RSRC2:TGID_X_EN: 1
; COMPUTE_PGM_RSRC2:TGID_Y_EN: 0
; COMPUTE_PGM_RSRC2:TGID_Z_EN: 0
; COMPUTE_PGM_RSRC2:TIDIG_COMP_CNT: 0
; COMPUTE_PGM_RSRC3_GFX90A:ACCUM_OFFSET: 3
; COMPUTE_PGM_RSRC3_GFX90A:TG_SPLIT: 0
	.section	.text._ZL21dequantize_block_q5_KIN3c104HalfEEvPKvPT_,"axG",@progbits,_ZL21dequantize_block_q5_KIN3c104HalfEEvPKvPT_,comdat
	.globl	_ZL21dequantize_block_q5_KIN3c104HalfEEvPKvPT_ ; -- Begin function _ZL21dequantize_block_q5_KIN3c104HalfEEvPKvPT_
	.p2align	8
	.type	_ZL21dequantize_block_q5_KIN3c104HalfEEvPKvPT_,@function
_ZL21dequantize_block_q5_KIN3c104HalfEEvPKvPT_: ; @_ZL21dequantize_block_q5_KIN3c104HalfEEvPKvPT_
; %bb.0:
	s_load_dwordx2 s[0:1], s[4:5], 0x0
	s_mul_i32 s2, s6, 0xb0
	v_lshrrev_b32_e32 v1, 4, v0
	s_mul_hi_u32 s3, s6, 0xb0
	v_lshlrev_b32_e32 v2, 1, v1
	s_waitcnt lgkmcnt(0)
	s_add_u32 s2, s0, s2
	s_addc_u32 s3, s1, s3
	v_mov_b32_e32 v3, s3
	v_add_co_u32_e64 v4, s[0:1], s2, v2
	v_cmp_lt_u32_e32 vcc, 31, v0
	v_addc_co_u32_e64 v5, s[0:1], 0, v3, s[0:1]
                                        ; implicit-def: $vgpr6
                                        ; implicit-def: $vgpr3
	s_and_saveexec_b64 s[0:1], vcc
	s_xor_b64 s[0:1], exec, s[0:1]
	s_cbranch_execz .LBB27_2
; %bb.1:
	global_load_ubyte v3, v[4:5], off offset:8
	global_load_ubyte v6, v[4:5], off
	global_load_ubyte v7, v[4:5], off offset:4
	s_waitcnt vmcnt(2)
	v_and_b32_e32 v4, 15, v3
	s_waitcnt vmcnt(1)
	v_lshrrev_b16_e32 v5, 2, v6
	v_lshrrev_b16_e32 v6, 4, v3
	s_waitcnt vmcnt(0)
	v_lshrrev_b16_e32 v3, 2, v7
	v_and_b32_e32 v5, 48, v5
	v_and_b32_e32 v7, 48, v3
	v_or_b32_e32 v3, v5, v4
	v_or_b32_e32 v6, v7, v6
                                        ; implicit-def: $vgpr4_vgpr5
.LBB27_2:
	s_andn2_saveexec_b64 s[0:1], s[0:1]
	s_cbranch_execz .LBB27_4
; %bb.3:
	global_load_ubyte v3, v[4:5], off offset:4
	global_load_ubyte v6, v[4:5], off offset:8
	s_waitcnt vmcnt(1)
	v_and_b32_e32 v3, 63, v3
	s_waitcnt vmcnt(0)
	v_and_b32_e32 v6, 63, v6
.LBB27_4:
	s_or_b64 exec, exec, s[0:1]
	s_load_dwordx2 s[8:9], s[4:5], 0x8
	s_load_dword s7, s[2:3], 0x0
	s_add_u32 s0, s2, 4
	s_addc_u32 s1, s3, 0
	v_mov_b32_e32 v5, s1
	v_add_co_u32_e64 v4, s[0:1], s0, v2
	v_addc_co_u32_e64 v5, s[0:1], 0, v5, s[0:1]
                                        ; implicit-def: $vgpr8
                                        ; implicit-def: $vgpr7
	s_and_saveexec_b64 s[0:1], vcc
	s_xor_b64 s[0:1], exec, s[0:1]
	s_cbranch_execz .LBB27_6
; %bb.5:
	global_load_ubyte v7, v[4:5], off offset:5
	global_load_ubyte v8, v[4:5], off offset:-3
	global_load_ubyte v9, v[4:5], off offset:1
	s_waitcnt vmcnt(2)
	v_and_b32_e32 v4, 15, v7
	s_waitcnt vmcnt(1)
	v_lshrrev_b16_e32 v5, 2, v8
	v_lshrrev_b16_e32 v8, 4, v7
	s_waitcnt vmcnt(0)
	v_lshrrev_b16_e32 v7, 2, v9
	v_and_b32_e32 v5, 48, v5
	v_and_b32_e32 v9, 48, v7
	v_or_b32_e32 v7, v5, v4
	v_or_b32_e32 v8, v9, v8
                                        ; implicit-def: $vgpr4_vgpr5
.LBB27_6:
	s_andn2_saveexec_b64 s[0:1], s[0:1]
	s_cbranch_execz .LBB27_8
; %bb.7:
	global_load_ubyte v7, v[4:5], off offset:1
	global_load_ubyte v8, v[4:5], off offset:5
	s_waitcnt vmcnt(1)
	v_and_b32_e32 v7, 63, v7
	s_waitcnt vmcnt(0)
	v_and_b32_e32 v8, 63, v8
.LBB27_8:
	s_or_b64 exec, exec, s[0:1]
	v_lshlrev_b32_e32 v0, 1, v0
	v_and_b32_e32 v0, 30, v0
	v_mov_b32_e32 v4, s3
	v_add_co_u32_e32 v5, vcc, s2, v0
	v_addc_co_u32_e32 v9, vcc, 0, v4, vcc
	v_lshlrev_b32_e32 v4, 5, v1
	v_add_co_u32_e32 v4, vcc, v5, v4
	v_addc_co_u32_e32 v5, vcc, 0, v9, vcc
	global_load_ushort v9, v[4:5], off offset:48
	global_load_ushort v10, v0, s[2:3] offset:16
	s_mov_b32 s1, 0
	s_lshl_b32 s0, s6, 8
	s_waitcnt lgkmcnt(0)
	s_lshr_b32 s2, s7, 16
	s_lshl_b64 s[0:1], s[0:1], 1
	s_add_u32 s0, s8, s0
	v_lshlrev_b32_e32 v1, 7, v1
	s_addc_u32 s1, s9, s1
	v_mov_b32_e32 v11, s1
	v_add_co_u32_e32 v1, vcc, s0, v1
	v_lshlrev_b32_e32 v0, 1, v0
	v_addc_co_u32_e32 v11, vcc, 0, v11, vcc
	v_cvt_f16_u16_sdwa v5, v7 dst_sel:DWORD dst_unused:UNUSED_PAD src0_sel:BYTE_0
	v_lshlrev_b32_e64 v7, v2, 1
	v_add_co_u32_e32 v0, vcc, v1, v0
	v_addc_co_u32_e32 v1, vcc, 0, v11, vcc
	v_lshlrev_b32_e64 v2, v2, 2
	v_cvt_f16_u16_sdwa v4, v6 dst_sel:DWORD dst_unused:UNUSED_PAD src0_sel:BYTE_0
	v_cvt_f16_u16_sdwa v6, v8 dst_sel:DWORD dst_unused:UNUSED_PAD src0_sel:BYTE_0
	v_mov_b32_e32 v8, 15
	v_cvt_f16_u16_sdwa v3, v3 dst_sel:DWORD dst_unused:UNUSED_PAD src0_sel:BYTE_0
	v_mul_f16_e32 v4, s2, v4
	v_mul_f16_e32 v3, s7, v3
	;; [unrolled: 1-line block ×4, first 2 shown]
	s_waitcnt vmcnt(1)
	v_lshrrev_b16_e32 v13, 4, v9
	s_waitcnt vmcnt(0)
	v_and_b32_sdwa v12, v7, v10 dst_sel:DWORD dst_unused:UNUSED_PAD src0_sel:DWORD src1_sel:BYTE_0
	v_and_b32_sdwa v7, v7, v10 dst_sel:DWORD dst_unused:UNUSED_PAD src0_sel:DWORD src1_sel:BYTE_1
	v_cmp_ne_u32_e32 vcc, 0, v12
	v_and_b32_sdwa v14, v2, v10 dst_sel:DWORD dst_unused:UNUSED_PAD src0_sel:DWORD src1_sel:BYTE_0
	v_and_b32_sdwa v2, v2, v10 dst_sel:DWORD dst_unused:UNUSED_PAD src0_sel:DWORD src1_sel:BYTE_1
	v_cndmask_b32_e64 v10, 0, 1, vcc
	v_cmp_ne_u32_e32 vcc, 0, v7
	v_cndmask_b32_e64 v7, 0, 1, vcc
	v_cmp_ne_u32_e32 vcc, 0, v14
	v_and_b32_e32 v11, 15, v9
	v_and_b32_sdwa v8, v9, v8 dst_sel:DWORD dst_unused:UNUSED_PAD src0_sel:BYTE_1 src1_sel:DWORD
	v_and_b32_e32 v12, 15, v13
	v_cndmask_b32_e64 v13, 0, 1, vcc
	v_cmp_ne_u32_e32 vcc, 0, v2
	v_lshrrev_b16_e32 v9, 12, v9
	v_cndmask_b32_e64 v2, 0, 1, vcc
	v_lshl_or_b32 v10, v10, 4, v11
	v_lshl_or_b32 v7, v7, 4, v8
	;; [unrolled: 1-line block ×4, first 2 shown]
	v_cvt_f32_ubyte0_e32 v9, v10
	v_cvt_f32_ubyte0_e32 v7, v7
	;; [unrolled: 1-line block ×4, first 2 shown]
	v_cvt_f16_f32_e32 v9, v9
	v_cvt_f16_f32_e32 v7, v7
	;; [unrolled: 1-line block ×4, first 2 shown]
	v_fma_f16 v9, v3, v9, -v4
	v_fma_f16 v3, v3, v7, -v4
	;; [unrolled: 1-line block ×4, first 2 shown]
	v_pack_b32_f16 v3, v9, v3
	v_pack_b32_f16 v2, v4, v2
	global_store_dword v[0:1], v3, off
	global_store_dword v[0:1], v2, off offset:64
	s_endpgm
	.section	.rodata,"a",@progbits
	.p2align	6, 0x0
	.amdhsa_kernel _ZL21dequantize_block_q5_KIN3c104HalfEEvPKvPT_
		.amdhsa_group_segment_fixed_size 0
		.amdhsa_private_segment_fixed_size 0
		.amdhsa_kernarg_size 16
		.amdhsa_user_sgpr_count 6
		.amdhsa_user_sgpr_private_segment_buffer 1
		.amdhsa_user_sgpr_dispatch_ptr 0
		.amdhsa_user_sgpr_queue_ptr 0
		.amdhsa_user_sgpr_kernarg_segment_ptr 1
		.amdhsa_user_sgpr_dispatch_id 0
		.amdhsa_user_sgpr_flat_scratch_init 0
		.amdhsa_user_sgpr_kernarg_preload_length 0
		.amdhsa_user_sgpr_kernarg_preload_offset 0
		.amdhsa_user_sgpr_private_segment_size 0
		.amdhsa_uses_dynamic_stack 0
		.amdhsa_system_sgpr_private_segment_wavefront_offset 0
		.amdhsa_system_sgpr_workgroup_id_x 1
		.amdhsa_system_sgpr_workgroup_id_y 0
		.amdhsa_system_sgpr_workgroup_id_z 0
		.amdhsa_system_sgpr_workgroup_info 0
		.amdhsa_system_vgpr_workitem_id 0
		.amdhsa_next_free_vgpr 15
		.amdhsa_next_free_sgpr 10
		.amdhsa_accum_offset 16
		.amdhsa_reserve_vcc 1
		.amdhsa_reserve_flat_scratch 0
		.amdhsa_float_round_mode_32 0
		.amdhsa_float_round_mode_16_64 0
		.amdhsa_float_denorm_mode_32 3
		.amdhsa_float_denorm_mode_16_64 3
		.amdhsa_dx10_clamp 1
		.amdhsa_ieee_mode 1
		.amdhsa_fp16_overflow 0
		.amdhsa_tg_split 0
		.amdhsa_exception_fp_ieee_invalid_op 0
		.amdhsa_exception_fp_denorm_src 0
		.amdhsa_exception_fp_ieee_div_zero 0
		.amdhsa_exception_fp_ieee_overflow 0
		.amdhsa_exception_fp_ieee_underflow 0
		.amdhsa_exception_fp_ieee_inexact 0
		.amdhsa_exception_int_div_zero 0
	.end_amdhsa_kernel
	.section	.text._ZL21dequantize_block_q5_KIN3c104HalfEEvPKvPT_,"axG",@progbits,_ZL21dequantize_block_q5_KIN3c104HalfEEvPKvPT_,comdat
.Lfunc_end27:
	.size	_ZL21dequantize_block_q5_KIN3c104HalfEEvPKvPT_, .Lfunc_end27-_ZL21dequantize_block_q5_KIN3c104HalfEEvPKvPT_
                                        ; -- End function
	.section	.AMDGPU.csdata,"",@progbits
; Kernel info:
; codeLenInByte = 776
; NumSgprs: 14
; NumVgprs: 15
; NumAgprs: 0
; TotalNumVgprs: 15
; ScratchSize: 0
; MemoryBound: 0
; FloatMode: 240
; IeeeMode: 1
; LDSByteSize: 0 bytes/workgroup (compile time only)
; SGPRBlocks: 1
; VGPRBlocks: 1
; NumSGPRsForWavesPerEU: 14
; NumVGPRsForWavesPerEU: 15
; AccumOffset: 16
; Occupancy: 8
; WaveLimiterHint : 0
; COMPUTE_PGM_RSRC2:SCRATCH_EN: 0
; COMPUTE_PGM_RSRC2:USER_SGPR: 6
; COMPUTE_PGM_RSRC2:TRAP_HANDLER: 0
; COMPUTE_PGM_RSRC2:TGID_X_EN: 1
; COMPUTE_PGM_RSRC2:TGID_Y_EN: 0
; COMPUTE_PGM_RSRC2:TGID_Z_EN: 0
; COMPUTE_PGM_RSRC2:TIDIG_COMP_CNT: 0
; COMPUTE_PGM_RSRC3_GFX90A:ACCUM_OFFSET: 3
; COMPUTE_PGM_RSRC3_GFX90A:TG_SPLIT: 0
	.section	.text._ZL21dequantize_block_q6_KIN3c104HalfEEvPKvPT_,"axG",@progbits,_ZL21dequantize_block_q6_KIN3c104HalfEEvPKvPT_,comdat
	.globl	_ZL21dequantize_block_q6_KIN3c104HalfEEvPKvPT_ ; -- Begin function _ZL21dequantize_block_q6_KIN3c104HalfEEvPKvPT_
	.p2align	8
	.type	_ZL21dequantize_block_q6_KIN3c104HalfEEvPKvPT_,@function
_ZL21dequantize_block_q6_KIN3c104HalfEEvPKvPT_: ; @_ZL21dequantize_block_q6_KIN3c104HalfEEvPKvPT_
; %bb.0:
	s_load_dwordx4 s[0:3], s[4:5], 0x0
	s_lshl_b32 s4, s6, 8
	s_mov_b32 s5, 0
	s_lshl_b64 s[4:5], s[4:5], 1
	v_lshrrev_b32_e32 v1, 5, v0
	s_waitcnt lgkmcnt(0)
	s_add_u32 s2, s2, s4
	s_addc_u32 s3, s3, s5
	s_mul_hi_u32 s4, s6, 0xd2
	s_mulk_i32 s6, 0xd2
	s_add_u32 s0, s0, s6
	s_addc_u32 s1, s1, s4
	v_lshlrev_b32_e32 v2, 6, v1
	v_mov_b32_e32 v3, s1
	v_add_co_u32_e32 v2, vcc, s0, v2
	v_and_b32_e32 v4, 31, v0
	v_addc_co_u32_e32 v3, vcc, 0, v3, vcc
	global_load_ubyte v5, v0, s[0:1] offset:128
	v_add_co_u32_e32 v2, vcc, v2, v4
	v_addc_co_u32_e32 v3, vcc, 0, v3, vcc
	global_load_ubyte v6, v[2:3], off
	global_load_ubyte v7, v[2:3], off offset:32
	v_bfe_u32 v0, v0, 4, 1
	v_lshl_or_b32 v0, v1, 3, v0
	global_load_sbyte v2, v0, s[0:1] offset:192
	global_load_sbyte v3, v0, s[0:1] offset:194
	;; [unrolled: 1-line block ×4, first 2 shown]
	v_mov_b32_e32 v0, 0
	global_load_ushort v10, v0, s[0:1] offset:208
	v_lshlrev_b32_e32 v0, 8, v1
	v_lshlrev_b32_e32 v1, 1, v4
	v_mov_b32_e32 v4, s3
	v_add_co_u32_e32 v0, vcc, s2, v0
	v_addc_co_u32_e32 v4, vcc, 0, v4, vcc
	v_add_co_u32_e32 v0, vcc, v0, v1
	v_addc_co_u32_e32 v1, vcc, 0, v4, vcc
	v_mov_b32_e32 v11, 32
	s_waitcnt vmcnt(7)
	v_lshlrev_b16_e32 v4, 4, v5
	v_lshlrev_b16_e32 v12, 2, v5
	v_and_b32_e32 v13, 48, v5
	v_lshrrev_b16_e32 v5, 2, v5
	v_and_b32_e32 v4, 48, v4
	s_waitcnt vmcnt(6)
	v_and_b32_e32 v14, 15, v6
	v_and_b32_e32 v12, 48, v12
	v_and_b32_e32 v5, 48, v5
	s_waitcnt vmcnt(5)
	v_and_b32_e32 v15, 15, v7
	v_lshrrev_b16_e32 v6, 4, v6
	v_lshrrev_b16_e32 v7, 4, v7
	v_or_b32_e32 v4, v14, v4
	v_or_b32_e32 v12, v15, v12
	;; [unrolled: 1-line block ×4, first 2 shown]
	v_sub_u32_sdwa v4, v4, v11 dst_sel:DWORD dst_unused:UNUSED_PAD src0_sel:WORD_0 src1_sel:DWORD
	v_sub_u32_sdwa v7, v12, v11 dst_sel:DWORD dst_unused:UNUSED_PAD src0_sel:WORD_0 src1_sel:DWORD
	;; [unrolled: 1-line block ×4, first 2 shown]
	s_waitcnt vmcnt(4)
	v_mul_i32_i24_e32 v2, v4, v2
	s_waitcnt vmcnt(3)
	v_mul_i32_i24_e32 v3, v7, v3
	;; [unrolled: 2-line block ×4, first 2 shown]
	v_cvt_f32_i32_e32 v2, v2
	v_cvt_f32_i32_e32 v3, v3
	v_cvt_f32_i32_e32 v4, v4
	v_cvt_f32_i32_e32 v5, v5
	v_cvt_f16_f32_e32 v2, v2
	v_cvt_f16_f32_e32 v3, v3
	;; [unrolled: 1-line block ×4, first 2 shown]
	s_waitcnt vmcnt(0)
	v_mul_f16_e32 v2, v10, v2
	v_mul_f16_e32 v3, v10, v3
	v_mul_f16_e32 v4, v10, v4
	v_mul_f16_e32 v5, v10, v5
	global_store_short v[0:1], v2, off
	global_store_short v[0:1], v3, off offset:64
	global_store_short v[0:1], v4, off offset:128
	global_store_short v[0:1], v5, off offset:192
	s_endpgm
	.section	.rodata,"a",@progbits
	.p2align	6, 0x0
	.amdhsa_kernel _ZL21dequantize_block_q6_KIN3c104HalfEEvPKvPT_
		.amdhsa_group_segment_fixed_size 0
		.amdhsa_private_segment_fixed_size 0
		.amdhsa_kernarg_size 16
		.amdhsa_user_sgpr_count 6
		.amdhsa_user_sgpr_private_segment_buffer 1
		.amdhsa_user_sgpr_dispatch_ptr 0
		.amdhsa_user_sgpr_queue_ptr 0
		.amdhsa_user_sgpr_kernarg_segment_ptr 1
		.amdhsa_user_sgpr_dispatch_id 0
		.amdhsa_user_sgpr_flat_scratch_init 0
		.amdhsa_user_sgpr_kernarg_preload_length 0
		.amdhsa_user_sgpr_kernarg_preload_offset 0
		.amdhsa_user_sgpr_private_segment_size 0
		.amdhsa_uses_dynamic_stack 0
		.amdhsa_system_sgpr_private_segment_wavefront_offset 0
		.amdhsa_system_sgpr_workgroup_id_x 1
		.amdhsa_system_sgpr_workgroup_id_y 0
		.amdhsa_system_sgpr_workgroup_id_z 0
		.amdhsa_system_sgpr_workgroup_info 0
		.amdhsa_system_vgpr_workitem_id 0
		.amdhsa_next_free_vgpr 16
		.amdhsa_next_free_sgpr 7
		.amdhsa_accum_offset 16
		.amdhsa_reserve_vcc 1
		.amdhsa_reserve_flat_scratch 0
		.amdhsa_float_round_mode_32 0
		.amdhsa_float_round_mode_16_64 0
		.amdhsa_float_denorm_mode_32 3
		.amdhsa_float_denorm_mode_16_64 3
		.amdhsa_dx10_clamp 1
		.amdhsa_ieee_mode 1
		.amdhsa_fp16_overflow 0
		.amdhsa_tg_split 0
		.amdhsa_exception_fp_ieee_invalid_op 0
		.amdhsa_exception_fp_denorm_src 0
		.amdhsa_exception_fp_ieee_div_zero 0
		.amdhsa_exception_fp_ieee_overflow 0
		.amdhsa_exception_fp_ieee_underflow 0
		.amdhsa_exception_fp_ieee_inexact 0
		.amdhsa_exception_int_div_zero 0
	.end_amdhsa_kernel
	.section	.text._ZL21dequantize_block_q6_KIN3c104HalfEEvPKvPT_,"axG",@progbits,_ZL21dequantize_block_q6_KIN3c104HalfEEvPKvPT_,comdat
.Lfunc_end28:
	.size	_ZL21dequantize_block_q6_KIN3c104HalfEEvPKvPT_, .Lfunc_end28-_ZL21dequantize_block_q6_KIN3c104HalfEEvPKvPT_
                                        ; -- End function
	.section	.AMDGPU.csdata,"",@progbits
; Kernel info:
; codeLenInByte = 424
; NumSgprs: 11
; NumVgprs: 16
; NumAgprs: 0
; TotalNumVgprs: 16
; ScratchSize: 0
; MemoryBound: 0
; FloatMode: 240
; IeeeMode: 1
; LDSByteSize: 0 bytes/workgroup (compile time only)
; SGPRBlocks: 1
; VGPRBlocks: 1
; NumSGPRsForWavesPerEU: 11
; NumVGPRsForWavesPerEU: 16
; AccumOffset: 16
; Occupancy: 8
; WaveLimiterHint : 0
; COMPUTE_PGM_RSRC2:SCRATCH_EN: 0
; COMPUTE_PGM_RSRC2:USER_SGPR: 6
; COMPUTE_PGM_RSRC2:TRAP_HANDLER: 0
; COMPUTE_PGM_RSRC2:TGID_X_EN: 1
; COMPUTE_PGM_RSRC2:TGID_Y_EN: 0
; COMPUTE_PGM_RSRC2:TGID_Z_EN: 0
; COMPUTE_PGM_RSRC2:TIDIG_COMP_CNT: 0
; COMPUTE_PGM_RSRC3_GFX90A:ACCUM_OFFSET: 3
; COMPUTE_PGM_RSRC3_GFX90A:TG_SPLIT: 0
	.section	.text._ZL24dequantize_block_iq2_xxsIN3c104HalfEEvPKvPT_,"axG",@progbits,_ZL24dequantize_block_iq2_xxsIN3c104HalfEEvPKvPT_,comdat
	.globl	_ZL24dequantize_block_iq2_xxsIN3c104HalfEEvPKvPT_ ; -- Begin function _ZL24dequantize_block_iq2_xxsIN3c104HalfEEvPKvPT_
	.p2align	8
	.type	_ZL24dequantize_block_iq2_xxsIN3c104HalfEEvPKvPT_,@function
_ZL24dequantize_block_iq2_xxsIN3c104HalfEEvPKvPT_: ; @_ZL24dequantize_block_iq2_xxsIN3c104HalfEEvPKvPT_
; %bb.0:
	s_load_dwordx4 s[0:3], s[4:5], 0x0
	s_lshl_b32 s4, s6, 8
	s_mov_b32 s5, 0
	s_lshl_b64 s[4:5], s[4:5], 1
	v_and_b32_e32 v4, 7, v0
	s_waitcnt lgkmcnt(0)
	s_add_u32 s4, s2, s4
	s_addc_u32 s5, s3, s5
	s_mul_hi_u32 s2, s6, 0x42
	s_mulk_i32 s6, 0x42
	s_add_u32 s0, s0, s6
	s_addc_u32 s1, s1, s2
	v_lshlrev_b32_e32 v5, 3, v4
	v_mov_b32_e32 v2, s1
	v_add_co_u32_e32 v3, vcc, s0, v5
	v_lshrrev_b32_e32 v1, 3, v0
	v_addc_co_u32_e32 v6, vcc, 0, v2, vcc
	v_add_co_u32_e32 v2, vcc, v3, v1
	v_addc_co_u32_e32 v3, vcc, 0, v6, vcc
	global_load_ubyte v6, v[2:3], off offset:2
	global_load_dword v7, v5, s[0:1] offset:6
	v_mov_b32_e32 v2, 0
	global_load_ushort v8, v2, s[0:1]
	s_getpc_b64 s[0:1]
	s_add_u32 s0, s0, _ZL11iq2xxs_grid@rel32@lo+4
	s_addc_u32 s1, s1, _ZL11iq2xxs_grid@rel32@hi+12
	v_mul_u32_u24_e32 v1, 7, v1
	s_getpc_b64 s[2:3]
	s_add_u32 s2, s2, _ZL12ksigns_iq2xs@rel32@lo+4
	s_addc_u32 s3, s3, _ZL12ksigns_iq2xs@rel32@hi+12
	v_lshlrev_b32_e32 v4, 6, v4
	v_and_b32_e32 v0, 0x3f8, v0
	v_add_co_u32_e32 v4, vcc, s4, v4
	v_lshlrev_b32_e32 v0, 1, v0
	s_waitcnt vmcnt(2)
	v_lshlrev_b32_e32 v5, 3, v6
	s_waitcnt vmcnt(1)
	v_bfe_u32 v1, v7, v1, 7
	global_load_dwordx2 v[2:3], v5, s[0:1]
	global_load_sbyte v6, v1, s[2:3]
	v_mov_b32_e32 v5, s5
	v_addc_co_u32_e32 v5, vcc, 0, v5, vcc
	v_add_co_u32_e32 v4, vcc, v4, v0
	s_waitcnt vmcnt(2)
	v_cvt_f32_f16_e32 v0, v8
	v_lshrrev_b32_e32 v7, 28, v7
	v_cvt_f32_ubyte0_e32 v7, v7
	v_add_f32_e32 v7, 0.5, v7
	v_mul_f32_e32 v0, v7, v0
	v_addc_co_u32_e32 v5, vcc, 0, v5, vcc
	v_mul_f32_e32 v0, 0x3e800000, v0
	s_waitcnt vmcnt(1)
	v_cvt_f32_ubyte0_e32 v7, v2
	s_waitcnt vmcnt(0)
	v_and_b32_e32 v8, 1, v6
	v_cvt_f32_ubyte1_e32 v9, v2
	v_and_b32_e32 v10, 2, v6
	v_cvt_f32_ubyte2_e32 v11, v2
	v_cvt_f32_ubyte3_e32 v2, v2
	v_cvt_f32_ubyte0_e32 v14, v3
	v_cvt_f32_ubyte1_e32 v16, v3
	v_cvt_f32_ubyte2_e32 v18, v3
	v_cvt_f32_ubyte3_e32 v3, v3
	v_mul_f32_e32 v7, v0, v7
	v_cmp_eq_u16_e32 vcc, 0, v8
	v_and_b32_e32 v12, 4, v6
	v_mul_f32_e32 v9, v0, v9
	v_mul_f32_e32 v11, v0, v11
	;; [unrolled: 1-line block ×7, first 2 shown]
	v_cndmask_b32_e64 v3, -v7, v7, vcc
	v_cmp_eq_u16_e32 vcc, 0, v10
	v_and_b32_e32 v13, 8, v6
	v_cndmask_b32_e64 v7, -v9, v9, vcc
	v_cmp_eq_u16_e32 vcc, 0, v12
	v_and_b32_e32 v15, 16, v6
	;; [unrolled: 3-line block ×3, first 2 shown]
	v_cndmask_b32_e64 v2, -v2, v2, vcc
	v_cmp_eq_u16_e32 vcc, 0, v15
	v_cndmask_b32_e64 v9, -v14, v14, vcc
	v_cmp_eq_u16_e32 vcc, 0, v17
	v_cndmask_b32_e64 v10, -v16, v16, vcc
	v_cmp_gt_u32_e32 vcc, 64, v1
	v_cndmask_b32_e64 v1, -v18, v18, vcc
	v_cmp_gt_i16_e32 vcc, 0, v6
	v_cndmask_b32_e64 v0, v0, -v0, vcc
	v_cvt_f16_f32_e32 v6, v3
	v_cvt_f16_f32_e32 v8, v8
	;; [unrolled: 1-line block ×8, first 2 shown]
	v_pack_b32_f16 v3, v1, v0
	v_pack_b32_f16 v2, v9, v10
	;; [unrolled: 1-line block ×4, first 2 shown]
	global_store_dwordx4 v[4:5], v[0:3], off
	s_endpgm
	.section	.rodata,"a",@progbits
	.p2align	6, 0x0
	.amdhsa_kernel _ZL24dequantize_block_iq2_xxsIN3c104HalfEEvPKvPT_
		.amdhsa_group_segment_fixed_size 0
		.amdhsa_private_segment_fixed_size 0
		.amdhsa_kernarg_size 16
		.amdhsa_user_sgpr_count 6
		.amdhsa_user_sgpr_private_segment_buffer 1
		.amdhsa_user_sgpr_dispatch_ptr 0
		.amdhsa_user_sgpr_queue_ptr 0
		.amdhsa_user_sgpr_kernarg_segment_ptr 1
		.amdhsa_user_sgpr_dispatch_id 0
		.amdhsa_user_sgpr_flat_scratch_init 0
		.amdhsa_user_sgpr_kernarg_preload_length 0
		.amdhsa_user_sgpr_kernarg_preload_offset 0
		.amdhsa_user_sgpr_private_segment_size 0
		.amdhsa_uses_dynamic_stack 0
		.amdhsa_system_sgpr_private_segment_wavefront_offset 0
		.amdhsa_system_sgpr_workgroup_id_x 1
		.amdhsa_system_sgpr_workgroup_id_y 0
		.amdhsa_system_sgpr_workgroup_id_z 0
		.amdhsa_system_sgpr_workgroup_info 0
		.amdhsa_system_vgpr_workitem_id 0
		.amdhsa_next_free_vgpr 19
		.amdhsa_next_free_sgpr 7
		.amdhsa_accum_offset 20
		.amdhsa_reserve_vcc 1
		.amdhsa_reserve_flat_scratch 0
		.amdhsa_float_round_mode_32 0
		.amdhsa_float_round_mode_16_64 0
		.amdhsa_float_denorm_mode_32 3
		.amdhsa_float_denorm_mode_16_64 3
		.amdhsa_dx10_clamp 1
		.amdhsa_ieee_mode 1
		.amdhsa_fp16_overflow 0
		.amdhsa_tg_split 0
		.amdhsa_exception_fp_ieee_invalid_op 0
		.amdhsa_exception_fp_denorm_src 0
		.amdhsa_exception_fp_ieee_div_zero 0
		.amdhsa_exception_fp_ieee_overflow 0
		.amdhsa_exception_fp_ieee_underflow 0
		.amdhsa_exception_fp_ieee_inexact 0
		.amdhsa_exception_int_div_zero 0
	.end_amdhsa_kernel
	.section	.text._ZL24dequantize_block_iq2_xxsIN3c104HalfEEvPKvPT_,"axG",@progbits,_ZL24dequantize_block_iq2_xxsIN3c104HalfEEvPKvPT_,comdat
.Lfunc_end29:
	.size	_ZL24dequantize_block_iq2_xxsIN3c104HalfEEvPKvPT_, .Lfunc_end29-_ZL24dequantize_block_iq2_xxsIN3c104HalfEEvPKvPT_
                                        ; -- End function
	.section	.AMDGPU.csdata,"",@progbits
; Kernel info:
; codeLenInByte = 528
; NumSgprs: 11
; NumVgprs: 19
; NumAgprs: 0
; TotalNumVgprs: 19
; ScratchSize: 0
; MemoryBound: 0
; FloatMode: 240
; IeeeMode: 1
; LDSByteSize: 0 bytes/workgroup (compile time only)
; SGPRBlocks: 1
; VGPRBlocks: 2
; NumSGPRsForWavesPerEU: 11
; NumVGPRsForWavesPerEU: 19
; AccumOffset: 20
; Occupancy: 8
; WaveLimiterHint : 0
; COMPUTE_PGM_RSRC2:SCRATCH_EN: 0
; COMPUTE_PGM_RSRC2:USER_SGPR: 6
; COMPUTE_PGM_RSRC2:TRAP_HANDLER: 0
; COMPUTE_PGM_RSRC2:TGID_X_EN: 1
; COMPUTE_PGM_RSRC2:TGID_Y_EN: 0
; COMPUTE_PGM_RSRC2:TGID_Z_EN: 0
; COMPUTE_PGM_RSRC2:TIDIG_COMP_CNT: 0
; COMPUTE_PGM_RSRC3_GFX90A:ACCUM_OFFSET: 4
; COMPUTE_PGM_RSRC3_GFX90A:TG_SPLIT: 0
	.section	.text._ZL23dequantize_block_iq2_xsIN3c104HalfEEvPKvPT_,"axG",@progbits,_ZL23dequantize_block_iq2_xsIN3c104HalfEEvPKvPT_,comdat
	.globl	_ZL23dequantize_block_iq2_xsIN3c104HalfEEvPKvPT_ ; -- Begin function _ZL23dequantize_block_iq2_xsIN3c104HalfEEvPKvPT_
	.p2align	8
	.type	_ZL23dequantize_block_iq2_xsIN3c104HalfEEvPKvPT_,@function
_ZL23dequantize_block_iq2_xsIN3c104HalfEEvPKvPT_: ; @_ZL23dequantize_block_iq2_xsIN3c104HalfEEvPKvPT_
; %bb.0:
	s_load_dwordx4 s[0:3], s[4:5], 0x0
	s_lshl_b32 s4, s6, 8
	s_mov_b32 s5, 0
	s_lshl_b64 s[4:5], s[4:5], 1
	v_and_b32_e32 v1, 7, v0
	s_waitcnt lgkmcnt(0)
	s_add_u32 s7, s2, s4
	s_addc_u32 s8, s3, s5
	s_mul_hi_u32 s2, s6, 0x4a
	s_mulk_i32 s6, 0x4a
	s_add_u32 s0, s0, s6
	s_addc_u32 s1, s1, s2
	v_lshlrev_b32_e32 v2, 3, v1
	v_mov_b32_e32 v3, s1
	v_add_co_u32_e32 v2, vcc, s0, v2
	v_lshrrev_b32_e32 v6, 2, v0
	v_addc_co_u32_e32 v3, vcc, 0, v3, vcc
	v_and_b32_e32 v4, 0xfe, v6
	v_add_co_u32_e32 v2, vcc, v2, v4
	v_addc_co_u32_e32 v3, vcc, 0, v3, vcc
	global_load_ushort v8, v[2:3], off offset:2
	v_mov_b32_e32 v2, 0
	global_load_ushort v9, v2, s[0:1]
	global_load_ubyte v10, v1, s[0:1] offset:66
	s_getpc_b64 s[2:3]
	s_add_u32 s2, s2, _ZL10iq2xs_grid@rel32@lo+4
	s_addc_u32 s3, s3, _ZL10iq2xs_grid@rel32@hi+12
	v_mov_b32_e32 v3, 3
	s_getpc_b64 s[4:5]
	s_add_u32 s4, s4, _ZL12ksigns_iq2xs@rel32@lo+4
	s_addc_u32 s5, s5, _ZL12ksigns_iq2xs@rel32@hi+12
	v_mov_b32_e32 v4, s5
	v_lshlrev_b32_e32 v1, 6, v1
	v_and_b32_e32 v0, 0x3f8, v0
	v_lshlrev_b32_e32 v0, 1, v0
	s_waitcnt vmcnt(2)
	v_and_b32_e32 v2, 0x1ff, v8
	v_lshrrev_b16_e32 v5, 9, v8
	v_lshlrev_b32_sdwa v7, v3, v2 dst_sel:DWORD dst_unused:UNUSED_PAD src0_sel:DWORD src1_sel:WORD_0
	v_add_co_u32_e32 v2, vcc, s4, v5
	v_addc_co_u32_e32 v3, vcc, 0, v4, vcc
	global_load_dwordx2 v[4:5], v7, s[2:3]
	global_load_sbyte v11, v[2:3], off
	v_mov_b32_e32 v3, s8
	v_add_co_u32_e32 v1, vcc, s7, v1
	v_addc_co_u32_e32 v3, vcc, 0, v3, vcc
	v_and_b32_e32 v2, 0xfc, v6
	v_add_co_u32_e32 v6, vcc, v1, v0
	s_waitcnt vmcnt(3)
	v_cvt_f32_f16_e32 v0, v9
	s_waitcnt vmcnt(2)
	v_bfe_u32 v1, v10, v2, 4
	v_cvt_f32_ubyte0_e32 v1, v1
	v_add_f32_e32 v1, 0.5, v1
	v_mul_f32_e32 v0, v1, v0
	v_addc_co_u32_e32 v7, vcc, 0, v3, vcc
	v_mul_f32_e32 v0, 0x3e800000, v0
	s_waitcnt vmcnt(1)
	v_cvt_f32_ubyte0_e32 v1, v4
	s_waitcnt vmcnt(0)
	v_and_b32_e32 v2, 1, v11
	v_cvt_f32_ubyte1_e32 v3, v4
	v_and_b32_e32 v9, 2, v11
	v_mul_f32_e32 v1, v0, v1
	v_cmp_eq_u16_e32 vcc, 0, v2
	v_cvt_f32_ubyte2_e32 v10, v4
	v_and_b32_e32 v12, 4, v11
	v_mul_f32_e32 v3, v0, v3
	v_cndmask_b32_e64 v1, -v1, v1, vcc
	v_cmp_eq_u16_e32 vcc, 0, v9
	v_cvt_f32_ubyte3_e32 v4, v4
	v_and_b32_e32 v13, 8, v11
	v_mul_f32_e32 v10, v0, v10
	v_cndmask_b32_e64 v2, -v3, v3, vcc
	v_cmp_eq_u16_e32 vcc, 0, v12
	v_cvt_f32_ubyte0_e32 v14, v5
	v_and_b32_e32 v15, 16, v11
	v_mul_f32_e32 v4, v0, v4
	v_cndmask_b32_e64 v3, -v10, v10, vcc
	v_cmp_eq_u16_e32 vcc, 0, v13
	v_cvt_f32_ubyte1_e32 v16, v5
	v_and_b32_e32 v17, 32, v11
	v_cvt_f32_ubyte2_e32 v18, v5
	v_cvt_f32_ubyte3_e32 v5, v5
	v_mul_f32_e32 v14, v0, v14
	v_cndmask_b32_e64 v4, -v4, v4, vcc
	v_cmp_eq_u16_e32 vcc, 0, v15
	v_mul_f32_e32 v16, v0, v16
	v_mul_f32_e32 v18, v0, v18
	;; [unrolled: 1-line block ×3, first 2 shown]
	v_cndmask_b32_e64 v5, -v14, v14, vcc
	v_cmp_eq_u16_e32 vcc, 0, v17
	v_cndmask_b32_e64 v9, -v16, v16, vcc
	v_cmp_gt_i16_e32 vcc, 0, v8
	v_cndmask_b32_e64 v8, v18, -v18, vcc
	v_cmp_gt_i16_e32 vcc, 0, v11
	v_cndmask_b32_e64 v0, v0, -v0, vcc
	v_cvt_f16_f32_e32 v10, v1
	v_cvt_f16_f32_e32 v1, v3
	;; [unrolled: 1-line block ×8, first 2 shown]
	v_pack_b32_f16 v3, v3, v0
	v_pack_b32_f16 v2, v5, v8
	;; [unrolled: 1-line block ×4, first 2 shown]
	global_store_dwordx4 v[6:7], v[0:3], off
	s_endpgm
	.section	.rodata,"a",@progbits
	.p2align	6, 0x0
	.amdhsa_kernel _ZL23dequantize_block_iq2_xsIN3c104HalfEEvPKvPT_
		.amdhsa_group_segment_fixed_size 0
		.amdhsa_private_segment_fixed_size 0
		.amdhsa_kernarg_size 16
		.amdhsa_user_sgpr_count 6
		.amdhsa_user_sgpr_private_segment_buffer 1
		.amdhsa_user_sgpr_dispatch_ptr 0
		.amdhsa_user_sgpr_queue_ptr 0
		.amdhsa_user_sgpr_kernarg_segment_ptr 1
		.amdhsa_user_sgpr_dispatch_id 0
		.amdhsa_user_sgpr_flat_scratch_init 0
		.amdhsa_user_sgpr_kernarg_preload_length 0
		.amdhsa_user_sgpr_kernarg_preload_offset 0
		.amdhsa_user_sgpr_private_segment_size 0
		.amdhsa_uses_dynamic_stack 0
		.amdhsa_system_sgpr_private_segment_wavefront_offset 0
		.amdhsa_system_sgpr_workgroup_id_x 1
		.amdhsa_system_sgpr_workgroup_id_y 0
		.amdhsa_system_sgpr_workgroup_id_z 0
		.amdhsa_system_sgpr_workgroup_info 0
		.amdhsa_system_vgpr_workitem_id 0
		.amdhsa_next_free_vgpr 19
		.amdhsa_next_free_sgpr 9
		.amdhsa_accum_offset 20
		.amdhsa_reserve_vcc 1
		.amdhsa_reserve_flat_scratch 0
		.amdhsa_float_round_mode_32 0
		.amdhsa_float_round_mode_16_64 0
		.amdhsa_float_denorm_mode_32 3
		.amdhsa_float_denorm_mode_16_64 3
		.amdhsa_dx10_clamp 1
		.amdhsa_ieee_mode 1
		.amdhsa_fp16_overflow 0
		.amdhsa_tg_split 0
		.amdhsa_exception_fp_ieee_invalid_op 0
		.amdhsa_exception_fp_denorm_src 0
		.amdhsa_exception_fp_ieee_div_zero 0
		.amdhsa_exception_fp_ieee_overflow 0
		.amdhsa_exception_fp_ieee_underflow 0
		.amdhsa_exception_fp_ieee_inexact 0
		.amdhsa_exception_int_div_zero 0
	.end_amdhsa_kernel
	.section	.text._ZL23dequantize_block_iq2_xsIN3c104HalfEEvPKvPT_,"axG",@progbits,_ZL23dequantize_block_iq2_xsIN3c104HalfEEvPKvPT_,comdat
.Lfunc_end30:
	.size	_ZL23dequantize_block_iq2_xsIN3c104HalfEEvPKvPT_, .Lfunc_end30-_ZL23dequantize_block_iq2_xsIN3c104HalfEEvPKvPT_
                                        ; -- End function
	.section	.AMDGPU.csdata,"",@progbits
; Kernel info:
; codeLenInByte = 568
; NumSgprs: 13
; NumVgprs: 19
; NumAgprs: 0
; TotalNumVgprs: 19
; ScratchSize: 0
; MemoryBound: 0
; FloatMode: 240
; IeeeMode: 1
; LDSByteSize: 0 bytes/workgroup (compile time only)
; SGPRBlocks: 1
; VGPRBlocks: 2
; NumSGPRsForWavesPerEU: 13
; NumVGPRsForWavesPerEU: 19
; AccumOffset: 20
; Occupancy: 8
; WaveLimiterHint : 0
; COMPUTE_PGM_RSRC2:SCRATCH_EN: 0
; COMPUTE_PGM_RSRC2:USER_SGPR: 6
; COMPUTE_PGM_RSRC2:TRAP_HANDLER: 0
; COMPUTE_PGM_RSRC2:TGID_X_EN: 1
; COMPUTE_PGM_RSRC2:TGID_Y_EN: 0
; COMPUTE_PGM_RSRC2:TGID_Z_EN: 0
; COMPUTE_PGM_RSRC2:TIDIG_COMP_CNT: 0
; COMPUTE_PGM_RSRC3_GFX90A:ACCUM_OFFSET: 4
; COMPUTE_PGM_RSRC3_GFX90A:TG_SPLIT: 0
	.section	.text._ZL24dequantize_block_iq3_xxsIN3c104HalfEEvPKvPT_,"axG",@progbits,_ZL24dequantize_block_iq3_xxsIN3c104HalfEEvPKvPT_,comdat
	.globl	_ZL24dequantize_block_iq3_xxsIN3c104HalfEEvPKvPT_ ; -- Begin function _ZL24dequantize_block_iq3_xxsIN3c104HalfEEvPKvPT_
	.p2align	8
	.type	_ZL24dequantize_block_iq3_xxsIN3c104HalfEEvPKvPT_,@function
_ZL24dequantize_block_iq3_xxsIN3c104HalfEEvPKvPT_: ; @_ZL24dequantize_block_iq3_xxsIN3c104HalfEEvPKvPT_
; %bb.0:
	s_load_dwordx4 s[0:3], s[4:5], 0x0
	s_lshl_b32 s4, s6, 8
	s_mov_b32 s5, 0
	s_lshl_b64 s[4:5], s[4:5], 1
	v_and_b32_e32 v4, 7, v0
	s_waitcnt lgkmcnt(0)
	s_add_u32 s4, s2, s4
	s_addc_u32 s5, s3, s5
	s_mul_hi_u32 s2, s6, 0x62
	s_mulk_i32 s6, 0x62
	s_add_u32 s0, s0, s6
	s_addc_u32 s1, s1, s2
	v_lshlrev_b32_e32 v2, 3, v4
	v_lshrrev_b32_e32 v1, 3, v0
	v_mov_b32_e32 v3, s1
	v_add_co_u32_e32 v2, vcc, s0, v2
	v_addc_co_u32_e32 v3, vcc, 0, v3, vcc
	v_lshlrev_b32_e32 v5, 1, v1
	v_add_co_u32_e32 v2, vcc, v2, v5
	v_addc_co_u32_e32 v3, vcc, 0, v3, vcc
	global_load_ushort v2, v[2:3], off offset:2
	v_lshlrev_b32_e32 v3, 2, v4
	global_load_dword v3, v3, s[0:1] offset:66
	v_mov_b32_e32 v5, 0
	global_load_ushort v7, v5, s[0:1]
	v_mov_b32_e32 v6, 2
	s_getpc_b64 s[0:1]
	s_add_u32 s0, s0, _ZL11iq3xxs_grid@rel32@lo+4
	s_addc_u32 s1, s1, _ZL11iq3xxs_grid@rel32@hi+12
	v_mul_u32_u24_e32 v1, 7, v1
	s_getpc_b64 s[2:3]
	s_add_u32 s2, s2, _ZL12ksigns_iq2xs@rel32@lo+4
	s_addc_u32 s3, s3, _ZL12ksigns_iq2xs@rel32@hi+12
	v_and_b32_e32 v0, 0x3f8, v0
	v_lshlrev_b32_e32 v0, 1, v0
	s_waitcnt vmcnt(2)
	v_lshlrev_b32_sdwa v5, v6, v2 dst_sel:DWORD dst_unused:UNUSED_PAD src0_sel:DWORD src1_sel:BYTE_0
	v_lshlrev_b32_sdwa v2, v6, v2 dst_sel:DWORD dst_unused:UNUSED_PAD src0_sel:DWORD src1_sel:BYTE_1
	s_waitcnt vmcnt(1)
	v_bfe_u32 v1, v3, v1, 7
	global_load_dword v6, v5, s[0:1]
	global_load_sbyte v8, v1, s[2:3]
	global_load_dword v9, v2, s[0:1]
	v_lshlrev_b32_e32 v2, 6, v4
	v_mov_b32_e32 v4, s5
	v_add_co_u32_e32 v2, vcc, s4, v2
	v_addc_co_u32_e32 v5, vcc, 0, v4, vcc
	v_add_co_u32_e32 v4, vcc, v2, v0
	s_waitcnt vmcnt(3)
	v_cvt_f32_f16_e32 v0, v7
	v_lshrrev_b32_e32 v2, 28, v3
	v_cvt_f32_ubyte0_e32 v2, v2
	v_add_f32_e32 v2, 0.5, v2
	v_mul_f32_e32 v0, v2, v0
	v_addc_co_u32_e32 v5, vcc, 0, v5, vcc
	v_mul_f32_e32 v0, 0.5, v0
	s_waitcnt vmcnt(2)
	v_cvt_f32_ubyte0_e32 v2, v6
	s_waitcnt vmcnt(1)
	v_and_b32_e32 v3, 1, v8
	s_waitcnt vmcnt(0)
	v_cvt_f32_ubyte0_e32 v7, v9
	v_and_b32_e32 v10, 16, v8
	v_mul_f32_e32 v2, v0, v2
	v_cmp_eq_u16_e32 vcc, 0, v3
	v_cvt_f32_ubyte1_e32 v11, v6
	v_and_b32_e32 v12, 2, v8
	v_mul_f32_e32 v7, v0, v7
	v_cndmask_b32_e64 v2, -v2, v2, vcc
	v_cmp_eq_u16_e32 vcc, 0, v10
	v_cvt_f32_ubyte1_e32 v13, v9
	v_and_b32_e32 v14, 32, v8
	v_mul_f32_e32 v11, v0, v11
	v_cndmask_b32_e64 v3, -v7, v7, vcc
	v_cmp_eq_u16_e32 vcc, 0, v12
	v_cvt_f32_ubyte2_e32 v15, v6
	v_and_b32_e32 v16, 4, v8
	v_cvt_f32_ubyte2_e32 v17, v9
	v_cvt_f32_ubyte3_e32 v6, v6
	v_cvt_f32_ubyte3_e32 v9, v9
	v_mul_f32_e32 v13, v0, v13
	v_cndmask_b32_e64 v7, -v11, v11, vcc
	v_cmp_eq_u16_e32 vcc, 0, v14
	v_mul_f32_e32 v15, v0, v15
	v_mul_f32_e32 v17, v0, v17
	;; [unrolled: 1-line block ×4, first 2 shown]
	v_cndmask_b32_e64 v9, -v13, v13, vcc
	v_cmp_eq_u16_e32 vcc, 0, v16
	v_and_b32_e32 v18, 8, v8
	v_cndmask_b32_e64 v10, -v15, v15, vcc
	v_cmp_gt_u32_e32 vcc, 64, v1
	v_cndmask_b32_e64 v1, -v17, v17, vcc
	v_cmp_eq_u16_e32 vcc, 0, v18
	v_cndmask_b32_e64 v6, -v6, v6, vcc
	v_cmp_gt_i16_e32 vcc, 0, v8
	v_cndmask_b32_e64 v0, v0, -v0, vcc
	v_cvt_f16_f32_e32 v8, v2
	v_cvt_f16_f32_e32 v2, v3
	;; [unrolled: 1-line block ×8, first 2 shown]
	v_pack_b32_f16 v3, v1, v0
	v_pack_b32_f16 v2, v2, v9
	;; [unrolled: 1-line block ×4, first 2 shown]
	global_store_dwordx4 v[4:5], v[0:3], off
	s_endpgm
	.section	.rodata,"a",@progbits
	.p2align	6, 0x0
	.amdhsa_kernel _ZL24dequantize_block_iq3_xxsIN3c104HalfEEvPKvPT_
		.amdhsa_group_segment_fixed_size 0
		.amdhsa_private_segment_fixed_size 0
		.amdhsa_kernarg_size 16
		.amdhsa_user_sgpr_count 6
		.amdhsa_user_sgpr_private_segment_buffer 1
		.amdhsa_user_sgpr_dispatch_ptr 0
		.amdhsa_user_sgpr_queue_ptr 0
		.amdhsa_user_sgpr_kernarg_segment_ptr 1
		.amdhsa_user_sgpr_dispatch_id 0
		.amdhsa_user_sgpr_flat_scratch_init 0
		.amdhsa_user_sgpr_kernarg_preload_length 0
		.amdhsa_user_sgpr_kernarg_preload_offset 0
		.amdhsa_user_sgpr_private_segment_size 0
		.amdhsa_uses_dynamic_stack 0
		.amdhsa_system_sgpr_private_segment_wavefront_offset 0
		.amdhsa_system_sgpr_workgroup_id_x 1
		.amdhsa_system_sgpr_workgroup_id_y 0
		.amdhsa_system_sgpr_workgroup_id_z 0
		.amdhsa_system_sgpr_workgroup_info 0
		.amdhsa_system_vgpr_workitem_id 0
		.amdhsa_next_free_vgpr 19
		.amdhsa_next_free_sgpr 7
		.amdhsa_accum_offset 20
		.amdhsa_reserve_vcc 1
		.amdhsa_reserve_flat_scratch 0
		.amdhsa_float_round_mode_32 0
		.amdhsa_float_round_mode_16_64 0
		.amdhsa_float_denorm_mode_32 3
		.amdhsa_float_denorm_mode_16_64 3
		.amdhsa_dx10_clamp 1
		.amdhsa_ieee_mode 1
		.amdhsa_fp16_overflow 0
		.amdhsa_tg_split 0
		.amdhsa_exception_fp_ieee_invalid_op 0
		.amdhsa_exception_fp_denorm_src 0
		.amdhsa_exception_fp_ieee_div_zero 0
		.amdhsa_exception_fp_ieee_overflow 0
		.amdhsa_exception_fp_ieee_underflow 0
		.amdhsa_exception_fp_ieee_inexact 0
		.amdhsa_exception_int_div_zero 0
	.end_amdhsa_kernel
	.section	.text._ZL24dequantize_block_iq3_xxsIN3c104HalfEEvPKvPT_,"axG",@progbits,_ZL24dequantize_block_iq3_xxsIN3c104HalfEEvPKvPT_,comdat
.Lfunc_end31:
	.size	_ZL24dequantize_block_iq3_xxsIN3c104HalfEEvPKvPT_, .Lfunc_end31-_ZL24dequantize_block_iq3_xxsIN3c104HalfEEvPKvPT_
                                        ; -- End function
	.section	.AMDGPU.csdata,"",@progbits
; Kernel info:
; codeLenInByte = 560
; NumSgprs: 11
; NumVgprs: 19
; NumAgprs: 0
; TotalNumVgprs: 19
; ScratchSize: 0
; MemoryBound: 0
; FloatMode: 240
; IeeeMode: 1
; LDSByteSize: 0 bytes/workgroup (compile time only)
; SGPRBlocks: 1
; VGPRBlocks: 2
; NumSGPRsForWavesPerEU: 11
; NumVGPRsForWavesPerEU: 19
; AccumOffset: 20
; Occupancy: 8
; WaveLimiterHint : 0
; COMPUTE_PGM_RSRC2:SCRATCH_EN: 0
; COMPUTE_PGM_RSRC2:USER_SGPR: 6
; COMPUTE_PGM_RSRC2:TRAP_HANDLER: 0
; COMPUTE_PGM_RSRC2:TGID_X_EN: 1
; COMPUTE_PGM_RSRC2:TGID_Y_EN: 0
; COMPUTE_PGM_RSRC2:TGID_Z_EN: 0
; COMPUTE_PGM_RSRC2:TIDIG_COMP_CNT: 0
; COMPUTE_PGM_RSRC3_GFX90A:ACCUM_OFFSET: 4
; COMPUTE_PGM_RSRC3_GFX90A:TG_SPLIT: 0
	.section	.text._ZL22dequantize_block_iq1_sIN3c104HalfEEvPKvPT_,"axG",@progbits,_ZL22dequantize_block_iq1_sIN3c104HalfEEvPKvPT_,comdat
	.globl	_ZL22dequantize_block_iq1_sIN3c104HalfEEvPKvPT_ ; -- Begin function _ZL22dequantize_block_iq1_sIN3c104HalfEEvPKvPT_
	.p2align	8
	.type	_ZL22dequantize_block_iq1_sIN3c104HalfEEvPKvPT_,@function
_ZL22dequantize_block_iq1_sIN3c104HalfEEvPKvPT_: ; @_ZL22dequantize_block_iq1_sIN3c104HalfEEvPKvPT_
; %bb.0:
	s_load_dwordx4 s[0:3], s[4:5], 0x0
	s_mov_b32 s7, 0
	s_lshl_b64 s[4:5], s[6:7], 9
	v_and_b32_e32 v4, 7, v0
	v_lshlrev_b32_e32 v2, 1, v4
	s_waitcnt lgkmcnt(0)
	s_add_u32 s4, s2, s4
	s_addc_u32 s5, s3, s5
	s_mul_i32 s3, s6, 50
	s_mul_hi_u32 s2, s6, 50
	s_add_u32 s0, s0, s3
	s_addc_u32 s1, s1, s2
	v_lshrrev_b32_e32 v1, 3, v0
	global_load_ushort v6, v2, s[0:1] offset:34
	v_lshlrev_b32_e32 v2, 2, v4
	v_add_co_u32_e32 v2, vcc, v2, v1
	v_addc_co_u32_e64 v3, s[2:3], 0, 0, vcc
	v_mov_b32_e32 v5, s1
	v_add_co_u32_e32 v2, vcc, s0, v2
	v_addc_co_u32_e32 v3, vcc, v5, v3, vcc
	global_load_ubyte v2, v[2:3], off offset:2
	v_mov_b32_e32 v3, 0
	v_mul_u32_u24_e32 v1, 3, v1
	global_load_ushort v3, v3, s[0:1]
	s_movk_i32 s6, 0x700
	s_getpc_b64 s[2:3]
	s_add_u32 s2, s2, _ZL13iq1s_grid_gpu@rel32@lo+4
	s_addc_u32 s3, s3, _ZL13iq1s_grid_gpu@rel32@hi+12
	v_lshlrev_b32_e32 v4, 6, v4
	v_and_b32_e32 v0, 0x3f8, v0
	v_mov_b32_e32 v5, s5
	v_add_co_u32_e32 v4, vcc, s4, v4
	v_lshlrev_b32_e32 v0, 1, v0
	v_addc_co_u32_e32 v5, vcc, 0, v5, vcc
	v_add_co_u32_e32 v4, vcc, v4, v0
	v_addc_co_u32_e32 v5, vcc, 0, v5, vcc
	v_mov_b32_e32 v7, 0xbf600000
	s_waitcnt vmcnt(2)
	v_lshrrev_b32_sdwa v1, v1, v6 dst_sel:DWORD dst_unused:UNUSED_PAD src0_sel:DWORD src1_sel:WORD_0
	v_lshlrev_b32_e32 v1, 8, v1
	v_cmp_lt_i16_e32 vcc, -1, v6
	s_waitcnt vmcnt(1)
	v_and_or_b32 v1, v1, s6, v2
	v_lshlrev_b32_e32 v1, 3, v1
	global_load_dword v1, v1, s[2:3]
	v_mov_b32_e32 v2, 0xbf900000
	v_cndmask_b32_e32 v0, v2, v7, vcc
	v_lshrrev_b16_e32 v2, 11, v6
	s_waitcnt vmcnt(1)
	v_cvt_f32_f16_e32 v3, v3
	v_and_b32_e32 v2, 14, v2
	v_or_b32_e32 v2, 1, v2
	v_cvt_f32_ubyte0_e32 v2, v2
	v_mul_f32_e32 v2, v3, v2
	s_waitcnt vmcnt(0)
	v_and_b32_e32 v3, 0xf0f0f0f, v1
	v_bfe_u32 v6, v1, 16, 4
	v_bfe_u32 v8, v1, 8, 4
	v_and_b32_e32 v10, 15, v1
	v_lshrrev_b32_e32 v11, 28, v1
	v_bfe_u32 v12, v1, 20, 4
	v_bfe_u32 v13, v1, 12, 4
	;; [unrolled: 1-line block ×3, first 2 shown]
	v_cvt_f32_ubyte3_e32 v7, v3
	v_cvt_f32_ubyte0_e32 v6, v6
	v_cvt_f32_ubyte0_e32 v9, v8
	;; [unrolled: 1-line block ×7, first 2 shown]
	v_pk_add_f32 v[8:9], v[0:1], v[8:9] op_sel_hi:[0,1]
	v_pk_add_f32 v[6:7], v[0:1], v[6:7] op_sel_hi:[0,1]
	;; [unrolled: 1-line block ×4, first 2 shown]
	v_pk_mul_f32 v[6:7], v[2:3], v[6:7] op_sel_hi:[0,1]
	v_pk_mul_f32 v[8:9], v[2:3], v[8:9] op_sel_hi:[0,1]
	;; [unrolled: 1-line block ×4, first 2 shown]
	v_cvt_f16_f32_e32 v9, v9
	v_cvt_f16_f32_e32 v7, v7
	;; [unrolled: 1-line block ×8, first 2 shown]
	v_pack_b32_f16 v3, v0, v1
	v_pack_b32_f16 v2, v2, v10
	;; [unrolled: 1-line block ×4, first 2 shown]
	global_store_dwordx4 v[4:5], v[0:3], off
	s_endpgm
	.section	.rodata,"a",@progbits
	.p2align	6, 0x0
	.amdhsa_kernel _ZL22dequantize_block_iq1_sIN3c104HalfEEvPKvPT_
		.amdhsa_group_segment_fixed_size 0
		.amdhsa_private_segment_fixed_size 0
		.amdhsa_kernarg_size 16
		.amdhsa_user_sgpr_count 6
		.amdhsa_user_sgpr_private_segment_buffer 1
		.amdhsa_user_sgpr_dispatch_ptr 0
		.amdhsa_user_sgpr_queue_ptr 0
		.amdhsa_user_sgpr_kernarg_segment_ptr 1
		.amdhsa_user_sgpr_dispatch_id 0
		.amdhsa_user_sgpr_flat_scratch_init 0
		.amdhsa_user_sgpr_kernarg_preload_length 0
		.amdhsa_user_sgpr_kernarg_preload_offset 0
		.amdhsa_user_sgpr_private_segment_size 0
		.amdhsa_uses_dynamic_stack 0
		.amdhsa_system_sgpr_private_segment_wavefront_offset 0
		.amdhsa_system_sgpr_workgroup_id_x 1
		.amdhsa_system_sgpr_workgroup_id_y 0
		.amdhsa_system_sgpr_workgroup_id_z 0
		.amdhsa_system_sgpr_workgroup_info 0
		.amdhsa_system_vgpr_workitem_id 0
		.amdhsa_next_free_vgpr 14
		.amdhsa_next_free_sgpr 8
		.amdhsa_accum_offset 16
		.amdhsa_reserve_vcc 1
		.amdhsa_reserve_flat_scratch 0
		.amdhsa_float_round_mode_32 0
		.amdhsa_float_round_mode_16_64 0
		.amdhsa_float_denorm_mode_32 3
		.amdhsa_float_denorm_mode_16_64 3
		.amdhsa_dx10_clamp 1
		.amdhsa_ieee_mode 1
		.amdhsa_fp16_overflow 0
		.amdhsa_tg_split 0
		.amdhsa_exception_fp_ieee_invalid_op 0
		.amdhsa_exception_fp_denorm_src 0
		.amdhsa_exception_fp_ieee_div_zero 0
		.amdhsa_exception_fp_ieee_overflow 0
		.amdhsa_exception_fp_ieee_underflow 0
		.amdhsa_exception_fp_ieee_inexact 0
		.amdhsa_exception_int_div_zero 0
	.end_amdhsa_kernel
	.section	.text._ZL22dequantize_block_iq1_sIN3c104HalfEEvPKvPT_,"axG",@progbits,_ZL22dequantize_block_iq1_sIN3c104HalfEEvPKvPT_,comdat
.Lfunc_end32:
	.size	_ZL22dequantize_block_iq1_sIN3c104HalfEEvPKvPT_, .Lfunc_end32-_ZL22dequantize_block_iq1_sIN3c104HalfEEvPKvPT_
                                        ; -- End function
	.section	.AMDGPU.csdata,"",@progbits
; Kernel info:
; codeLenInByte = 500
; NumSgprs: 12
; NumVgprs: 14
; NumAgprs: 0
; TotalNumVgprs: 14
; ScratchSize: 0
; MemoryBound: 0
; FloatMode: 240
; IeeeMode: 1
; LDSByteSize: 0 bytes/workgroup (compile time only)
; SGPRBlocks: 1
; VGPRBlocks: 1
; NumSGPRsForWavesPerEU: 12
; NumVGPRsForWavesPerEU: 14
; AccumOffset: 16
; Occupancy: 8
; WaveLimiterHint : 0
; COMPUTE_PGM_RSRC2:SCRATCH_EN: 0
; COMPUTE_PGM_RSRC2:USER_SGPR: 6
; COMPUTE_PGM_RSRC2:TRAP_HANDLER: 0
; COMPUTE_PGM_RSRC2:TGID_X_EN: 1
; COMPUTE_PGM_RSRC2:TGID_Y_EN: 0
; COMPUTE_PGM_RSRC2:TGID_Z_EN: 0
; COMPUTE_PGM_RSRC2:TIDIG_COMP_CNT: 0
; COMPUTE_PGM_RSRC3_GFX90A:ACCUM_OFFSET: 3
; COMPUTE_PGM_RSRC3_GFX90A:TG_SPLIT: 0
	.section	.text._ZL23dequantize_block_iq4_nlIN3c104HalfEEvPKvPT_,"axG",@progbits,_ZL23dequantize_block_iq4_nlIN3c104HalfEEvPKvPT_,comdat
	.globl	_ZL23dequantize_block_iq4_nlIN3c104HalfEEvPKvPT_ ; -- Begin function _ZL23dequantize_block_iq4_nlIN3c104HalfEEvPKvPT_
	.p2align	8
	.type	_ZL23dequantize_block_iq4_nlIN3c104HalfEEvPKvPT_,@function
_ZL23dequantize_block_iq4_nlIN3c104HalfEEvPKvPT_: ; @_ZL23dequantize_block_iq4_nlIN3c104HalfEEvPKvPT_
; %bb.0:
	s_load_dwordx4 s[0:3], s[4:5], 0x0
	s_lshl_b32 s4, s6, 3
	s_mul_i32 s5, s6, 0x90
	s_mul_hi_u32 s4, s4, 18
	v_and_b32_e32 v4, 7, v0
	s_waitcnt lgkmcnt(0)
	s_add_u32 s0, s0, s5
	s_addc_u32 s1, s1, s4
	v_lshrrev_b32_e32 v0, 1, v0
	v_and_b32_e32 v5, 0x1fc, v0
	v_mad_u64_u32 v[0:1], s[0:1], v4, 18, s[0:1]
	v_add_co_u32_e32 v2, vcc, v0, v5
	v_addc_co_u32_e32 v3, vcc, 0, v1, vcc
	global_load_dword v6, v[2:3], off offset:2
	global_load_ushort v7, v[0:1], off
	s_mov_b32 s1, 0
	s_lshl_b32 s0, s6, 8
	s_lshl_b64 s[0:1], s[0:1], 1
	s_add_u32 s2, s2, s0
	v_mov_b32_e32 v0, 4
	s_addc_u32 s3, s3, s1
	s_getpc_b64 s[0:1]
	s_add_u32 s0, s0, _ZL13kvalues_iq4nl@rel32@lo+4
	s_addc_u32 s1, s1, _ZL13kvalues_iq4nl@rel32@hi+12
	v_mov_b32_e32 v8, s1
	s_waitcnt vmcnt(1)
	v_and_b32_e32 v9, 15, v6
	v_lshrrev_b16_e32 v2, 4, v6
	v_lshrrev_b16_sdwa v0, v0, v6 dst_sel:DWORD dst_unused:UNUSED_PAD src0_sel:DWORD src1_sel:BYTE_3
	v_lshrrev_b32_e32 v1, 8, v6
	v_and_b32_e32 v2, 15, v2
	v_add_co_u32_e32 v0, vcc, s0, v0
	global_load_sbyte v9, v9, s[0:1]
	v_lshrrev_b16_e32 v3, 4, v1
	v_addc_co_u32_e32 v1, vcc, 0, v8, vcc
	v_and_b32_e32 v2, 0xffff, v2
	v_bfe_u32 v10, v6, 8, 4
	v_bfe_u32 v11, v6, 16, 4
	;; [unrolled: 1-line block ×4, first 2 shown]
	v_and_b32_e32 v6, 15, v3
	v_add_co_u32_e32 v2, vcc, s0, v2
	v_addc_co_u32_e32 v3, vcc, 0, v8, vcc
	v_and_b32_e32 v6, 0xffff, v6
	global_load_sbyte v14, v[2:3], off
	global_load_sbyte v15, v10, s[0:1]
	v_add_co_u32_e32 v2, vcc, s0, v6
	v_addc_co_u32_e32 v3, vcc, 0, v8, vcc
	global_load_sbyte v6, v[2:3], off
	global_load_sbyte v8, v11, s[0:1]
	global_load_sbyte v10, v12, s[0:1]
	;; [unrolled: 1-line block ×3, first 2 shown]
	global_load_sbyte v17, v[0:1], off
	v_lshlrev_b32_e32 v0, 6, v4
	v_mov_b32_e32 v2, s3
	v_add_co_u32_e32 v0, vcc, s2, v0
	v_lshlrev_b32_e32 v1, 1, v5
	v_addc_co_u32_e32 v2, vcc, 0, v2, vcc
	v_add_co_u32_e32 v0, vcc, v0, v1
	v_addc_co_u32_e32 v1, vcc, 0, v2, vcc
	s_waitcnt vmcnt(7)
	v_cvt_f32_i32_e32 v3, v9
	v_fma_mixlo_f16 v2, v7, v3, 0 op_sel_hi:[1,0,0]
	s_waitcnt vmcnt(6)
	v_cvt_f32_i32_e32 v4, v14
	s_waitcnt vmcnt(5)
	v_cvt_f32_i32_e32 v5, v15
	;; [unrolled: 2-line block ×7, first 2 shown]
	v_fma_mixlo_f16 v3, v7, v3, 0 op_sel_hi:[1,0,0]
	v_fma_mixlo_f16 v4, v7, v4, 0 op_sel_hi:[1,0,0]
	v_fma_mixhi_f16 v2, v7, v5, 0 op_sel_hi:[1,0,0]
	v_fma_mixlo_f16 v5, v7, v8, 0 op_sel_hi:[1,0,0]
	v_fma_mixhi_f16 v3, v7, v9, 0 op_sel_hi:[1,0,0]
	v_fma_mixhi_f16 v4, v7, v6, 0 op_sel_hi:[1,0,0]
	v_fma_mixhi_f16 v5, v7, v10, 0 op_sel_hi:[1,0,0]
	global_store_dwordx2 v[0:1], v[2:3], off
	global_store_dwordx2 v[0:1], v[4:5], off offset:32
	s_endpgm
	.section	.rodata,"a",@progbits
	.p2align	6, 0x0
	.amdhsa_kernel _ZL23dequantize_block_iq4_nlIN3c104HalfEEvPKvPT_
		.amdhsa_group_segment_fixed_size 0
		.amdhsa_private_segment_fixed_size 0
		.amdhsa_kernarg_size 16
		.amdhsa_user_sgpr_count 6
		.amdhsa_user_sgpr_private_segment_buffer 1
		.amdhsa_user_sgpr_dispatch_ptr 0
		.amdhsa_user_sgpr_queue_ptr 0
		.amdhsa_user_sgpr_kernarg_segment_ptr 1
		.amdhsa_user_sgpr_dispatch_id 0
		.amdhsa_user_sgpr_flat_scratch_init 0
		.amdhsa_user_sgpr_kernarg_preload_length 0
		.amdhsa_user_sgpr_kernarg_preload_offset 0
		.amdhsa_user_sgpr_private_segment_size 0
		.amdhsa_uses_dynamic_stack 0
		.amdhsa_system_sgpr_private_segment_wavefront_offset 0
		.amdhsa_system_sgpr_workgroup_id_x 1
		.amdhsa_system_sgpr_workgroup_id_y 0
		.amdhsa_system_sgpr_workgroup_id_z 0
		.amdhsa_system_sgpr_workgroup_info 0
		.amdhsa_system_vgpr_workitem_id 0
		.amdhsa_next_free_vgpr 18
		.amdhsa_next_free_sgpr 7
		.amdhsa_accum_offset 20
		.amdhsa_reserve_vcc 1
		.amdhsa_reserve_flat_scratch 0
		.amdhsa_float_round_mode_32 0
		.amdhsa_float_round_mode_16_64 0
		.amdhsa_float_denorm_mode_32 3
		.amdhsa_float_denorm_mode_16_64 3
		.amdhsa_dx10_clamp 1
		.amdhsa_ieee_mode 1
		.amdhsa_fp16_overflow 0
		.amdhsa_tg_split 0
		.amdhsa_exception_fp_ieee_invalid_op 0
		.amdhsa_exception_fp_denorm_src 0
		.amdhsa_exception_fp_ieee_div_zero 0
		.amdhsa_exception_fp_ieee_overflow 0
		.amdhsa_exception_fp_ieee_underflow 0
		.amdhsa_exception_fp_ieee_inexact 0
		.amdhsa_exception_int_div_zero 0
	.end_amdhsa_kernel
	.section	.text._ZL23dequantize_block_iq4_nlIN3c104HalfEEvPKvPT_,"axG",@progbits,_ZL23dequantize_block_iq4_nlIN3c104HalfEEvPKvPT_,comdat
.Lfunc_end33:
	.size	_ZL23dequantize_block_iq4_nlIN3c104HalfEEvPKvPT_, .Lfunc_end33-_ZL23dequantize_block_iq4_nlIN3c104HalfEEvPKvPT_
                                        ; -- End function
	.section	.AMDGPU.csdata,"",@progbits
; Kernel info:
; codeLenInByte = 480
; NumSgprs: 11
; NumVgprs: 18
; NumAgprs: 0
; TotalNumVgprs: 18
; ScratchSize: 0
; MemoryBound: 0
; FloatMode: 240
; IeeeMode: 1
; LDSByteSize: 0 bytes/workgroup (compile time only)
; SGPRBlocks: 1
; VGPRBlocks: 2
; NumSGPRsForWavesPerEU: 11
; NumVGPRsForWavesPerEU: 18
; AccumOffset: 20
; Occupancy: 8
; WaveLimiterHint : 0
; COMPUTE_PGM_RSRC2:SCRATCH_EN: 0
; COMPUTE_PGM_RSRC2:USER_SGPR: 6
; COMPUTE_PGM_RSRC2:TRAP_HANDLER: 0
; COMPUTE_PGM_RSRC2:TGID_X_EN: 1
; COMPUTE_PGM_RSRC2:TGID_Y_EN: 0
; COMPUTE_PGM_RSRC2:TGID_Z_EN: 0
; COMPUTE_PGM_RSRC2:TIDIG_COMP_CNT: 0
; COMPUTE_PGM_RSRC3_GFX90A:ACCUM_OFFSET: 4
; COMPUTE_PGM_RSRC3_GFX90A:TG_SPLIT: 0
	.section	.text._ZL22dequantize_block_iq3_sIN3c104HalfEEvPKvPT_,"axG",@progbits,_ZL22dequantize_block_iq3_sIN3c104HalfEEvPKvPT_,comdat
	.globl	_ZL22dequantize_block_iq3_sIN3c104HalfEEvPKvPT_ ; -- Begin function _ZL22dequantize_block_iq3_sIN3c104HalfEEvPKvPT_
	.p2align	8
	.type	_ZL22dequantize_block_iq3_sIN3c104HalfEEvPKvPT_,@function
_ZL22dequantize_block_iq3_sIN3c104HalfEEvPKvPT_: ; @_ZL22dequantize_block_iq3_sIN3c104HalfEEvPKvPT_
; %bb.0:
	s_load_dwordx4 s[0:3], s[4:5], 0x0
	s_lshl_b32 s4, s6, 8
	s_mov_b32 s5, 0
	s_lshl_b64 s[4:5], s[4:5], 1
	v_and_b32_e32 v4, 7, v0
	s_waitcnt lgkmcnt(0)
	s_add_u32 s2, s2, s4
	s_addc_u32 s3, s3, s5
	s_mul_hi_u32 s4, s6, 0x6e
	s_mulk_i32 s6, 0x6e
	s_add_u32 s0, s0, s6
	s_addc_u32 s1, s1, s4
	v_lshlrev_b32_e32 v2, 3, v4
	v_lshrrev_b32_e32 v1, 3, v0
	v_mov_b32_e32 v3, s1
	v_add_co_u32_e32 v2, vcc, s0, v2
	v_addc_co_u32_e32 v3, vcc, 0, v3, vcc
	v_lshlrev_b32_e32 v5, 1, v1
	v_add_co_u32_e32 v2, vcc, v2, v5
	v_addc_co_u32_e32 v3, vcc, 0, v3, vcc
	global_load_ubyte v6, v4, s[0:1] offset:66
	v_bfe_u32 v7, v0, 1, 2
	global_load_ushort v2, v[2:3], off offset:2
	v_mov_b32_e32 v3, 0
	v_lshl_add_u32 v1, v4, 2, v1
	global_load_ubyte v8, v7, s[0:1] offset:106
	global_load_sbyte v9, v1, s[0:1] offset:74
	global_load_ushort v10, v3, s[0:1]
	v_sub_u32_e32 v1, 8, v5
	s_movk_i32 s4, 0x100
	v_sub_u32_e32 v3, 7, v5
	s_getpc_b64 s[0:1]
	s_add_u32 s0, s0, _ZL10iq3xs_grid@rel32@lo+4
	s_addc_u32 s1, s1, _ZL10iq3xs_grid@rel32@hi+12
	s_waitcnt vmcnt(4)
	v_lshlrev_b32_e32 v1, v1, v6
	v_lshlrev_b32_e32 v3, v3, v6
	s_waitcnt vmcnt(3)
	v_and_b32_e32 v5, 0xff, v2
	v_lshrrev_b16_e32 v2, 8, v2
	v_and_or_b32 v1, v1, s4, v5
	v_and_or_b32 v2, v3, s4, v2
	v_lshlrev_b32_e32 v1, 2, v1
	v_lshlrev_b32_e32 v2, 2, v2
	global_load_dword v3, v1, s[0:1]
	global_load_dword v6, v2, s[0:1]
	v_lshlrev_b32_e32 v2, 6, v4
	v_and_b32_e32 v1, 0x3f8, v0
	v_mov_b32_e32 v4, s3
	v_add_co_u32_e32 v2, vcc, s2, v2
	v_lshlrev_b32_e32 v0, 2, v0
	v_lshlrev_b32_e32 v1, 1, v1
	v_addc_co_u32_e32 v5, vcc, 0, v4, vcc
	v_and_b32_e32 v0, 4, v0
	v_add_co_u32_e32 v4, vcc, v2, v1
	s_waitcnt vmcnt(2)
	v_cvt_f32_f16_e32 v1, v10
	v_bfe_u32 v0, v8, v0, 4
	v_cvt_f32_ubyte0_e32 v0, v0
	v_add_f32_e32 v0, 0.5, v0
	v_mul_f32_e32 v0, v0, v1
	v_addc_co_u32_e32 v5, vcc, 0, v5, vcc
	v_and_b32_e32 v2, 1, v9
	v_mul_f32_e32 v0, 0.5, v0
	v_and_b32_e32 v7, 16, v9
	v_cmp_eq_u16_e32 vcc, 0, v2
	v_and_b32_e32 v8, 2, v9
	v_and_b32_e32 v10, 32, v9
	;; [unrolled: 1-line block ×5, first 2 shown]
	s_waitcnt vmcnt(1)
	v_cvt_f32_ubyte0_e32 v1, v3
	s_waitcnt vmcnt(0)
	v_cvt_f32_ubyte0_e32 v14, v6
	v_mul_f32_e32 v1, v0, v1
	v_cvt_f32_ubyte1_e32 v15, v3
	v_mul_f32_e32 v14, v0, v14
	v_cndmask_b32_e64 v1, -v1, v1, vcc
	v_cmp_eq_u16_e32 vcc, 0, v7
	v_cvt_f32_ubyte1_e32 v16, v6
	v_cvt_f32_ubyte2_e32 v17, v3
	v_cvt_f32_ubyte2_e32 v18, v6
	v_cvt_f32_ubyte3_e32 v3, v3
	v_cvt_f32_ubyte3_e32 v6, v6
	v_mul_f32_e32 v15, v0, v15
	v_cndmask_b32_e64 v2, -v14, v14, vcc
	v_cmp_eq_u16_e32 vcc, 0, v8
	v_mul_f32_e32 v16, v0, v16
	v_mul_f32_e32 v17, v0, v17
	;; [unrolled: 1-line block ×5, first 2 shown]
	v_cndmask_b32_e64 v6, -v15, v15, vcc
	v_cmp_eq_u16_e32 vcc, 0, v10
	v_cndmask_b32_e64 v7, -v16, v16, vcc
	v_cmp_eq_u16_e32 vcc, 0, v11
	;; [unrolled: 2-line block ×4, first 2 shown]
	v_cndmask_b32_e64 v3, -v3, v3, vcc
	v_cmp_gt_i16_e32 vcc, 0, v9
	v_cndmask_b32_e64 v0, v0, -v0, vcc
	v_cvt_f16_f32_e32 v9, v1
	v_cvt_f16_f32_e32 v1, v2
	;; [unrolled: 1-line block ×8, first 2 shown]
	v_pack_b32_f16 v3, v7, v0
	v_pack_b32_f16 v2, v1, v2
	;; [unrolled: 1-line block ×4, first 2 shown]
	global_store_dwordx4 v[4:5], v[0:3], off
	s_endpgm
	.section	.rodata,"a",@progbits
	.p2align	6, 0x0
	.amdhsa_kernel _ZL22dequantize_block_iq3_sIN3c104HalfEEvPKvPT_
		.amdhsa_group_segment_fixed_size 0
		.amdhsa_private_segment_fixed_size 0
		.amdhsa_kernarg_size 16
		.amdhsa_user_sgpr_count 6
		.amdhsa_user_sgpr_private_segment_buffer 1
		.amdhsa_user_sgpr_dispatch_ptr 0
		.amdhsa_user_sgpr_queue_ptr 0
		.amdhsa_user_sgpr_kernarg_segment_ptr 1
		.amdhsa_user_sgpr_dispatch_id 0
		.amdhsa_user_sgpr_flat_scratch_init 0
		.amdhsa_user_sgpr_kernarg_preload_length 0
		.amdhsa_user_sgpr_kernarg_preload_offset 0
		.amdhsa_user_sgpr_private_segment_size 0
		.amdhsa_uses_dynamic_stack 0
		.amdhsa_system_sgpr_private_segment_wavefront_offset 0
		.amdhsa_system_sgpr_workgroup_id_x 1
		.amdhsa_system_sgpr_workgroup_id_y 0
		.amdhsa_system_sgpr_workgroup_id_z 0
		.amdhsa_system_sgpr_workgroup_info 0
		.amdhsa_system_vgpr_workitem_id 0
		.amdhsa_next_free_vgpr 19
		.amdhsa_next_free_sgpr 7
		.amdhsa_accum_offset 20
		.amdhsa_reserve_vcc 1
		.amdhsa_reserve_flat_scratch 0
		.amdhsa_float_round_mode_32 0
		.amdhsa_float_round_mode_16_64 0
		.amdhsa_float_denorm_mode_32 3
		.amdhsa_float_denorm_mode_16_64 3
		.amdhsa_dx10_clamp 1
		.amdhsa_ieee_mode 1
		.amdhsa_fp16_overflow 0
		.amdhsa_tg_split 0
		.amdhsa_exception_fp_ieee_invalid_op 0
		.amdhsa_exception_fp_denorm_src 0
		.amdhsa_exception_fp_ieee_div_zero 0
		.amdhsa_exception_fp_ieee_overflow 0
		.amdhsa_exception_fp_ieee_underflow 0
		.amdhsa_exception_fp_ieee_inexact 0
		.amdhsa_exception_int_div_zero 0
	.end_amdhsa_kernel
	.section	.text._ZL22dequantize_block_iq3_sIN3c104HalfEEvPKvPT_,"axG",@progbits,_ZL22dequantize_block_iq3_sIN3c104HalfEEvPKvPT_,comdat
.Lfunc_end34:
	.size	_ZL22dequantize_block_iq3_sIN3c104HalfEEvPKvPT_, .Lfunc_end34-_ZL22dequantize_block_iq3_sIN3c104HalfEEvPKvPT_
                                        ; -- End function
	.section	.AMDGPU.csdata,"",@progbits
; Kernel info:
; codeLenInByte = 596
; NumSgprs: 11
; NumVgprs: 19
; NumAgprs: 0
; TotalNumVgprs: 19
; ScratchSize: 0
; MemoryBound: 0
; FloatMode: 240
; IeeeMode: 1
; LDSByteSize: 0 bytes/workgroup (compile time only)
; SGPRBlocks: 1
; VGPRBlocks: 2
; NumSGPRsForWavesPerEU: 11
; NumVGPRsForWavesPerEU: 19
; AccumOffset: 20
; Occupancy: 8
; WaveLimiterHint : 0
; COMPUTE_PGM_RSRC2:SCRATCH_EN: 0
; COMPUTE_PGM_RSRC2:USER_SGPR: 6
; COMPUTE_PGM_RSRC2:TRAP_HANDLER: 0
; COMPUTE_PGM_RSRC2:TGID_X_EN: 1
; COMPUTE_PGM_RSRC2:TGID_Y_EN: 0
; COMPUTE_PGM_RSRC2:TGID_Z_EN: 0
; COMPUTE_PGM_RSRC2:TIDIG_COMP_CNT: 0
; COMPUTE_PGM_RSRC3_GFX90A:ACCUM_OFFSET: 4
; COMPUTE_PGM_RSRC3_GFX90A:TG_SPLIT: 0
	.section	.text._ZL22dequantize_block_iq2_sIN3c104HalfEEvPKvPT_,"axG",@progbits,_ZL22dequantize_block_iq2_sIN3c104HalfEEvPKvPT_,comdat
	.globl	_ZL22dequantize_block_iq2_sIN3c104HalfEEvPKvPT_ ; -- Begin function _ZL22dequantize_block_iq2_sIN3c104HalfEEvPKvPT_
	.p2align	8
	.type	_ZL22dequantize_block_iq2_sIN3c104HalfEEvPKvPT_,@function
_ZL22dequantize_block_iq2_sIN3c104HalfEEvPKvPT_: ; @_ZL22dequantize_block_iq2_sIN3c104HalfEEvPKvPT_
; %bb.0:
	s_load_dwordx4 s[0:3], s[4:5], 0x0
	s_lshl_b32 s4, s6, 8
	s_mov_b32 s5, 0
	s_lshl_b64 s[4:5], s[4:5], 1
	v_and_b32_e32 v4, 7, v0
	s_waitcnt lgkmcnt(0)
	s_add_u32 s4, s2, s4
	s_addc_u32 s5, s3, s5
	s_mul_hi_u32 s2, s6, 0x52
	s_mulk_i32 s6, 0x52
	s_add_u32 s0, s0, s6
	v_lshrrev_b32_e32 v1, 3, v0
	s_addc_u32 s1, s1, s2
	v_lshlrev_b32_e32 v2, 2, v4
	v_add_u32_e32 v3, v2, v1
	global_load_ubyte v5, v4, s[0:1] offset:66
	global_load_ubyte v6, v3, s[0:1] offset:2
	v_add_co_u32_e32 v2, vcc, v1, v2
	v_addc_co_u32_e64 v3, s[2:3], 0, 0, vcc
	s_add_u32 s2, s0, 2
	s_addc_u32 s3, s1, 0
	v_mov_b32_e32 v8, s3
	v_add_co_u32_e32 v2, vcc, s2, v2
	v_addc_co_u32_e32 v3, vcc, v8, v3, vcc
	v_lshlrev_b32_e32 v1, 1, v1
	v_mov_b32_e32 v7, 0
	global_load_sbyte v8, v[2:3], off offset:32
	global_load_ushort v9, v7, s[0:1]
	global_load_ubyte v10, v4, s[0:1] offset:74
	v_sub_u32_e32 v1, 8, v1
	s_movk_i32 s2, 0x300
	s_getpc_b64 s[0:1]
	s_add_u32 s0, s0, _ZL9iq2s_grid@rel32@lo+4
	s_addc_u32 s1, s1, _ZL9iq2s_grid@rel32@hi+12
	v_lshlrev_b32_e32 v4, 6, v4
	v_add_co_u32_e32 v4, vcc, s4, v4
	s_waitcnt vmcnt(4)
	v_lshlrev_b32_e32 v1, v1, v5
	s_waitcnt vmcnt(3)
	v_and_or_b32 v1, v1, s2, v6
	v_lshlrev_b32_e32 v1, 3, v1
	global_load_dwordx2 v[2:3], v1, s[0:1]
	v_and_b32_e32 v1, 0x3f8, v0
	v_mov_b32_e32 v5, s5
	v_lshrrev_b32_e32 v0, 2, v0
	v_lshlrev_b32_e32 v1, 1, v1
	v_addc_co_u32_e32 v5, vcc, 0, v5, vcc
	v_and_b32_e32 v0, 0xfc, v0
	v_add_co_u32_e32 v4, vcc, v4, v1
	v_addc_co_u32_e32 v5, vcc, 0, v5, vcc
	s_waitcnt vmcnt(2)
	v_cvt_f32_f16_e32 v1, v9
	s_waitcnt vmcnt(1)
	v_bfe_u32 v0, v10, v0, 4
	v_cvt_f32_ubyte0_e32 v0, v0
	v_add_f32_e32 v0, 0.5, v0
	v_mul_f32_e32 v0, v0, v1
	v_and_b32_e32 v6, 1, v8
	v_mul_f32_e32 v0, 0x3e800000, v0
	v_and_b32_e32 v7, 2, v8
	v_cmp_eq_u16_e32 vcc, 0, v6
	v_and_b32_e32 v9, 4, v8
	v_and_b32_e32 v10, 8, v8
	;; [unrolled: 1-line block ×5, first 2 shown]
	s_waitcnt vmcnt(0)
	v_cvt_f32_ubyte0_e32 v1, v2
	v_cvt_f32_ubyte1_e32 v14, v2
	v_mul_f32_e32 v1, v0, v1
	v_cvt_f32_ubyte2_e32 v15, v2
	v_cvt_f32_ubyte3_e32 v2, v2
	v_cvt_f32_ubyte0_e32 v16, v3
	v_cvt_f32_ubyte1_e32 v17, v3
	v_cvt_f32_ubyte2_e32 v18, v3
	v_cvt_f32_ubyte3_e32 v3, v3
	v_mul_f32_e32 v14, v0, v14
	v_cndmask_b32_e64 v1, -v1, v1, vcc
	v_cmp_eq_u16_e32 vcc, 0, v7
	v_mul_f32_e32 v15, v0, v15
	v_mul_f32_e32 v2, v0, v2
	;; [unrolled: 1-line block ×6, first 2 shown]
	v_cndmask_b32_e64 v3, -v14, v14, vcc
	v_cmp_eq_u16_e32 vcc, 0, v9
	v_cndmask_b32_e64 v6, -v15, v15, vcc
	v_cmp_eq_u16_e32 vcc, 0, v10
	;; [unrolled: 2-line block ×5, first 2 shown]
	v_cndmask_b32_e64 v10, -v18, v18, vcc
	v_cmp_gt_i16_e32 vcc, 0, v8
	v_cndmask_b32_e64 v0, v0, -v0, vcc
	v_cvt_f16_f32_e32 v8, v1
	v_cvt_f16_f32_e32 v1, v6
	;; [unrolled: 1-line block ×8, first 2 shown]
	v_pack_b32_f16 v3, v7, v0
	v_pack_b32_f16 v2, v6, v9
	;; [unrolled: 1-line block ×4, first 2 shown]
	global_store_dwordx4 v[4:5], v[0:3], off
	s_endpgm
	.section	.rodata,"a",@progbits
	.p2align	6, 0x0
	.amdhsa_kernel _ZL22dequantize_block_iq2_sIN3c104HalfEEvPKvPT_
		.amdhsa_group_segment_fixed_size 0
		.amdhsa_private_segment_fixed_size 0
		.amdhsa_kernarg_size 16
		.amdhsa_user_sgpr_count 6
		.amdhsa_user_sgpr_private_segment_buffer 1
		.amdhsa_user_sgpr_dispatch_ptr 0
		.amdhsa_user_sgpr_queue_ptr 0
		.amdhsa_user_sgpr_kernarg_segment_ptr 1
		.amdhsa_user_sgpr_dispatch_id 0
		.amdhsa_user_sgpr_flat_scratch_init 0
		.amdhsa_user_sgpr_kernarg_preload_length 0
		.amdhsa_user_sgpr_kernarg_preload_offset 0
		.amdhsa_user_sgpr_private_segment_size 0
		.amdhsa_uses_dynamic_stack 0
		.amdhsa_system_sgpr_private_segment_wavefront_offset 0
		.amdhsa_system_sgpr_workgroup_id_x 1
		.amdhsa_system_sgpr_workgroup_id_y 0
		.amdhsa_system_sgpr_workgroup_id_z 0
		.amdhsa_system_sgpr_workgroup_info 0
		.amdhsa_system_vgpr_workitem_id 0
		.amdhsa_next_free_vgpr 19
		.amdhsa_next_free_sgpr 7
		.amdhsa_accum_offset 20
		.amdhsa_reserve_vcc 1
		.amdhsa_reserve_flat_scratch 0
		.amdhsa_float_round_mode_32 0
		.amdhsa_float_round_mode_16_64 0
		.amdhsa_float_denorm_mode_32 3
		.amdhsa_float_denorm_mode_16_64 3
		.amdhsa_dx10_clamp 1
		.amdhsa_ieee_mode 1
		.amdhsa_fp16_overflow 0
		.amdhsa_tg_split 0
		.amdhsa_exception_fp_ieee_invalid_op 0
		.amdhsa_exception_fp_denorm_src 0
		.amdhsa_exception_fp_ieee_div_zero 0
		.amdhsa_exception_fp_ieee_overflow 0
		.amdhsa_exception_fp_ieee_underflow 0
		.amdhsa_exception_fp_ieee_inexact 0
		.amdhsa_exception_int_div_zero 0
	.end_amdhsa_kernel
	.section	.text._ZL22dequantize_block_iq2_sIN3c104HalfEEvPKvPT_,"axG",@progbits,_ZL22dequantize_block_iq2_sIN3c104HalfEEvPKvPT_,comdat
.Lfunc_end35:
	.size	_ZL22dequantize_block_iq2_sIN3c104HalfEEvPKvPT_, .Lfunc_end35-_ZL22dequantize_block_iq2_sIN3c104HalfEEvPKvPT_
                                        ; -- End function
	.section	.AMDGPU.csdata,"",@progbits
; Kernel info:
; codeLenInByte = 564
; NumSgprs: 11
; NumVgprs: 19
; NumAgprs: 0
; TotalNumVgprs: 19
; ScratchSize: 0
; MemoryBound: 0
; FloatMode: 240
; IeeeMode: 1
; LDSByteSize: 0 bytes/workgroup (compile time only)
; SGPRBlocks: 1
; VGPRBlocks: 2
; NumSGPRsForWavesPerEU: 11
; NumVGPRsForWavesPerEU: 19
; AccumOffset: 20
; Occupancy: 8
; WaveLimiterHint : 0
; COMPUTE_PGM_RSRC2:SCRATCH_EN: 0
; COMPUTE_PGM_RSRC2:USER_SGPR: 6
; COMPUTE_PGM_RSRC2:TRAP_HANDLER: 0
; COMPUTE_PGM_RSRC2:TGID_X_EN: 1
; COMPUTE_PGM_RSRC2:TGID_Y_EN: 0
; COMPUTE_PGM_RSRC2:TGID_Z_EN: 0
; COMPUTE_PGM_RSRC2:TIDIG_COMP_CNT: 0
; COMPUTE_PGM_RSRC3_GFX90A:ACCUM_OFFSET: 4
; COMPUTE_PGM_RSRC3_GFX90A:TG_SPLIT: 0
	.section	.text._ZL23dequantize_block_iq4_xsIN3c104HalfEEvPKvPT_,"axG",@progbits,_ZL23dequantize_block_iq4_xsIN3c104HalfEEvPKvPT_,comdat
	.globl	_ZL23dequantize_block_iq4_xsIN3c104HalfEEvPKvPT_ ; -- Begin function _ZL23dequantize_block_iq4_xsIN3c104HalfEEvPKvPT_
	.p2align	8
	.type	_ZL23dequantize_block_iq4_xsIN3c104HalfEEvPKvPT_,@function
_ZL23dequantize_block_iq4_xsIN3c104HalfEEvPKvPT_: ; @_ZL23dequantize_block_iq4_xsIN3c104HalfEEvPKvPT_
; %bb.0:
	s_load_dwordx4 s[0:3], s[4:5], 0x0
	s_lshl_b32 s4, s6, 8
	s_mov_b32 s5, 0
	s_lshl_b64 s[4:5], s[4:5], 1
	v_and_b32_e32 v1, 7, v0
	s_waitcnt lgkmcnt(0)
	s_add_u32 s2, s2, s4
	s_addc_u32 s3, s3, s5
	s_mul_hi_u32 s4, s6, 0x88
	s_mulk_i32 s6, 0x88
	v_lshrrev_b32_e32 v2, 1, v0
	s_add_u32 s0, s0, s6
	v_and_b32_e32 v6, 0x1fc, v2
	s_addc_u32 s1, s1, s4
	v_lshlrev_b32_e32 v2, 4, v1
	v_mov_b32_e32 v3, s1
	v_add_co_u32_e32 v2, vcc, s0, v2
	v_addc_co_u32_e32 v3, vcc, 0, v3, vcc
	v_add_co_u32_e32 v2, vcc, v2, v6
	v_addc_co_u32_e32 v3, vcc, 0, v3, vcc
	global_load_dword v2, v[2:3], off offset:8
	v_mov_b32_e32 v3, 0
	global_load_dword v7, v3, s[0:1]
	v_bfe_u32 v3, v0, 1, 2
	global_load_ubyte v8, v3, s[0:1] offset:4
	v_mov_b32_e32 v3, 4
	s_getpc_b64 s[0:1]
	s_add_u32 s0, s0, _ZL13kvalues_iq4nl@rel32@lo+4
	s_addc_u32 s1, s1, _ZL13kvalues_iq4nl@rel32@hi+12
	v_mov_b32_e32 v9, s1
	v_lshlrev_b32_e32 v0, 2, v0
	v_and_b32_e32 v0, 4, v0
	s_waitcnt vmcnt(2)
	v_lshrrev_b32_e32 v4, 8, v2
	v_and_b32_e32 v10, 15, v2
	v_lshrrev_b16_e32 v5, 4, v2
	v_bfe_u32 v11, v2, 8, 4
	v_bfe_u32 v12, v2, 16, 4
	;; [unrolled: 1-line block ×4, first 2 shown]
	v_lshrrev_b16_sdwa v2, v3, v2 dst_sel:DWORD dst_unused:UNUSED_PAD src0_sel:DWORD src1_sel:BYTE_3
	v_and_b32_e32 v5, 15, v5
	v_add_co_u32_e32 v2, vcc, s0, v2
	v_lshrrev_b16_e32 v4, 4, v4
	v_addc_co_u32_e32 v3, vcc, 0, v9, vcc
	v_and_b32_e32 v5, 0xffff, v5
	v_and_b32_e32 v15, 15, v4
	v_add_co_u32_e32 v4, vcc, s0, v5
	v_addc_co_u32_e32 v5, vcc, 0, v9, vcc
	v_and_b32_e32 v15, 0xffff, v15
	global_load_sbyte v16, v10, s[0:1]
	global_load_sbyte v17, v[4:5], off
	global_load_sbyte v18, v11, s[0:1]
	v_add_co_u32_e32 v4, vcc, s0, v15
	v_addc_co_u32_e32 v5, vcc, 0, v9, vcc
	global_load_sbyte v9, v[4:5], off
	global_load_sbyte v10, v12, s[0:1]
	global_load_sbyte v11, v13, s[0:1]
	;; [unrolled: 1-line block ×3, first 2 shown]
	global_load_sbyte v19, v[2:3], off
	v_lshlrev_b32_e32 v2, 6, v1
	v_lshlrev_b32_e32 v1, 1, v1
	s_waitcnt vmcnt(9)
	v_lshrrev_b32_sdwa v1, v1, v7 dst_sel:DWORD dst_unused:UNUSED_PAD src0_sel:DWORD src1_sel:WORD_1
	s_waitcnt vmcnt(8)
	v_bfe_u32 v0, v8, v0, 4
	v_lshlrev_b32_e32 v1, 4, v1
	v_and_or_b32 v0, v1, 48, v0
	v_subrev_u32_e32 v0, 32, v0
	v_lshlrev_b32_e32 v3, 1, v6
	v_cvt_f32_f16_e32 v5, v7
	v_cvt_f32_i32_e32 v6, v0
	v_mov_b32_e32 v4, s3
	v_add_co_u32_e32 v2, vcc, s2, v2
	v_addc_co_u32_e32 v4, vcc, 0, v4, vcc
	v_add_co_u32_e32 v0, vcc, v2, v3
	v_mul_f32_e32 v6, v5, v6
	v_addc_co_u32_e32 v1, vcc, 0, v4, vcc
	s_waitcnt vmcnt(7)
	v_cvt_f32_i32_e32 v2, v16
	s_waitcnt vmcnt(6)
	v_cvt_f32_i32_e32 v3, v17
	;; [unrolled: 2-line block ×8, first 2 shown]
	v_fma_mixlo_f16 v2, v6, v2, 0
	v_fma_mixlo_f16 v4, v6, v3, 0
	;; [unrolled: 1-line block ×3, first 2 shown]
	v_fma_mixhi_f16 v2, v6, v5, 0
	v_fma_mixlo_f16 v5, v6, v9, 0
	v_fma_mixhi_f16 v3, v6, v10, 0
	v_fma_mixhi_f16 v4, v6, v7, 0
	;; [unrolled: 1-line block ×3, first 2 shown]
	global_store_dwordx2 v[0:1], v[2:3], off
	global_store_dwordx2 v[0:1], v[4:5], off offset:32
	s_endpgm
	.section	.rodata,"a",@progbits
	.p2align	6, 0x0
	.amdhsa_kernel _ZL23dequantize_block_iq4_xsIN3c104HalfEEvPKvPT_
		.amdhsa_group_segment_fixed_size 0
		.amdhsa_private_segment_fixed_size 0
		.amdhsa_kernarg_size 16
		.amdhsa_user_sgpr_count 6
		.amdhsa_user_sgpr_private_segment_buffer 1
		.amdhsa_user_sgpr_dispatch_ptr 0
		.amdhsa_user_sgpr_queue_ptr 0
		.amdhsa_user_sgpr_kernarg_segment_ptr 1
		.amdhsa_user_sgpr_dispatch_id 0
		.amdhsa_user_sgpr_flat_scratch_init 0
		.amdhsa_user_sgpr_kernarg_preload_length 0
		.amdhsa_user_sgpr_kernarg_preload_offset 0
		.amdhsa_user_sgpr_private_segment_size 0
		.amdhsa_uses_dynamic_stack 0
		.amdhsa_system_sgpr_private_segment_wavefront_offset 0
		.amdhsa_system_sgpr_workgroup_id_x 1
		.amdhsa_system_sgpr_workgroup_id_y 0
		.amdhsa_system_sgpr_workgroup_id_z 0
		.amdhsa_system_sgpr_workgroup_info 0
		.amdhsa_system_vgpr_workitem_id 0
		.amdhsa_next_free_vgpr 20
		.amdhsa_next_free_sgpr 7
		.amdhsa_accum_offset 20
		.amdhsa_reserve_vcc 1
		.amdhsa_reserve_flat_scratch 0
		.amdhsa_float_round_mode_32 0
		.amdhsa_float_round_mode_16_64 0
		.amdhsa_float_denorm_mode_32 3
		.amdhsa_float_denorm_mode_16_64 3
		.amdhsa_dx10_clamp 1
		.amdhsa_ieee_mode 1
		.amdhsa_fp16_overflow 0
		.amdhsa_tg_split 0
		.amdhsa_exception_fp_ieee_invalid_op 0
		.amdhsa_exception_fp_denorm_src 0
		.amdhsa_exception_fp_ieee_div_zero 0
		.amdhsa_exception_fp_ieee_overflow 0
		.amdhsa_exception_fp_ieee_underflow 0
		.amdhsa_exception_fp_ieee_inexact 0
		.amdhsa_exception_int_div_zero 0
	.end_amdhsa_kernel
	.section	.text._ZL23dequantize_block_iq4_xsIN3c104HalfEEvPKvPT_,"axG",@progbits,_ZL23dequantize_block_iq4_xsIN3c104HalfEEvPKvPT_,comdat
.Lfunc_end36:
	.size	_ZL23dequantize_block_iq4_xsIN3c104HalfEEvPKvPT_, .Lfunc_end36-_ZL23dequantize_block_iq4_xsIN3c104HalfEEvPKvPT_
                                        ; -- End function
	.section	.AMDGPU.csdata,"",@progbits
; Kernel info:
; codeLenInByte = 568
; NumSgprs: 11
; NumVgprs: 20
; NumAgprs: 0
; TotalNumVgprs: 20
; ScratchSize: 0
; MemoryBound: 0
; FloatMode: 240
; IeeeMode: 1
; LDSByteSize: 0 bytes/workgroup (compile time only)
; SGPRBlocks: 1
; VGPRBlocks: 2
; NumSGPRsForWavesPerEU: 11
; NumVGPRsForWavesPerEU: 20
; AccumOffset: 20
; Occupancy: 8
; WaveLimiterHint : 0
; COMPUTE_PGM_RSRC2:SCRATCH_EN: 0
; COMPUTE_PGM_RSRC2:USER_SGPR: 6
; COMPUTE_PGM_RSRC2:TRAP_HANDLER: 0
; COMPUTE_PGM_RSRC2:TGID_X_EN: 1
; COMPUTE_PGM_RSRC2:TGID_Y_EN: 0
; COMPUTE_PGM_RSRC2:TGID_Z_EN: 0
; COMPUTE_PGM_RSRC2:TIDIG_COMP_CNT: 0
; COMPUTE_PGM_RSRC3_GFX90A:ACCUM_OFFSET: 4
; COMPUTE_PGM_RSRC3_GFX90A:TG_SPLIT: 0
	.section	.text._ZL22dequantize_block_iq1_mIN3c104HalfEEvPKvPT_,"axG",@progbits,_ZL22dequantize_block_iq1_mIN3c104HalfEEvPKvPT_,comdat
	.globl	_ZL22dequantize_block_iq1_mIN3c104HalfEEvPKvPT_ ; -- Begin function _ZL22dequantize_block_iq1_mIN3c104HalfEEvPKvPT_
	.p2align	8
	.type	_ZL22dequantize_block_iq1_mIN3c104HalfEEvPKvPT_,@function
_ZL22dequantize_block_iq1_mIN3c104HalfEEvPKvPT_: ; @_ZL22dequantize_block_iq1_mIN3c104HalfEEvPKvPT_
; %bb.0:
	s_load_dwordx4 s[0:3], s[4:5], 0x0
	s_mov_b32 s7, 0
	s_lshl_b64 s[4:5], s[6:7], 9
	v_and_b32_e32 v4, 7, v0
	v_lshlrev_b32_e32 v2, 1, v4
	s_waitcnt lgkmcnt(0)
	s_add_u32 s4, s2, s4
	s_addc_u32 s5, s3, s5
	s_mul_i32 s3, s6, 56
	s_mul_hi_u32 s2, s6, 56
	s_add_u32 s0, s0, s3
	v_lshrrev_b32_e32 v3, 4, v0
	s_addc_u32 s1, s1, s2
	v_add_co_u32_e32 v5, vcc, v2, v3
	v_addc_co_u32_e64 v3, s[2:3], 0, 0, vcc
	v_mov_b32_e32 v6, s1
	v_add_co_u32_e32 v2, vcc, s0, v5
	v_addc_co_u32_e32 v3, vcc, v6, v3, vcc
	v_lshrrev_b32_e32 v1, 3, v0
	global_load_ubyte v6, v[2:3], off offset:32
	v_lshlrev_b32_e32 v2, 2, v4
	v_add_co_u32_e32 v1, vcc, v2, v1
	v_addc_co_u32_e64 v3, s[2:3], 0, 0, vcc
	v_mov_b32_e32 v7, s1
	v_add_co_u32_e32 v2, vcc, s0, v1
	v_addc_co_u32_e32 v3, vcc, v7, v3, vcc
	global_load_ubyte v1, v[2:3], off
	v_mov_b32_e32 v2, 0
	global_load_dwordx2 v[2:3], v2, s[0:1] offset:48
	v_lshrrev_b32_e32 v7, 1, v5
	v_lshrrev_b32_e32 v8, 1, v0
	v_and_b32_e32 v7, 62, v7
	global_load_ushort v7, v7, s[0:1] offset:48
	v_and_b32_e32 v8, 4, v8
	s_movk_i32 s2, 0x700
	s_getpc_b64 s[0:1]
	s_add_u32 s0, s0, _ZL13iq1s_grid_gpu@rel32@lo+4
	s_addc_u32 s1, s1, _ZL13iq1s_grid_gpu@rel32@hi+12
	v_lshlrev_b32_e32 v4, 6, v4
	v_and_b32_e32 v5, 3, v5
	v_and_b32_e32 v0, 0x3f8, v0
	v_mul_u32_u24_e32 v11, 3, v5
	v_mov_b32_e32 v5, s5
	v_add_co_u32_e32 v4, vcc, s4, v4
	v_lshlrev_b32_e32 v0, 1, v0
	v_addc_co_u32_e32 v5, vcc, 0, v5, vcc
	v_add_co_u32_e32 v4, vcc, v4, v0
	v_addc_co_u32_e32 v5, vcc, 0, v5, vcc
	v_mov_b32_e32 v9, 0xbf900000
	v_mov_b32_e32 v10, 0xbf600000
	s_waitcnt vmcnt(3)
	v_lshrrev_b32_e32 v6, v8, v6
	v_lshlrev_b32_e32 v8, 8, v6
	s_waitcnt vmcnt(2)
	v_and_or_b32 v1, v8, s2, v1
	v_lshlrev_b32_e32 v1, 3, v1
	global_load_dword v1, v1, s[0:1]
	v_mov_b32_e32 v8, 0xffff
	s_waitcnt vmcnt(2)
	v_and_b32_sdwa v0, v8, v2 dst_sel:DWORD dst_unused:UNUSED_PAD src0_sel:DWORD src1_sel:WORD_1
	s_mov_b32 s0, 0x40008
	v_lshl_or_b32 v0, v3, 16, v0
	v_pk_lshrrev_b16 v0, s0, v0
	v_bfe_u32 v2, v2, 12, 4
	v_and_b32_e32 v0, 0xf0000f0, v0
	s_mov_b32 s1, 0xf000
	v_or_b32_e32 v2, v0, v2
	v_and_b32_sdwa v8, v3, s1 dst_sel:DWORD dst_unused:UNUSED_PAD src0_sel:WORD_1 src1_sel:DWORD
	v_or_b32_sdwa v0, v2, v0 dst_sel:DWORD dst_unused:UNUSED_PAD src0_sel:DWORD src1_sel:WORD_1
	v_or_b32_e32 v0, v0, v8
	s_waitcnt vmcnt(1)
	v_lshrrev_b32_e32 v7, v11, v7
	v_cvt_f32_f16_e32 v2, v0
	v_lshlrev_b32_e32 v3, 1, v7
	v_and_or_b32 v3, v3, 14, 1
	v_and_b32_e32 v0, 8, v6
	v_cvt_f32_ubyte0_e32 v3, v3
	v_cmp_eq_u32_e32 vcc, 0, v0
	v_cndmask_b32_e32 v0, v9, v10, vcc
	v_mul_f32_e32 v2, v2, v3
	s_waitcnt vmcnt(0)
	v_and_b32_e32 v3, 0xf0f0f0f, v1
	v_bfe_u32 v6, v1, 16, 4
	v_bfe_u32 v8, v1, 8, 4
	v_and_b32_e32 v10, 15, v1
	v_lshrrev_b32_e32 v11, 28, v1
	v_bfe_u32 v12, v1, 20, 4
	v_bfe_u32 v13, v1, 12, 4
	;; [unrolled: 1-line block ×3, first 2 shown]
	v_cvt_f32_ubyte3_e32 v7, v3
	v_cvt_f32_ubyte0_e32 v6, v6
	v_cvt_f32_ubyte0_e32 v9, v8
	;; [unrolled: 1-line block ×7, first 2 shown]
	v_pk_add_f32 v[8:9], v[0:1], v[8:9] op_sel_hi:[0,1]
	v_pk_add_f32 v[6:7], v[0:1], v[6:7] op_sel_hi:[0,1]
	;; [unrolled: 1-line block ×4, first 2 shown]
	v_pk_mul_f32 v[6:7], v[2:3], v[6:7] op_sel_hi:[0,1]
	v_pk_mul_f32 v[8:9], v[2:3], v[8:9] op_sel_hi:[0,1]
	;; [unrolled: 1-line block ×4, first 2 shown]
	v_cvt_f16_f32_e32 v9, v9
	v_cvt_f16_f32_e32 v7, v7
	;; [unrolled: 1-line block ×8, first 2 shown]
	v_pack_b32_f16 v3, v0, v1
	v_pack_b32_f16 v2, v2, v10
	;; [unrolled: 1-line block ×4, first 2 shown]
	global_store_dwordx4 v[4:5], v[0:3], off
	s_endpgm
	.section	.rodata,"a",@progbits
	.p2align	6, 0x0
	.amdhsa_kernel _ZL22dequantize_block_iq1_mIN3c104HalfEEvPKvPT_
		.amdhsa_group_segment_fixed_size 0
		.amdhsa_private_segment_fixed_size 0
		.amdhsa_kernarg_size 16
		.amdhsa_user_sgpr_count 6
		.amdhsa_user_sgpr_private_segment_buffer 1
		.amdhsa_user_sgpr_dispatch_ptr 0
		.amdhsa_user_sgpr_queue_ptr 0
		.amdhsa_user_sgpr_kernarg_segment_ptr 1
		.amdhsa_user_sgpr_dispatch_id 0
		.amdhsa_user_sgpr_flat_scratch_init 0
		.amdhsa_user_sgpr_kernarg_preload_length 0
		.amdhsa_user_sgpr_kernarg_preload_offset 0
		.amdhsa_user_sgpr_private_segment_size 0
		.amdhsa_uses_dynamic_stack 0
		.amdhsa_system_sgpr_private_segment_wavefront_offset 0
		.amdhsa_system_sgpr_workgroup_id_x 1
		.amdhsa_system_sgpr_workgroup_id_y 0
		.amdhsa_system_sgpr_workgroup_id_z 0
		.amdhsa_system_sgpr_workgroup_info 0
		.amdhsa_system_vgpr_workitem_id 0
		.amdhsa_next_free_vgpr 14
		.amdhsa_next_free_sgpr 8
		.amdhsa_accum_offset 16
		.amdhsa_reserve_vcc 1
		.amdhsa_reserve_flat_scratch 0
		.amdhsa_float_round_mode_32 0
		.amdhsa_float_round_mode_16_64 0
		.amdhsa_float_denorm_mode_32 3
		.amdhsa_float_denorm_mode_16_64 3
		.amdhsa_dx10_clamp 1
		.amdhsa_ieee_mode 1
		.amdhsa_fp16_overflow 0
		.amdhsa_tg_split 0
		.amdhsa_exception_fp_ieee_invalid_op 0
		.amdhsa_exception_fp_denorm_src 0
		.amdhsa_exception_fp_ieee_div_zero 0
		.amdhsa_exception_fp_ieee_overflow 0
		.amdhsa_exception_fp_ieee_underflow 0
		.amdhsa_exception_fp_ieee_inexact 0
		.amdhsa_exception_int_div_zero 0
	.end_amdhsa_kernel
	.section	.text._ZL22dequantize_block_iq1_mIN3c104HalfEEvPKvPT_,"axG",@progbits,_ZL22dequantize_block_iq1_mIN3c104HalfEEvPKvPT_,comdat
.Lfunc_end37:
	.size	_ZL22dequantize_block_iq1_mIN3c104HalfEEvPKvPT_, .Lfunc_end37-_ZL22dequantize_block_iq1_mIN3c104HalfEEvPKvPT_
                                        ; -- End function
	.section	.AMDGPU.csdata,"",@progbits
; Kernel info:
; codeLenInByte = 652
; NumSgprs: 12
; NumVgprs: 14
; NumAgprs: 0
; TotalNumVgprs: 14
; ScratchSize: 0
; MemoryBound: 0
; FloatMode: 240
; IeeeMode: 1
; LDSByteSize: 0 bytes/workgroup (compile time only)
; SGPRBlocks: 1
; VGPRBlocks: 1
; NumSGPRsForWavesPerEU: 12
; NumVGPRsForWavesPerEU: 14
; AccumOffset: 16
; Occupancy: 8
; WaveLimiterHint : 0
; COMPUTE_PGM_RSRC2:SCRATCH_EN: 0
; COMPUTE_PGM_RSRC2:USER_SGPR: 6
; COMPUTE_PGM_RSRC2:TRAP_HANDLER: 0
; COMPUTE_PGM_RSRC2:TGID_X_EN: 1
; COMPUTE_PGM_RSRC2:TGID_Y_EN: 0
; COMPUTE_PGM_RSRC2:TGID_Z_EN: 0
; COMPUTE_PGM_RSRC2:TIDIG_COMP_CNT: 0
; COMPUTE_PGM_RSRC3_GFX90A:ACCUM_OFFSET: 3
; COMPUTE_PGM_RSRC3_GFX90A:TG_SPLIT: 0
	.section	.text._ZL16dequantize_blockILi32ELi2EXadL_ZL15dequantize_q4_0PKviiR7__half2EEN3c108BFloat16EEvS1_PT2_l,"axG",@progbits,_ZL16dequantize_blockILi32ELi2EXadL_ZL15dequantize_q4_0PKviiR7__half2EEN3c108BFloat16EEvS1_PT2_l,comdat
	.globl	_ZL16dequantize_blockILi32ELi2EXadL_ZL15dequantize_q4_0PKviiR7__half2EEN3c108BFloat16EEvS1_PT2_l ; -- Begin function _ZL16dequantize_blockILi32ELi2EXadL_ZL15dequantize_q4_0PKviiR7__half2EEN3c108BFloat16EEvS1_PT2_l
	.p2align	8
	.type	_ZL16dequantize_blockILi32ELi2EXadL_ZL15dequantize_q4_0PKviiR7__half2EEN3c108BFloat16EEvS1_PT2_l,@function
_ZL16dequantize_blockILi32ELi2EXadL_ZL15dequantize_q4_0PKviiR7__half2EEN3c108BFloat16EEvS1_PT2_l: ; @_ZL16dequantize_blockILi32ELi2EXadL_ZL15dequantize_q4_0PKviiR7__half2EEN3c108BFloat16EEvS1_PT2_l
; %bb.0:
	s_load_dword s2, s[4:5], 0x24
	s_load_dwordx2 s[0:1], s[4:5], 0x10
	v_mov_b32_e32 v1, 0
	v_mov_b32_e32 v2, s6
	s_waitcnt lgkmcnt(0)
	s_and_b32 s2, s2, 0xffff
	v_mad_u64_u32 v[2:3], s[2:3], s2, v2, v[0:1]
	v_lshlrev_b64 v[0:1], 1, v[2:3]
	v_cmp_gt_i64_e32 vcc, s[0:1], v[0:1]
	s_and_saveexec_b64 s[0:1], vcc
	s_cbranch_execz .LBB38_2
; %bb.1:
	s_load_dwordx4 s[0:3], s[4:5], 0x0
	v_and_b32_e32 v1, 15, v2
	v_alignbit_b32 v2, v3, v2, 4
	s_movk_i32 s4, 0xffe0
	v_and_or_b32 v0, v0, s4, v1
	s_waitcnt lgkmcnt(0)
	v_mad_i64_i32 v[2:3], s[0:1], v2, 18, s[0:1]
	v_add_co_u32_e32 v4, vcc, v2, v1
	v_addc_co_u32_e32 v5, vcc, 0, v3, vcc
	global_load_ubyte v6, v[4:5], off offset:2
	global_load_ushort v7, v[2:3], off
	s_mov_b32 s0, 0xc800
	v_mov_b32_e32 v5, s3
	s_movk_i32 s1, 0x7fff
	v_mov_b32_e32 v2, 0x7fc0
	s_waitcnt vmcnt(1)
	v_and_b32_e32 v1, 15, v6
	v_lshrrev_b32_e32 v3, 4, v6
	v_cvt_f32_ubyte0_e32 v1, v1
	v_cvt_f32_ubyte0_e32 v3, v3
	v_cvt_f16_f32_e32 v4, v1
	v_cvt_f16_f32_e32 v3, v3
	v_ashrrev_i32_e32 v1, 31, v0
	v_lshlrev_b64 v[0:1], 1, v[0:1]
	v_add_co_u32_e32 v0, vcc, s2, v0
	v_pack_b32_f16 v3, v4, v3
	v_pk_add_f16 v3, v3, s0 op_sel_hi:[1,0]
	s_waitcnt vmcnt(0)
	v_pk_mul_f16 v3, v7, v3 op_sel_hi:[0,1]
	v_cvt_f32_f16_e32 v4, v3
	v_cvt_f32_f16_sdwa v6, v3 dst_sel:DWORD dst_unused:UNUSED_PAD src0_sel:WORD_1
	v_addc_co_u32_e32 v1, vcc, v5, v1, vcc
	v_bfe_u32 v5, v4, 16, 1
	v_bfe_u32 v7, v6, 16, 1
	v_add3_u32 v4, v4, v5, s1
	v_add3_u32 v5, v6, v7, s1
	v_lshrrev_b32_e32 v4, 16, v4
	v_cmp_o_f16_e32 vcc, v3, v3
	v_lshrrev_b32_e32 v5, 16, v5
	v_cndmask_b32_e32 v4, v2, v4, vcc
	v_cmp_o_f16_sdwa vcc, v3, v3 src0_sel:WORD_1 src1_sel:WORD_1
	v_cndmask_b32_e32 v2, v2, v5, vcc
	global_store_short v[0:1], v4, off
	global_store_short v[0:1], v2, off offset:32
.LBB38_2:
	s_endpgm
	.section	.rodata,"a",@progbits
	.p2align	6, 0x0
	.amdhsa_kernel _ZL16dequantize_blockILi32ELi2EXadL_ZL15dequantize_q4_0PKviiR7__half2EEN3c108BFloat16EEvS1_PT2_l
		.amdhsa_group_segment_fixed_size 0
		.amdhsa_private_segment_fixed_size 0
		.amdhsa_kernarg_size 280
		.amdhsa_user_sgpr_count 6
		.amdhsa_user_sgpr_private_segment_buffer 1
		.amdhsa_user_sgpr_dispatch_ptr 0
		.amdhsa_user_sgpr_queue_ptr 0
		.amdhsa_user_sgpr_kernarg_segment_ptr 1
		.amdhsa_user_sgpr_dispatch_id 0
		.amdhsa_user_sgpr_flat_scratch_init 0
		.amdhsa_user_sgpr_kernarg_preload_length 0
		.amdhsa_user_sgpr_kernarg_preload_offset 0
		.amdhsa_user_sgpr_private_segment_size 0
		.amdhsa_uses_dynamic_stack 0
		.amdhsa_system_sgpr_private_segment_wavefront_offset 0
		.amdhsa_system_sgpr_workgroup_id_x 1
		.amdhsa_system_sgpr_workgroup_id_y 0
		.amdhsa_system_sgpr_workgroup_id_z 0
		.amdhsa_system_sgpr_workgroup_info 0
		.amdhsa_system_vgpr_workitem_id 0
		.amdhsa_next_free_vgpr 8
		.amdhsa_next_free_sgpr 7
		.amdhsa_accum_offset 8
		.amdhsa_reserve_vcc 1
		.amdhsa_reserve_flat_scratch 0
		.amdhsa_float_round_mode_32 0
		.amdhsa_float_round_mode_16_64 0
		.amdhsa_float_denorm_mode_32 3
		.amdhsa_float_denorm_mode_16_64 3
		.amdhsa_dx10_clamp 1
		.amdhsa_ieee_mode 1
		.amdhsa_fp16_overflow 0
		.amdhsa_tg_split 0
		.amdhsa_exception_fp_ieee_invalid_op 0
		.amdhsa_exception_fp_denorm_src 0
		.amdhsa_exception_fp_ieee_div_zero 0
		.amdhsa_exception_fp_ieee_overflow 0
		.amdhsa_exception_fp_ieee_underflow 0
		.amdhsa_exception_fp_ieee_inexact 0
		.amdhsa_exception_int_div_zero 0
	.end_amdhsa_kernel
	.section	.text._ZL16dequantize_blockILi32ELi2EXadL_ZL15dequantize_q4_0PKviiR7__half2EEN3c108BFloat16EEvS1_PT2_l,"axG",@progbits,_ZL16dequantize_blockILi32ELi2EXadL_ZL15dequantize_q4_0PKviiR7__half2EEN3c108BFloat16EEvS1_PT2_l,comdat
.Lfunc_end38:
	.size	_ZL16dequantize_blockILi32ELi2EXadL_ZL15dequantize_q4_0PKviiR7__half2EEN3c108BFloat16EEvS1_PT2_l, .Lfunc_end38-_ZL16dequantize_blockILi32ELi2EXadL_ZL15dequantize_q4_0PKviiR7__half2EEN3c108BFloat16EEvS1_PT2_l
                                        ; -- End function
	.section	.AMDGPU.csdata,"",@progbits
; Kernel info:
; codeLenInByte = 324
; NumSgprs: 11
; NumVgprs: 8
; NumAgprs: 0
; TotalNumVgprs: 8
; ScratchSize: 0
; MemoryBound: 0
; FloatMode: 240
; IeeeMode: 1
; LDSByteSize: 0 bytes/workgroup (compile time only)
; SGPRBlocks: 1
; VGPRBlocks: 0
; NumSGPRsForWavesPerEU: 11
; NumVGPRsForWavesPerEU: 8
; AccumOffset: 8
; Occupancy: 8
; WaveLimiterHint : 0
; COMPUTE_PGM_RSRC2:SCRATCH_EN: 0
; COMPUTE_PGM_RSRC2:USER_SGPR: 6
; COMPUTE_PGM_RSRC2:TRAP_HANDLER: 0
; COMPUTE_PGM_RSRC2:TGID_X_EN: 1
; COMPUTE_PGM_RSRC2:TGID_Y_EN: 0
; COMPUTE_PGM_RSRC2:TGID_Z_EN: 0
; COMPUTE_PGM_RSRC2:TIDIG_COMP_CNT: 0
; COMPUTE_PGM_RSRC3_GFX90A:ACCUM_OFFSET: 1
; COMPUTE_PGM_RSRC3_GFX90A:TG_SPLIT: 0
	.section	.text._ZL16dequantize_blockILi32ELi2EXadL_ZL15dequantize_q4_1PKviiR7__half2EEN3c108BFloat16EEvS1_PT2_l,"axG",@progbits,_ZL16dequantize_blockILi32ELi2EXadL_ZL15dequantize_q4_1PKviiR7__half2EEN3c108BFloat16EEvS1_PT2_l,comdat
	.globl	_ZL16dequantize_blockILi32ELi2EXadL_ZL15dequantize_q4_1PKviiR7__half2EEN3c108BFloat16EEvS1_PT2_l ; -- Begin function _ZL16dequantize_blockILi32ELi2EXadL_ZL15dequantize_q4_1PKviiR7__half2EEN3c108BFloat16EEvS1_PT2_l
	.p2align	8
	.type	_ZL16dequantize_blockILi32ELi2EXadL_ZL15dequantize_q4_1PKviiR7__half2EEN3c108BFloat16EEvS1_PT2_l,@function
_ZL16dequantize_blockILi32ELi2EXadL_ZL15dequantize_q4_1PKviiR7__half2EEN3c108BFloat16EEvS1_PT2_l: ; @_ZL16dequantize_blockILi32ELi2EXadL_ZL15dequantize_q4_1PKviiR7__half2EEN3c108BFloat16EEvS1_PT2_l
; %bb.0:
	s_load_dword s2, s[4:5], 0x24
	s_load_dwordx2 s[0:1], s[4:5], 0x10
	v_mov_b32_e32 v1, 0
	v_mov_b32_e32 v2, s6
	s_waitcnt lgkmcnt(0)
	s_and_b32 s2, s2, 0xffff
	v_mad_u64_u32 v[2:3], s[2:3], s2, v2, v[0:1]
	v_lshlrev_b64 v[0:1], 1, v[2:3]
	v_cmp_gt_i64_e32 vcc, s[0:1], v[0:1]
	s_and_saveexec_b64 s[0:1], vcc
	s_cbranch_execz .LBB39_2
; %bb.1:
	s_load_dwordx4 s[0:3], s[4:5], 0x0
	v_and_b32_e32 v1, 15, v2
	v_alignbit_b32 v2, v3, v2, 4
	s_waitcnt lgkmcnt(0)
	v_mad_i64_i32 v[2:3], s[0:1], v2, 20, s[0:1]
	v_add_co_u32_e32 v4, vcc, v2, v1
	v_addc_co_u32_e32 v5, vcc, 0, v3, vcc
	global_load_ubyte v6, v[4:5], off offset:4
	global_load_dword v7, v[2:3], off
	s_movk_i32 s1, 0xffe0
	v_and_or_b32 v0, v0, s1, v1
	v_mov_b32_e32 v5, s3
	s_movk_i32 s0, 0x7fff
	v_mov_b32_e32 v2, 0x7fc0
	s_waitcnt vmcnt(1)
	v_and_b32_e32 v1, 15, v6
	v_lshrrev_b32_e32 v3, 4, v6
	v_cvt_f32_ubyte0_e32 v1, v1
	v_cvt_f32_ubyte0_e32 v3, v3
	v_cvt_f16_f32_e32 v4, v1
	v_cvt_f16_f32_e32 v3, v3
	v_ashrrev_i32_e32 v1, 31, v0
	v_lshlrev_b64 v[0:1], 1, v[0:1]
	v_add_co_u32_e32 v0, vcc, s2, v0
	v_pack_b32_f16 v3, v4, v3
	s_waitcnt vmcnt(0)
	v_pk_fma_f16 v3, v7, v3, v7 op_sel:[0,0,1] op_sel_hi:[0,1,1]
	v_cvt_f32_f16_e32 v4, v3
	v_cvt_f32_f16_sdwa v6, v3 dst_sel:DWORD dst_unused:UNUSED_PAD src0_sel:WORD_1
	v_addc_co_u32_e32 v1, vcc, v5, v1, vcc
	v_bfe_u32 v5, v4, 16, 1
	v_bfe_u32 v7, v6, 16, 1
	v_add3_u32 v4, v4, v5, s0
	v_add3_u32 v5, v6, v7, s0
	v_lshrrev_b32_e32 v4, 16, v4
	v_cmp_o_f16_e32 vcc, v3, v3
	v_lshrrev_b32_e32 v5, 16, v5
	v_cndmask_b32_e32 v4, v2, v4, vcc
	v_cmp_o_f16_sdwa vcc, v3, v3 src0_sel:WORD_1 src1_sel:WORD_1
	v_cndmask_b32_e32 v2, v2, v5, vcc
	global_store_short v[0:1], v4, off
	global_store_short v[0:1], v2, off offset:32
.LBB39_2:
	s_endpgm
	.section	.rodata,"a",@progbits
	.p2align	6, 0x0
	.amdhsa_kernel _ZL16dequantize_blockILi32ELi2EXadL_ZL15dequantize_q4_1PKviiR7__half2EEN3c108BFloat16EEvS1_PT2_l
		.amdhsa_group_segment_fixed_size 0
		.amdhsa_private_segment_fixed_size 0
		.amdhsa_kernarg_size 280
		.amdhsa_user_sgpr_count 6
		.amdhsa_user_sgpr_private_segment_buffer 1
		.amdhsa_user_sgpr_dispatch_ptr 0
		.amdhsa_user_sgpr_queue_ptr 0
		.amdhsa_user_sgpr_kernarg_segment_ptr 1
		.amdhsa_user_sgpr_dispatch_id 0
		.amdhsa_user_sgpr_flat_scratch_init 0
		.amdhsa_user_sgpr_kernarg_preload_length 0
		.amdhsa_user_sgpr_kernarg_preload_offset 0
		.amdhsa_user_sgpr_private_segment_size 0
		.amdhsa_uses_dynamic_stack 0
		.amdhsa_system_sgpr_private_segment_wavefront_offset 0
		.amdhsa_system_sgpr_workgroup_id_x 1
		.amdhsa_system_sgpr_workgroup_id_y 0
		.amdhsa_system_sgpr_workgroup_id_z 0
		.amdhsa_system_sgpr_workgroup_info 0
		.amdhsa_system_vgpr_workitem_id 0
		.amdhsa_next_free_vgpr 8
		.amdhsa_next_free_sgpr 7
		.amdhsa_accum_offset 8
		.amdhsa_reserve_vcc 1
		.amdhsa_reserve_flat_scratch 0
		.amdhsa_float_round_mode_32 0
		.amdhsa_float_round_mode_16_64 0
		.amdhsa_float_denorm_mode_32 3
		.amdhsa_float_denorm_mode_16_64 3
		.amdhsa_dx10_clamp 1
		.amdhsa_ieee_mode 1
		.amdhsa_fp16_overflow 0
		.amdhsa_tg_split 0
		.amdhsa_exception_fp_ieee_invalid_op 0
		.amdhsa_exception_fp_denorm_src 0
		.amdhsa_exception_fp_ieee_div_zero 0
		.amdhsa_exception_fp_ieee_overflow 0
		.amdhsa_exception_fp_ieee_underflow 0
		.amdhsa_exception_fp_ieee_inexact 0
		.amdhsa_exception_int_div_zero 0
	.end_amdhsa_kernel
	.section	.text._ZL16dequantize_blockILi32ELi2EXadL_ZL15dequantize_q4_1PKviiR7__half2EEN3c108BFloat16EEvS1_PT2_l,"axG",@progbits,_ZL16dequantize_blockILi32ELi2EXadL_ZL15dequantize_q4_1PKviiR7__half2EEN3c108BFloat16EEvS1_PT2_l,comdat
.Lfunc_end39:
	.size	_ZL16dequantize_blockILi32ELi2EXadL_ZL15dequantize_q4_1PKviiR7__half2EEN3c108BFloat16EEvS1_PT2_l, .Lfunc_end39-_ZL16dequantize_blockILi32ELi2EXadL_ZL15dequantize_q4_1PKviiR7__half2EEN3c108BFloat16EEvS1_PT2_l
                                        ; -- End function
	.section	.AMDGPU.csdata,"",@progbits
; Kernel info:
; codeLenInByte = 308
; NumSgprs: 11
; NumVgprs: 8
; NumAgprs: 0
; TotalNumVgprs: 8
; ScratchSize: 0
; MemoryBound: 0
; FloatMode: 240
; IeeeMode: 1
; LDSByteSize: 0 bytes/workgroup (compile time only)
; SGPRBlocks: 1
; VGPRBlocks: 0
; NumSGPRsForWavesPerEU: 11
; NumVGPRsForWavesPerEU: 8
; AccumOffset: 8
; Occupancy: 8
; WaveLimiterHint : 0
; COMPUTE_PGM_RSRC2:SCRATCH_EN: 0
; COMPUTE_PGM_RSRC2:USER_SGPR: 6
; COMPUTE_PGM_RSRC2:TRAP_HANDLER: 0
; COMPUTE_PGM_RSRC2:TGID_X_EN: 1
; COMPUTE_PGM_RSRC2:TGID_Y_EN: 0
; COMPUTE_PGM_RSRC2:TGID_Z_EN: 0
; COMPUTE_PGM_RSRC2:TIDIG_COMP_CNT: 0
; COMPUTE_PGM_RSRC3_GFX90A:ACCUM_OFFSET: 1
; COMPUTE_PGM_RSRC3_GFX90A:TG_SPLIT: 0
	.section	.text._ZL16dequantize_blockILi32ELi2EXadL_ZL15dequantize_q5_0PKviiR7__half2EEN3c108BFloat16EEvS1_PT2_l,"axG",@progbits,_ZL16dequantize_blockILi32ELi2EXadL_ZL15dequantize_q5_0PKviiR7__half2EEN3c108BFloat16EEvS1_PT2_l,comdat
	.globl	_ZL16dequantize_blockILi32ELi2EXadL_ZL15dequantize_q5_0PKviiR7__half2EEN3c108BFloat16EEvS1_PT2_l ; -- Begin function _ZL16dequantize_blockILi32ELi2EXadL_ZL15dequantize_q5_0PKviiR7__half2EEN3c108BFloat16EEvS1_PT2_l
	.p2align	8
	.type	_ZL16dequantize_blockILi32ELi2EXadL_ZL15dequantize_q5_0PKviiR7__half2EEN3c108BFloat16EEvS1_PT2_l,@function
_ZL16dequantize_blockILi32ELi2EXadL_ZL15dequantize_q5_0PKviiR7__half2EEN3c108BFloat16EEvS1_PT2_l: ; @_ZL16dequantize_blockILi32ELi2EXadL_ZL15dequantize_q5_0PKviiR7__half2EEN3c108BFloat16EEvS1_PT2_l
; %bb.0:
	s_load_dword s2, s[4:5], 0x24
	s_load_dwordx2 s[0:1], s[4:5], 0x10
	v_mov_b32_e32 v1, 0
	v_mov_b32_e32 v2, s6
	s_waitcnt lgkmcnt(0)
	s_and_b32 s2, s2, 0xffff
	v_mad_u64_u32 v[2:3], s[2:3], s2, v2, v[0:1]
	v_lshlrev_b64 v[0:1], 1, v[2:3]
	v_cmp_gt_i64_e32 vcc, s[0:1], v[0:1]
	s_and_saveexec_b64 s[0:1], vcc
	s_cbranch_execz .LBB40_2
; %bb.1:
	s_load_dwordx4 s[0:3], s[4:5], 0x0
	v_and_b32_e32 v1, 15, v2
	v_alignbit_b32 v2, v3, v2, 4
	s_movk_i32 s5, 0xffe0
	v_add_u32_e32 v6, 12, v1
	s_waitcnt lgkmcnt(0)
	v_mad_i64_i32 v[2:3], s[0:1], v2, 22, s[0:1]
	global_load_dword v4, v[2:3], off
	global_load_ushort v5, v[2:3], off offset:4
	v_add_co_u32_e32 v2, vcc, v2, v1
	v_addc_co_u32_e32 v3, vcc, 0, v3, vcc
	global_load_ubyte v2, v[2:3], off offset:6
	s_mov_b32 s0, 0x1000706
	v_and_or_b32 v0, v0, s5, v1
	s_mov_b32 s1, 0xcc00
	s_movk_i32 s4, 0x7fff
	v_mov_b32_e32 v3, 0x7fc0
	s_waitcnt vmcnt(1)
	v_perm_b32 v5, v4, v5, s0
	v_lshrrev_b32_e32 v1, v1, v5
	v_lshrrev_b32_e32 v5, v6, v5
	v_lshlrev_b32_e32 v1, 4, v1
	s_waitcnt vmcnt(0)
	v_and_b32_e32 v6, 15, v2
	v_lshrrev_b16_e32 v2, 4, v2
	v_and_or_b32 v2, v5, 16, v2
	v_and_or_b32 v1, v1, 16, v6
	v_cvt_f32_ubyte0_e32 v2, v2
	v_cvt_f32_ubyte0_e32 v1, v1
	v_cvt_f16_f32_e32 v2, v2
	v_cvt_f16_f32_e32 v5, v1
	v_ashrrev_i32_e32 v1, 31, v0
	v_lshlrev_b64 v[0:1], 1, v[0:1]
	v_mov_b32_e32 v6, s3
	v_pack_b32_f16 v2, v5, v2
	v_pk_add_f16 v2, v2, s1 op_sel_hi:[1,0]
	v_pk_mul_f16 v2, v4, v2 op_sel_hi:[0,1]
	v_cvt_f32_f16_e32 v4, v2
	v_cvt_f32_f16_sdwa v5, v2 dst_sel:DWORD dst_unused:UNUSED_PAD src0_sel:WORD_1
	v_add_co_u32_e32 v0, vcc, s2, v0
	v_addc_co_u32_e32 v1, vcc, v6, v1, vcc
	v_bfe_u32 v6, v4, 16, 1
	v_bfe_u32 v7, v5, 16, 1
	v_add3_u32 v4, v4, v6, s4
	v_add3_u32 v5, v5, v7, s4
	v_lshrrev_b32_e32 v4, 16, v4
	v_cmp_o_f16_e32 vcc, v2, v2
	v_lshrrev_b32_e32 v5, 16, v5
	v_cndmask_b32_e32 v4, v3, v4, vcc
	v_cmp_o_f16_sdwa vcc, v2, v2 src0_sel:WORD_1 src1_sel:WORD_1
	v_cndmask_b32_e32 v2, v3, v5, vcc
	global_store_short v[0:1], v4, off
	global_store_short v[0:1], v2, off offset:32
.LBB40_2:
	s_endpgm
	.section	.rodata,"a",@progbits
	.p2align	6, 0x0
	.amdhsa_kernel _ZL16dequantize_blockILi32ELi2EXadL_ZL15dequantize_q5_0PKviiR7__half2EEN3c108BFloat16EEvS1_PT2_l
		.amdhsa_group_segment_fixed_size 0
		.amdhsa_private_segment_fixed_size 0
		.amdhsa_kernarg_size 280
		.amdhsa_user_sgpr_count 6
		.amdhsa_user_sgpr_private_segment_buffer 1
		.amdhsa_user_sgpr_dispatch_ptr 0
		.amdhsa_user_sgpr_queue_ptr 0
		.amdhsa_user_sgpr_kernarg_segment_ptr 1
		.amdhsa_user_sgpr_dispatch_id 0
		.amdhsa_user_sgpr_flat_scratch_init 0
		.amdhsa_user_sgpr_kernarg_preload_length 0
		.amdhsa_user_sgpr_kernarg_preload_offset 0
		.amdhsa_user_sgpr_private_segment_size 0
		.amdhsa_uses_dynamic_stack 0
		.amdhsa_system_sgpr_private_segment_wavefront_offset 0
		.amdhsa_system_sgpr_workgroup_id_x 1
		.amdhsa_system_sgpr_workgroup_id_y 0
		.amdhsa_system_sgpr_workgroup_id_z 0
		.amdhsa_system_sgpr_workgroup_info 0
		.amdhsa_system_vgpr_workitem_id 0
		.amdhsa_next_free_vgpr 8
		.amdhsa_next_free_sgpr 7
		.amdhsa_accum_offset 8
		.amdhsa_reserve_vcc 1
		.amdhsa_reserve_flat_scratch 0
		.amdhsa_float_round_mode_32 0
		.amdhsa_float_round_mode_16_64 0
		.amdhsa_float_denorm_mode_32 3
		.amdhsa_float_denorm_mode_16_64 3
		.amdhsa_dx10_clamp 1
		.amdhsa_ieee_mode 1
		.amdhsa_fp16_overflow 0
		.amdhsa_tg_split 0
		.amdhsa_exception_fp_ieee_invalid_op 0
		.amdhsa_exception_fp_denorm_src 0
		.amdhsa_exception_fp_ieee_div_zero 0
		.amdhsa_exception_fp_ieee_overflow 0
		.amdhsa_exception_fp_ieee_underflow 0
		.amdhsa_exception_fp_ieee_inexact 0
		.amdhsa_exception_int_div_zero 0
	.end_amdhsa_kernel
	.section	.text._ZL16dequantize_blockILi32ELi2EXadL_ZL15dequantize_q5_0PKviiR7__half2EEN3c108BFloat16EEvS1_PT2_l,"axG",@progbits,_ZL16dequantize_blockILi32ELi2EXadL_ZL15dequantize_q5_0PKviiR7__half2EEN3c108BFloat16EEvS1_PT2_l,comdat
.Lfunc_end40:
	.size	_ZL16dequantize_blockILi32ELi2EXadL_ZL15dequantize_q5_0PKviiR7__half2EEN3c108BFloat16EEvS1_PT2_l, .Lfunc_end40-_ZL16dequantize_blockILi32ELi2EXadL_ZL15dequantize_q5_0PKviiR7__half2EEN3c108BFloat16EEvS1_PT2_l
                                        ; -- End function
	.section	.AMDGPU.csdata,"",@progbits
; Kernel info:
; codeLenInByte = 380
; NumSgprs: 11
; NumVgprs: 8
; NumAgprs: 0
; TotalNumVgprs: 8
; ScratchSize: 0
; MemoryBound: 0
; FloatMode: 240
; IeeeMode: 1
; LDSByteSize: 0 bytes/workgroup (compile time only)
; SGPRBlocks: 1
; VGPRBlocks: 0
; NumSGPRsForWavesPerEU: 11
; NumVGPRsForWavesPerEU: 8
; AccumOffset: 8
; Occupancy: 8
; WaveLimiterHint : 0
; COMPUTE_PGM_RSRC2:SCRATCH_EN: 0
; COMPUTE_PGM_RSRC2:USER_SGPR: 6
; COMPUTE_PGM_RSRC2:TRAP_HANDLER: 0
; COMPUTE_PGM_RSRC2:TGID_X_EN: 1
; COMPUTE_PGM_RSRC2:TGID_Y_EN: 0
; COMPUTE_PGM_RSRC2:TGID_Z_EN: 0
; COMPUTE_PGM_RSRC2:TIDIG_COMP_CNT: 0
; COMPUTE_PGM_RSRC3_GFX90A:ACCUM_OFFSET: 1
; COMPUTE_PGM_RSRC3_GFX90A:TG_SPLIT: 0
	.section	.text._ZL16dequantize_blockILi32ELi2EXadL_ZL15dequantize_q5_1PKviiR7__half2EEN3c108BFloat16EEvS1_PT2_l,"axG",@progbits,_ZL16dequantize_blockILi32ELi2EXadL_ZL15dequantize_q5_1PKviiR7__half2EEN3c108BFloat16EEvS1_PT2_l,comdat
	.globl	_ZL16dequantize_blockILi32ELi2EXadL_ZL15dequantize_q5_1PKviiR7__half2EEN3c108BFloat16EEvS1_PT2_l ; -- Begin function _ZL16dequantize_blockILi32ELi2EXadL_ZL15dequantize_q5_1PKviiR7__half2EEN3c108BFloat16EEvS1_PT2_l
	.p2align	8
	.type	_ZL16dequantize_blockILi32ELi2EXadL_ZL15dequantize_q5_1PKviiR7__half2EEN3c108BFloat16EEvS1_PT2_l,@function
_ZL16dequantize_blockILi32ELi2EXadL_ZL15dequantize_q5_1PKviiR7__half2EEN3c108BFloat16EEvS1_PT2_l: ; @_ZL16dequantize_blockILi32ELi2EXadL_ZL15dequantize_q5_1PKviiR7__half2EEN3c108BFloat16EEvS1_PT2_l
; %bb.0:
	s_load_dword s2, s[4:5], 0x24
	s_load_dwordx2 s[0:1], s[4:5], 0x10
	v_mov_b32_e32 v1, 0
	v_mov_b32_e32 v2, s6
	s_waitcnt lgkmcnt(0)
	s_and_b32 s2, s2, 0xffff
	v_mad_u64_u32 v[2:3], s[2:3], s2, v2, v[0:1]
	v_lshlrev_b64 v[0:1], 1, v[2:3]
	v_cmp_gt_i64_e32 vcc, s[0:1], v[0:1]
	s_and_saveexec_b64 s[0:1], vcc
	s_cbranch_execz .LBB41_2
; %bb.1:
	s_load_dwordx4 s[0:3], s[4:5], 0x0
	v_and_b32_e32 v1, 15, v2
	v_alignbit_b32 v2, v3, v2, 4
	s_waitcnt lgkmcnt(0)
	v_mad_i64_i32 v[2:3], s[0:1], v2, 24, s[0:1]
	global_load_ushort v6, v[2:3], off offset:6
	v_add_co_u32_e32 v4, vcc, v2, v1
	v_addc_co_u32_e32 v5, vcc, 0, v3, vcc
	global_load_ubyte v7, v[4:5], off offset:8
	global_load_ushort v8, v[2:3], off offset:4
	global_load_dword v9, v[2:3], off
	s_movk_i32 s1, 0xffe0
	v_add_u32_e32 v3, 12, v1
	v_and_or_b32 v0, v0, s1, v1
	s_movk_i32 s0, 0x7fff
	v_mov_b32_e32 v2, 0x7fc0
	s_waitcnt vmcnt(3)
	v_lshrrev_b16_e32 v4, 8, v6
	v_and_b32_e32 v5, 0xff, v6
	v_lshlrev_b32_e32 v4, 24, v4
	v_lshlrev_b32_e32 v5, 16, v5
	s_waitcnt vmcnt(1)
	v_or3_b32 v4, v5, v8, v4
	v_lshrrev_b32_e32 v1, v1, v4
	v_and_b32_e32 v6, 15, v7
	v_lshrrev_b16_e32 v7, 4, v7
	v_lshrrev_b32_e32 v3, v3, v4
	v_lshlrev_b32_e32 v1, 4, v1
	v_and_or_b32 v3, v3, 16, v7
	v_and_or_b32 v1, v1, 16, v6
	v_cvt_f32_ubyte0_e32 v3, v3
	v_cvt_f32_ubyte0_e32 v1, v1
	v_cvt_f16_f32_e32 v3, v3
	v_cvt_f16_f32_e32 v4, v1
	v_ashrrev_i32_e32 v1, 31, v0
	v_lshlrev_b64 v[0:1], 1, v[0:1]
	v_mov_b32_e32 v5, s3
	v_pack_b32_f16 v3, v4, v3
	s_waitcnt vmcnt(0)
	v_pk_fma_f16 v3, v9, v3, v9 op_sel:[0,0,1] op_sel_hi:[0,1,1]
	v_cvt_f32_f16_e32 v4, v3
	v_cvt_f32_f16_sdwa v6, v3 dst_sel:DWORD dst_unused:UNUSED_PAD src0_sel:WORD_1
	v_add_co_u32_e32 v0, vcc, s2, v0
	v_addc_co_u32_e32 v1, vcc, v5, v1, vcc
	v_bfe_u32 v5, v4, 16, 1
	v_bfe_u32 v7, v6, 16, 1
	v_add3_u32 v4, v4, v5, s0
	v_add3_u32 v5, v6, v7, s0
	v_lshrrev_b32_e32 v4, 16, v4
	v_cmp_o_f16_e32 vcc, v3, v3
	v_lshrrev_b32_e32 v5, 16, v5
	v_cndmask_b32_e32 v4, v2, v4, vcc
	v_cmp_o_f16_sdwa vcc, v3, v3 src0_sel:WORD_1 src1_sel:WORD_1
	v_cndmask_b32_e32 v2, v2, v5, vcc
	global_store_short v[0:1], v4, off
	global_store_short v[0:1], v2, off offset:32
.LBB41_2:
	s_endpgm
	.section	.rodata,"a",@progbits
	.p2align	6, 0x0
	.amdhsa_kernel _ZL16dequantize_blockILi32ELi2EXadL_ZL15dequantize_q5_1PKviiR7__half2EEN3c108BFloat16EEvS1_PT2_l
		.amdhsa_group_segment_fixed_size 0
		.amdhsa_private_segment_fixed_size 0
		.amdhsa_kernarg_size 280
		.amdhsa_user_sgpr_count 6
		.amdhsa_user_sgpr_private_segment_buffer 1
		.amdhsa_user_sgpr_dispatch_ptr 0
		.amdhsa_user_sgpr_queue_ptr 0
		.amdhsa_user_sgpr_kernarg_segment_ptr 1
		.amdhsa_user_sgpr_dispatch_id 0
		.amdhsa_user_sgpr_flat_scratch_init 0
		.amdhsa_user_sgpr_kernarg_preload_length 0
		.amdhsa_user_sgpr_kernarg_preload_offset 0
		.amdhsa_user_sgpr_private_segment_size 0
		.amdhsa_uses_dynamic_stack 0
		.amdhsa_system_sgpr_private_segment_wavefront_offset 0
		.amdhsa_system_sgpr_workgroup_id_x 1
		.amdhsa_system_sgpr_workgroup_id_y 0
		.amdhsa_system_sgpr_workgroup_id_z 0
		.amdhsa_system_sgpr_workgroup_info 0
		.amdhsa_system_vgpr_workitem_id 0
		.amdhsa_next_free_vgpr 10
		.amdhsa_next_free_sgpr 7
		.amdhsa_accum_offset 12
		.amdhsa_reserve_vcc 1
		.amdhsa_reserve_flat_scratch 0
		.amdhsa_float_round_mode_32 0
		.amdhsa_float_round_mode_16_64 0
		.amdhsa_float_denorm_mode_32 3
		.amdhsa_float_denorm_mode_16_64 3
		.amdhsa_dx10_clamp 1
		.amdhsa_ieee_mode 1
		.amdhsa_fp16_overflow 0
		.amdhsa_tg_split 0
		.amdhsa_exception_fp_ieee_invalid_op 0
		.amdhsa_exception_fp_denorm_src 0
		.amdhsa_exception_fp_ieee_div_zero 0
		.amdhsa_exception_fp_ieee_overflow 0
		.amdhsa_exception_fp_ieee_underflow 0
		.amdhsa_exception_fp_ieee_inexact 0
		.amdhsa_exception_int_div_zero 0
	.end_amdhsa_kernel
	.section	.text._ZL16dequantize_blockILi32ELi2EXadL_ZL15dequantize_q5_1PKviiR7__half2EEN3c108BFloat16EEvS1_PT2_l,"axG",@progbits,_ZL16dequantize_blockILi32ELi2EXadL_ZL15dequantize_q5_1PKviiR7__half2EEN3c108BFloat16EEvS1_PT2_l,comdat
.Lfunc_end41:
	.size	_ZL16dequantize_blockILi32ELi2EXadL_ZL15dequantize_q5_1PKviiR7__half2EEN3c108BFloat16EEvS1_PT2_l, .Lfunc_end41-_ZL16dequantize_blockILi32ELi2EXadL_ZL15dequantize_q5_1PKviiR7__half2EEN3c108BFloat16EEvS1_PT2_l
                                        ; -- End function
	.section	.AMDGPU.csdata,"",@progbits
; Kernel info:
; codeLenInByte = 388
; NumSgprs: 11
; NumVgprs: 10
; NumAgprs: 0
; TotalNumVgprs: 10
; ScratchSize: 0
; MemoryBound: 0
; FloatMode: 240
; IeeeMode: 1
; LDSByteSize: 0 bytes/workgroup (compile time only)
; SGPRBlocks: 1
; VGPRBlocks: 1
; NumSGPRsForWavesPerEU: 11
; NumVGPRsForWavesPerEU: 10
; AccumOffset: 12
; Occupancy: 8
; WaveLimiterHint : 0
; COMPUTE_PGM_RSRC2:SCRATCH_EN: 0
; COMPUTE_PGM_RSRC2:USER_SGPR: 6
; COMPUTE_PGM_RSRC2:TRAP_HANDLER: 0
; COMPUTE_PGM_RSRC2:TGID_X_EN: 1
; COMPUTE_PGM_RSRC2:TGID_Y_EN: 0
; COMPUTE_PGM_RSRC2:TGID_Z_EN: 0
; COMPUTE_PGM_RSRC2:TIDIG_COMP_CNT: 0
; COMPUTE_PGM_RSRC3_GFX90A:ACCUM_OFFSET: 2
; COMPUTE_PGM_RSRC3_GFX90A:TG_SPLIT: 0
	.section	.text._ZL16dequantize_blockILi32ELi1EXadL_ZL15dequantize_q8_0PKviiR7__half2EEN3c108BFloat16EEvS1_PT2_l,"axG",@progbits,_ZL16dequantize_blockILi32ELi1EXadL_ZL15dequantize_q8_0PKviiR7__half2EEN3c108BFloat16EEvS1_PT2_l,comdat
	.globl	_ZL16dequantize_blockILi32ELi1EXadL_ZL15dequantize_q8_0PKviiR7__half2EEN3c108BFloat16EEvS1_PT2_l ; -- Begin function _ZL16dequantize_blockILi32ELi1EXadL_ZL15dequantize_q8_0PKviiR7__half2EEN3c108BFloat16EEvS1_PT2_l
	.p2align	8
	.type	_ZL16dequantize_blockILi32ELi1EXadL_ZL15dequantize_q8_0PKviiR7__half2EEN3c108BFloat16EEvS1_PT2_l,@function
_ZL16dequantize_blockILi32ELi1EXadL_ZL15dequantize_q8_0PKviiR7__half2EEN3c108BFloat16EEvS1_PT2_l: ; @_ZL16dequantize_blockILi32ELi1EXadL_ZL15dequantize_q8_0PKviiR7__half2EEN3c108BFloat16EEvS1_PT2_l
; %bb.0:
	s_load_dword s2, s[4:5], 0x24
	s_load_dwordx2 s[0:1], s[4:5], 0x10
	v_mov_b32_e32 v1, 0
	v_mov_b32_e32 v2, s6
	s_waitcnt lgkmcnt(0)
	s_and_b32 s2, s2, 0xffff
	v_mad_u64_u32 v[2:3], s[2:3], s2, v2, v[0:1]
	v_lshlrev_b64 v[4:5], 1, v[2:3]
	v_cmp_gt_i64_e32 vcc, s[0:1], v[4:5]
	s_and_saveexec_b64 s[0:1], vcc
	s_cbranch_execz .LBB42_2
; %bb.1:
	s_load_dwordx4 s[0:3], s[4:5], 0x0
	v_alignbit_b32 v3, v3, v2, 4
	v_and_b32_e32 v0, 30, v4
	s_waitcnt lgkmcnt(0)
	v_mad_i64_i32 v[4:5], s[0:1], v3, 34, s[0:1]
	v_add_co_u32_e32 v6, vcc, v4, v0
	v_addc_co_u32_e32 v7, vcc, 0, v5, vcc
	global_load_ushort v8, v[6:7], off offset:2
	global_load_ushort v9, v[4:5], off
	v_lshlrev_b32_e32 v3, 1, v2
	v_mov_b32_e32 v2, v1
	v_ashrrev_i64 v[0:1], 31, v[2:3]
	v_mov_b32_e32 v2, s3
	v_add_co_u32_e32 v0, vcc, s2, v0
	s_movk_i32 s0, 0x7fff
	v_addc_co_u32_e32 v1, vcc, v2, v1, vcc
	v_mov_b32_e32 v4, 0x7fc0
	s_waitcnt vmcnt(1)
	v_cvt_f16_i16_sdwa v3, sext(v8) dst_sel:DWORD dst_unused:UNUSED_PAD src0_sel:BYTE_0
	v_cvt_f16_i16_sdwa v5, sext(v8) dst_sel:DWORD dst_unused:UNUSED_PAD src0_sel:BYTE_1
	v_pack_b32_f16 v3, v3, v5
	s_waitcnt vmcnt(0)
	v_pk_mul_f16 v3, v9, v3 op_sel_hi:[0,1]
	v_cvt_f32_f16_e32 v5, v3
	v_cvt_f32_f16_sdwa v6, v3 dst_sel:DWORD dst_unused:UNUSED_PAD src0_sel:WORD_1
	v_cmp_o_f16_e32 vcc, v3, v3
	v_bfe_u32 v2, v5, 16, 1
	v_bfe_u32 v7, v6, 16, 1
	v_add3_u32 v2, v5, v2, s0
	v_add3_u32 v5, v6, v7, s0
	v_lshrrev_b32_e32 v2, 16, v2
	v_lshrrev_b32_e32 v5, 16, v5
	v_cndmask_b32_e32 v2, v4, v2, vcc
	v_cmp_o_f16_sdwa vcc, v3, v3 src0_sel:WORD_1 src1_sel:WORD_1
	v_cndmask_b32_e32 v3, v4, v5, vcc
	global_store_short v[0:1], v2, off
	global_store_short v[0:1], v3, off offset:2
.LBB42_2:
	s_endpgm
	.section	.rodata,"a",@progbits
	.p2align	6, 0x0
	.amdhsa_kernel _ZL16dequantize_blockILi32ELi1EXadL_ZL15dequantize_q8_0PKviiR7__half2EEN3c108BFloat16EEvS1_PT2_l
		.amdhsa_group_segment_fixed_size 0
		.amdhsa_private_segment_fixed_size 0
		.amdhsa_kernarg_size 280
		.amdhsa_user_sgpr_count 6
		.amdhsa_user_sgpr_private_segment_buffer 1
		.amdhsa_user_sgpr_dispatch_ptr 0
		.amdhsa_user_sgpr_queue_ptr 0
		.amdhsa_user_sgpr_kernarg_segment_ptr 1
		.amdhsa_user_sgpr_dispatch_id 0
		.amdhsa_user_sgpr_flat_scratch_init 0
		.amdhsa_user_sgpr_kernarg_preload_length 0
		.amdhsa_user_sgpr_kernarg_preload_offset 0
		.amdhsa_user_sgpr_private_segment_size 0
		.amdhsa_uses_dynamic_stack 0
		.amdhsa_system_sgpr_private_segment_wavefront_offset 0
		.amdhsa_system_sgpr_workgroup_id_x 1
		.amdhsa_system_sgpr_workgroup_id_y 0
		.amdhsa_system_sgpr_workgroup_id_z 0
		.amdhsa_system_sgpr_workgroup_info 0
		.amdhsa_system_vgpr_workitem_id 0
		.amdhsa_next_free_vgpr 10
		.amdhsa_next_free_sgpr 7
		.amdhsa_accum_offset 12
		.amdhsa_reserve_vcc 1
		.amdhsa_reserve_flat_scratch 0
		.amdhsa_float_round_mode_32 0
		.amdhsa_float_round_mode_16_64 0
		.amdhsa_float_denorm_mode_32 3
		.amdhsa_float_denorm_mode_16_64 3
		.amdhsa_dx10_clamp 1
		.amdhsa_ieee_mode 1
		.amdhsa_fp16_overflow 0
		.amdhsa_tg_split 0
		.amdhsa_exception_fp_ieee_invalid_op 0
		.amdhsa_exception_fp_denorm_src 0
		.amdhsa_exception_fp_ieee_div_zero 0
		.amdhsa_exception_fp_ieee_overflow 0
		.amdhsa_exception_fp_ieee_underflow 0
		.amdhsa_exception_fp_ieee_inexact 0
		.amdhsa_exception_int_div_zero 0
	.end_amdhsa_kernel
	.section	.text._ZL16dequantize_blockILi32ELi1EXadL_ZL15dequantize_q8_0PKviiR7__half2EEN3c108BFloat16EEvS1_PT2_l,"axG",@progbits,_ZL16dequantize_blockILi32ELi1EXadL_ZL15dequantize_q8_0PKviiR7__half2EEN3c108BFloat16EEvS1_PT2_l,comdat
.Lfunc_end42:
	.size	_ZL16dequantize_blockILi32ELi1EXadL_ZL15dequantize_q8_0PKviiR7__half2EEN3c108BFloat16EEvS1_PT2_l, .Lfunc_end42-_ZL16dequantize_blockILi32ELi1EXadL_ZL15dequantize_q8_0PKviiR7__half2EEN3c108BFloat16EEvS1_PT2_l
                                        ; -- End function
	.section	.AMDGPU.csdata,"",@progbits
; Kernel info:
; codeLenInByte = 292
; NumSgprs: 11
; NumVgprs: 10
; NumAgprs: 0
; TotalNumVgprs: 10
; ScratchSize: 0
; MemoryBound: 0
; FloatMode: 240
; IeeeMode: 1
; LDSByteSize: 0 bytes/workgroup (compile time only)
; SGPRBlocks: 1
; VGPRBlocks: 1
; NumSGPRsForWavesPerEU: 11
; NumVGPRsForWavesPerEU: 10
; AccumOffset: 12
; Occupancy: 8
; WaveLimiterHint : 0
; COMPUTE_PGM_RSRC2:SCRATCH_EN: 0
; COMPUTE_PGM_RSRC2:USER_SGPR: 6
; COMPUTE_PGM_RSRC2:TRAP_HANDLER: 0
; COMPUTE_PGM_RSRC2:TGID_X_EN: 1
; COMPUTE_PGM_RSRC2:TGID_Y_EN: 0
; COMPUTE_PGM_RSRC2:TGID_Z_EN: 0
; COMPUTE_PGM_RSRC2:TIDIG_COMP_CNT: 0
; COMPUTE_PGM_RSRC3_GFX90A:ACCUM_OFFSET: 2
; COMPUTE_PGM_RSRC3_GFX90A:TG_SPLIT: 0
	.section	.text._ZL21dequantize_block_q2_KIN3c108BFloat16EEvPKvPT_,"axG",@progbits,_ZL21dequantize_block_q2_KIN3c108BFloat16EEvPKvPT_,comdat
	.globl	_ZL21dequantize_block_q2_KIN3c108BFloat16EEvPKvPT_ ; -- Begin function _ZL21dequantize_block_q2_KIN3c108BFloat16EEvPKvPT_
	.p2align	8
	.type	_ZL21dequantize_block_q2_KIN3c108BFloat16EEvPKvPT_,@function
_ZL21dequantize_block_q2_KIN3c108BFloat16EEvPKvPT_: ; @_ZL21dequantize_block_q2_KIN3c108BFloat16EEvPKvPT_
; %bb.0:
	s_load_dwordx4 s[0:3], s[4:5], 0x0
	s_mul_i32 s5, s6, 0x54
	v_lshrrev_b32_e32 v1, 5, v0
	v_bfe_u32 v2, v0, 4, 1
	s_mul_hi_u32 s4, s6, 0x54
	s_waitcnt lgkmcnt(0)
	s_add_u32 s0, s0, s5
	v_lshl_or_b32 v2, v1, 3, v2
	s_addc_u32 s1, s1, s4
	global_load_ubyte v3, v2, s[0:1]
	global_load_ubyte v4, v0, s[0:1] offset:16
	global_load_ubyte v5, v2, s[0:1] offset:2
	;; [unrolled: 1-line block ×4, first 2 shown]
	s_load_dword s4, s[0:1], 0x50
	s_mov_b32 s1, 0
	s_lshl_b32 s0, s6, 8
	s_lshl_b64 s[0:1], s[0:1], 1
	s_add_u32 s0, s2, s0
	v_lshlrev_b32_e32 v1, 8, v1
	s_addc_u32 s1, s3, s1
	v_and_b32_e32 v0, 31, v0
	v_mov_b32_e32 v8, s1
	v_add_co_u32_e32 v1, vcc, s0, v1
	v_lshlrev_b32_e32 v0, 1, v0
	v_addc_co_u32_e32 v8, vcc, 0, v8, vcc
	v_add_co_u32_e32 v0, vcc, v1, v0
	v_addc_co_u32_e32 v1, vcc, 0, v8, vcc
	s_waitcnt lgkmcnt(0)
	s_lshr_b32 s0, s4, 16
	s_movk_i32 s5, 0x7fff
	v_mov_b32_e32 v2, 0x7fc0
	s_waitcnt vmcnt(4)
	v_and_b32_e32 v8, 15, v3
	s_waitcnt vmcnt(3)
	v_and_b32_e32 v9, 3, v4
	;; [unrolled: 2-line block ×3, first 2 shown]
	v_bfe_u32 v11, v4, 2, 2
	v_bfe_u32 v13, v4, 4, 2
	s_waitcnt vmcnt(0)
	v_and_b32_e32 v14, 15, v7
	v_lshrrev_b32_e32 v4, 6, v4
	v_mul_u32_u24_sdwa v8, v9, v8 dst_sel:DWORD dst_unused:UNUSED_PAD src0_sel:DWORD src1_sel:WORD_0
	v_and_b32_e32 v12, 15, v6
	v_mul_u32_u24_sdwa v9, v11, v10 dst_sel:DWORD dst_unused:UNUSED_PAD src0_sel:DWORD src1_sel:WORD_0
	v_mul_u32_u24_sdwa v4, v4, v14 dst_sel:DWORD dst_unused:UNUSED_PAD src0_sel:DWORD src1_sel:WORD_0
	v_cvt_f32_ubyte0_e32 v8, v8
	v_mul_u32_u24_sdwa v10, v13, v12 dst_sel:DWORD dst_unused:UNUSED_PAD src0_sel:DWORD src1_sel:WORD_0
	v_cvt_f32_ubyte0_e32 v9, v9
	v_cvt_f32_ubyte0_e32 v4, v4
	v_cvt_f16_f32_e32 v8, v8
	v_lshrrev_b16_e32 v3, 4, v3
	v_cvt_f32_ubyte0_e32 v10, v10
	v_cvt_f16_f32_e32 v9, v9
	v_cvt_f16_f32_e32 v4, v4
	v_lshrrev_b16_e32 v5, 4, v5
	v_lshrrev_b16_e32 v7, 4, v7
	v_cvt_f16_u16_e32 v3, v3
	v_cvt_f16_f32_e32 v10, v10
	v_lshrrev_b16_e32 v6, 4, v6
	v_cvt_f16_u16_e32 v5, v5
	v_cvt_f16_u16_e32 v7, v7
	v_mul_f16_e32 v3, s0, v3
	v_cvt_f16_u16_e32 v6, v6
	v_mul_f16_e32 v5, s0, v5
	v_mul_f16_e32 v7, s0, v7
	v_fma_f16 v3, s4, v8, -v3
	v_mul_f16_e32 v6, s0, v6
	v_fma_f16 v5, s4, v9, -v5
	v_fma_f16 v4, s4, v4, -v7
	v_cvt_f32_f16_e32 v7, v3
	v_fma_f16 v6, s4, v10, -v6
	v_cvt_f32_f16_e32 v8, v5
	v_cvt_f32_f16_e32 v9, v6
	;; [unrolled: 1-line block ×3, first 2 shown]
	v_bfe_u32 v11, v7, 16, 1
	v_bfe_u32 v12, v8, 16, 1
	v_add3_u32 v7, v7, v11, s5
	v_bfe_u32 v13, v9, 16, 1
	v_add3_u32 v8, v8, v12, s5
	v_lshrrev_b32_e32 v7, 16, v7
	v_cmp_o_f16_e32 vcc, v3, v3
	v_bfe_u32 v14, v10, 16, 1
	v_add3_u32 v9, v9, v13, s5
	v_lshrrev_b32_e32 v8, 16, v8
	v_cndmask_b32_e32 v3, v2, v7, vcc
	v_cmp_o_f16_e32 vcc, v5, v5
	v_add3_u32 v10, v10, v14, s5
	v_lshrrev_b32_e32 v9, 16, v9
	v_cndmask_b32_e32 v5, v2, v8, vcc
	v_cmp_o_f16_e32 vcc, v6, v6
	v_lshrrev_b32_e32 v10, 16, v10
	v_cndmask_b32_e32 v6, v2, v9, vcc
	v_cmp_o_f16_e32 vcc, v4, v4
	v_cndmask_b32_e32 v2, v2, v10, vcc
	global_store_short v[0:1], v3, off
	global_store_short v[0:1], v5, off offset:64
	global_store_short v[0:1], v6, off offset:128
	;; [unrolled: 1-line block ×3, first 2 shown]
	s_endpgm
	.section	.rodata,"a",@progbits
	.p2align	6, 0x0
	.amdhsa_kernel _ZL21dequantize_block_q2_KIN3c108BFloat16EEvPKvPT_
		.amdhsa_group_segment_fixed_size 0
		.amdhsa_private_segment_fixed_size 0
		.amdhsa_kernarg_size 16
		.amdhsa_user_sgpr_count 6
		.amdhsa_user_sgpr_private_segment_buffer 1
		.amdhsa_user_sgpr_dispatch_ptr 0
		.amdhsa_user_sgpr_queue_ptr 0
		.amdhsa_user_sgpr_kernarg_segment_ptr 1
		.amdhsa_user_sgpr_dispatch_id 0
		.amdhsa_user_sgpr_flat_scratch_init 0
		.amdhsa_user_sgpr_kernarg_preload_length 0
		.amdhsa_user_sgpr_kernarg_preload_offset 0
		.amdhsa_user_sgpr_private_segment_size 0
		.amdhsa_uses_dynamic_stack 0
		.amdhsa_system_sgpr_private_segment_wavefront_offset 0
		.amdhsa_system_sgpr_workgroup_id_x 1
		.amdhsa_system_sgpr_workgroup_id_y 0
		.amdhsa_system_sgpr_workgroup_id_z 0
		.amdhsa_system_sgpr_workgroup_info 0
		.amdhsa_system_vgpr_workitem_id 0
		.amdhsa_next_free_vgpr 15
		.amdhsa_next_free_sgpr 7
		.amdhsa_accum_offset 16
		.amdhsa_reserve_vcc 1
		.amdhsa_reserve_flat_scratch 0
		.amdhsa_float_round_mode_32 0
		.amdhsa_float_round_mode_16_64 0
		.amdhsa_float_denorm_mode_32 3
		.amdhsa_float_denorm_mode_16_64 3
		.amdhsa_dx10_clamp 1
		.amdhsa_ieee_mode 1
		.amdhsa_fp16_overflow 0
		.amdhsa_tg_split 0
		.amdhsa_exception_fp_ieee_invalid_op 0
		.amdhsa_exception_fp_denorm_src 0
		.amdhsa_exception_fp_ieee_div_zero 0
		.amdhsa_exception_fp_ieee_overflow 0
		.amdhsa_exception_fp_ieee_underflow 0
		.amdhsa_exception_fp_ieee_inexact 0
		.amdhsa_exception_int_div_zero 0
	.end_amdhsa_kernel
	.section	.text._ZL21dequantize_block_q2_KIN3c108BFloat16EEvPKvPT_,"axG",@progbits,_ZL21dequantize_block_q2_KIN3c108BFloat16EEvPKvPT_,comdat
.Lfunc_end43:
	.size	_ZL21dequantize_block_q2_KIN3c108BFloat16EEvPKvPT_, .Lfunc_end43-_ZL21dequantize_block_q2_KIN3c108BFloat16EEvPKvPT_
                                        ; -- End function
	.section	.AMDGPU.csdata,"",@progbits
; Kernel info:
; codeLenInByte = 540
; NumSgprs: 11
; NumVgprs: 15
; NumAgprs: 0
; TotalNumVgprs: 15
; ScratchSize: 0
; MemoryBound: 0
; FloatMode: 240
; IeeeMode: 1
; LDSByteSize: 0 bytes/workgroup (compile time only)
; SGPRBlocks: 1
; VGPRBlocks: 1
; NumSGPRsForWavesPerEU: 11
; NumVGPRsForWavesPerEU: 15
; AccumOffset: 16
; Occupancy: 8
; WaveLimiterHint : 0
; COMPUTE_PGM_RSRC2:SCRATCH_EN: 0
; COMPUTE_PGM_RSRC2:USER_SGPR: 6
; COMPUTE_PGM_RSRC2:TRAP_HANDLER: 0
; COMPUTE_PGM_RSRC2:TGID_X_EN: 1
; COMPUTE_PGM_RSRC2:TGID_Y_EN: 0
; COMPUTE_PGM_RSRC2:TGID_Z_EN: 0
; COMPUTE_PGM_RSRC2:TIDIG_COMP_CNT: 0
; COMPUTE_PGM_RSRC3_GFX90A:ACCUM_OFFSET: 3
; COMPUTE_PGM_RSRC3_GFX90A:TG_SPLIT: 0
	.section	.text._ZL21dequantize_block_q3_KIN3c108BFloat16EEvPKvPT_,"axG",@progbits,_ZL21dequantize_block_q3_KIN3c108BFloat16EEvPKvPT_,comdat
	.globl	_ZL21dequantize_block_q3_KIN3c108BFloat16EEvPKvPT_ ; -- Begin function _ZL21dequantize_block_q3_KIN3c108BFloat16EEvPKvPT_
	.p2align	8
	.type	_ZL21dequantize_block_q3_KIN3c108BFloat16EEvPKvPT_,@function
_ZL21dequantize_block_q3_KIN3c108BFloat16EEvPKvPT_: ; @_ZL21dequantize_block_q3_KIN3c108BFloat16EEvPKvPT_
; %bb.0:
	v_lshrrev_b32_e32 v4, 5, v0
	v_lshrrev_b32_e32 v6, 3, v0
	v_lshlrev_b32_e32 v1, 2, v4
	s_load_dwordx4 s[0:3], s[4:5], 0x0
	v_sub_u32_e32 v5, v6, v1
	v_lshlrev_b32_e32 v1, 1, v5
	v_bfe_u32 v8, v0, 2, 1
	v_lshl_add_u32 v11, v4, 3, v1
	v_or_b32_e32 v10, v11, v8
	v_cmp_lt_i32_e32 vcc, 3, v10
                                        ; implicit-def: $vgpr2_vgpr3
                                        ; implicit-def: $vgpr7
                                        ; implicit-def: $vgpr9
	s_and_saveexec_b64 s[4:5], vcc
	s_xor_b64 s[4:5], exec, s[4:5]
	s_cbranch_execz .LBB44_10
; %bb.1:
	v_cmp_lt_u32_e32 vcc, 7, v11
                                        ; implicit-def: $vgpr2_vgpr3
                                        ; implicit-def: $vgpr7
                                        ; implicit-def: $vgpr9
	s_and_saveexec_b64 s[8:9], vcc
	s_xor_b64 s[8:9], exec, s[8:9]
	s_cbranch_execz .LBB44_7
; %bb.2:
	s_mul_i32 s13, s6, 0x6e
	s_mul_hi_u32 s12, s6, 0x6e
	s_waitcnt lgkmcnt(0)
	s_add_u32 s10, s0, s13
	v_add_u32_e32 v2, -8, v10
	s_addc_u32 s11, s1, s12
	global_load_ubyte v2, v2, s[10:11] offset:96
	v_cmp_lt_u32_e32 vcc, 11, v11
	s_mov_b32 s7, 0
                                        ; implicit-def: $vgpr9
	s_waitcnt vmcnt(0)
	v_lshrrev_b16_e32 v7, 4, v2
	s_and_saveexec_b64 s[10:11], vcc
	s_xor_b64 s[10:11], exec, s[10:11]
	s_cbranch_execz .LBB44_4
; %bb.3:
	s_add_u32 s14, s0, s13
	v_add_u32_e32 v2, -4, v10
	s_addc_u32 s15, s1, s12
	global_load_ubyte v2, v2, s[14:15] offset:96
                                        ; implicit-def: $vgpr10
	s_waitcnt vmcnt(0)
	v_lshrrev_b16_e32 v9, 2, v2
.LBB44_4:
	s_or_saveexec_b64 s[10:11], s[10:11]
	v_pk_mov_b32 v[2:3], s[6:7], s[6:7] op_sel:[0,1]
	s_xor_b64 exec, exec, s[10:11]
	s_cbranch_execz .LBB44_6
; %bb.5:
	s_add_u32 s14, s0, s13
	s_addc_u32 s15, s1, s12
	global_load_ubyte v9, v10, s[14:15] offset:96
	v_pk_mov_b32 v[2:3], s[6:7], s[6:7] op_sel:[0,1]
.LBB44_6:
	s_or_b64 exec, exec, s[10:11]
                                        ; implicit-def: $vgpr10
.LBB44_7:
	s_andn2_saveexec_b64 s[8:9], s[8:9]
	s_cbranch_execz .LBB44_9
; %bb.8:
	s_mul_i32 s10, s6, 0x6e
	s_mul_hi_u32 s7, s6, 0x6e
	s_waitcnt lgkmcnt(0)
	s_add_u32 s10, s0, s10
	s_addc_u32 s11, s1, s7
	global_load_ubyte v2, v10, s[10:11] offset:96
	global_load_ubyte v3, v10, s[10:11] offset:100
	s_mov_b32 s7, 0
	s_waitcnt vmcnt(1)
	v_and_b32_e32 v7, 15, v2
	s_waitcnt vmcnt(0)
	v_lshlrev_b16_e32 v9, 2, v3
	v_pk_mov_b32 v[2:3], s[6:7], s[6:7] op_sel:[0,1]
.LBB44_9:
	s_or_b64 exec, exec, s[8:9]
                                        ; implicit-def: $vgpr10
.LBB44_10:
	s_andn2_saveexec_b64 s[4:5], s[4:5]
	s_cbranch_execz .LBB44_12
; %bb.11:
	s_mul_i32 s8, s6, 0x6e
	s_mul_hi_u32 s7, s6, 0x6e
	s_waitcnt lgkmcnt(0)
	s_add_u32 s8, s0, s8
	s_addc_u32 s7, s1, s7
	v_ashrrev_i32_e32 v3, 31, v10
	v_mov_b32_e32 v7, s7
	v_add_co_u32_e32 v2, vcc, s8, v10
	v_addc_co_u32_e32 v3, vcc, v7, v3, vcc
	global_load_ubyte v7, v[2:3], off offset:96
	global_load_ubyte v9, v[2:3], off offset:104
	s_mov_b32 s7, 0
	v_pk_mov_b32 v[2:3], s[6:7], s[6:7] op_sel:[0,1]
	s_waitcnt vmcnt(1)
	v_and_b32_e32 v7, 15, v7
	s_waitcnt vmcnt(0)
	v_lshlrev_b16_e32 v9, 4, v9
.LBB44_12:
	s_or_b64 exec, exec, s[4:5]
	v_lshlrev_b32_e32 v10, 2, v0
	v_and_b32_e32 v10, 12, v10
	v_lshl_or_b32 v8, v8, 4, v10
	s_movk_i32 s4, 0x6e
	s_waitcnt lgkmcnt(0)
	v_pk_mov_b32 v[10:11], s[0:1], s[0:1] op_sel:[0,1]
	v_mad_u64_u32 v[10:11], s[0:1], v2, s4, v[10:11]
	v_mov_b32_e32 v2, v11
	v_mad_u64_u32 v[2:3], s[0:1], v3, s4, v[2:3]
	v_mov_b32_e32 v11, v2
	v_add_co_u32_e32 v2, vcc, v10, v8
	v_and_b32_e32 v0, 0x3e0, v0
	v_addc_co_u32_e32 v3, vcc, 0, v11, vcc
	v_add_co_u32_e32 v12, vcc, v2, v0
	v_addc_co_u32_e32 v13, vcc, 0, v3, vcc
	global_load_dword v0, v[12:13], off offset:32
	global_load_dword v14, v[2:3], off
	global_load_ushort v15, v[10:11], off offset:108
	s_waitcnt vmcnt(3)
	v_and_b32_e32 v3, 48, v9
	s_lshl_b32 s0, s6, 8
	s_mov_b32 s1, 0
	v_mov_b32_e32 v9, 32
	v_or_b32_e32 v7, v3, v7
	s_lshl_b64 s[0:1], s[0:1], 1
	v_sub_u32_sdwa v7, v7, v9 dst_sel:DWORD dst_unused:UNUSED_PAD src0_sel:BYTE_0 src1_sel:DWORD
	s_add_u32 s0, s2, s0
	v_lshlrev_b32_e32 v4, 8, v4
	v_lshlrev_b32_e32 v2, 5, v5
	v_cvt_f32_i32_e32 v7, v7
	s_addc_u32 s1, s3, s1
	v_ashrrev_i32_e32 v3, 31, v2
	v_mov_b32_e32 v9, s1
	v_add_co_u32_e32 v4, vcc, s0, v4
	v_lshlrev_b64 v[2:3], 1, v[2:3]
	v_addc_co_u32_e32 v9, vcc, 0, v9, vcc
	v_lshlrev_b32_e64 v6, v6, 1
	v_add_co_u32_e32 v2, vcc, v4, v2
	v_mov_b32_e32 v5, 0
	v_addc_co_u32_e32 v3, vcc, v9, v3, vcc
	v_cvt_f16_f32_e32 v4, v7
	v_lshlrev_b32_e32 v8, 1, v8
	s_movk_i32 s4, 0x7fff
	v_mov_b32_e32 v10, 0x7fc0
	s_waitcnt vmcnt(2)
	v_lshrrev_b32_sdwa v7, v1, v0 dst_sel:DWORD dst_unused:UNUSED_PAD src0_sel:DWORD src1_sel:BYTE_0
	v_lshrrev_b32_sdwa v9, v1, v0 dst_sel:DWORD dst_unused:UNUSED_PAD src0_sel:DWORD src1_sel:BYTE_1
	v_lshrrev_b32_sdwa v11, v1, v0 dst_sel:DWORD dst_unused:UNUSED_PAD src0_sel:DWORD src1_sel:BYTE_3
	v_lshrrev_b32_sdwa v0, v1, v0 dst_sel:DWORD dst_unused:UNUSED_PAD src0_sel:DWORD src1_sel:BYTE_2
	s_waitcnt vmcnt(1)
	v_and_b32_e32 v1, v14, v6
	v_and_b32_sdwa v12, v14, v6 dst_sel:DWORD dst_unused:UNUSED_PAD src0_sel:WORD_1 src1_sel:DWORD
	v_and_b32_sdwa v13, v6, v14 dst_sel:DWORD dst_unused:UNUSED_PAD src0_sel:DWORD src1_sel:BYTE_3
	v_and_b32_sdwa v6, v6, v14 dst_sel:DWORD dst_unused:UNUSED_PAD src0_sel:DWORD src1_sel:BYTE_1
	v_cmp_ne_u32_sdwa s[0:1], v1, v5 src0_sel:BYTE_0 src1_sel:DWORD
	v_cmp_ne_u32_e32 vcc, 0, v6
	v_cndmask_b32_e64 v1, -4, 0, s[0:1]
	v_cndmask_b32_e64 v6, -4, 0, vcc
	v_cmp_ne_u32_e32 vcc, 0, v13
	v_cmp_ne_u32_sdwa s[0:1], v12, v5 src0_sel:BYTE_0 src1_sel:DWORD
	v_cndmask_b32_e64 v13, -4, 0, vcc
	v_cndmask_b32_e64 v5, -4, 0, s[0:1]
	v_and_or_b32 v0, v0, 3, v5
	v_and_or_b32 v5, v11, 3, v13
	v_and_or_b32 v6, v9, 3, v6
	v_and_or_b32 v1, v7, 3, v1
	v_cvt_f32_i32_e32 v5, v5
	v_cvt_f32_i32_e32 v0, v0
	;; [unrolled: 1-line block ×4, first 2 shown]
	v_cvt_f16_f32_e32 v5, v5
	v_cvt_f16_f32_e32 v9, v0
	;; [unrolled: 1-line block ×4, first 2 shown]
	v_add_co_u32_e32 v0, vcc, v2, v8
	v_addc_co_u32_e32 v1, vcc, 0, v3, vcc
	s_waitcnt vmcnt(0)
	v_mul_f16_e32 v2, v15, v4
	v_pack_b32_f16 v3, v9, v5
	v_pack_b32_f16 v4, v7, v6
	v_pk_mul_f16 v3, v2, v3 op_sel_hi:[0,1]
	v_pk_mul_f16 v2, v2, v4 op_sel_hi:[0,1]
	v_cvt_f32_f16_e32 v4, v3
	v_cvt_f32_f16_sdwa v5, v3 dst_sel:DWORD dst_unused:UNUSED_PAD src0_sel:WORD_1
	v_cvt_f32_f16_e32 v6, v2
	v_cvt_f32_f16_sdwa v7, v2 dst_sel:DWORD dst_unused:UNUSED_PAD src0_sel:WORD_1
	v_bfe_u32 v8, v4, 16, 1
	v_bfe_u32 v9, v5, 16, 1
	v_add3_u32 v4, v4, v8, s4
	v_bfe_u32 v11, v6, 16, 1
	v_add3_u32 v5, v5, v9, s4
	v_lshrrev_b32_e32 v4, 16, v4
	v_cmp_o_f16_e32 vcc, v3, v3
	v_bfe_u32 v12, v7, 16, 1
	v_add3_u32 v6, v6, v11, s4
	v_lshrrev_b32_e32 v5, 16, v5
	v_cndmask_b32_e32 v4, v10, v4, vcc
	v_cmp_o_f16_sdwa vcc, v3, v3 src0_sel:WORD_1 src1_sel:WORD_1
	v_add3_u32 v7, v7, v12, s4
	v_lshrrev_b32_e32 v6, 16, v6
	v_cndmask_b32_e32 v3, v10, v5, vcc
	s_mov_b32 s0, 0x5040100
	v_cmp_o_f16_e32 vcc, v2, v2
	v_lshrrev_b32_e32 v7, 16, v7
	v_perm_b32 v3, v3, v4, s0
	v_cndmask_b32_e32 v4, v10, v6, vcc
	v_cmp_o_f16_sdwa vcc, v2, v2 src0_sel:WORD_1 src1_sel:WORD_1
	v_cndmask_b32_e32 v2, v10, v7, vcc
	v_perm_b32 v2, v2, v4, s0
	global_store_dwordx2 v[0:1], v[2:3], off
	s_endpgm
	.section	.rodata,"a",@progbits
	.p2align	6, 0x0
	.amdhsa_kernel _ZL21dequantize_block_q3_KIN3c108BFloat16EEvPKvPT_
		.amdhsa_group_segment_fixed_size 0
		.amdhsa_private_segment_fixed_size 0
		.amdhsa_kernarg_size 16
		.amdhsa_user_sgpr_count 6
		.amdhsa_user_sgpr_private_segment_buffer 1
		.amdhsa_user_sgpr_dispatch_ptr 0
		.amdhsa_user_sgpr_queue_ptr 0
		.amdhsa_user_sgpr_kernarg_segment_ptr 1
		.amdhsa_user_sgpr_dispatch_id 0
		.amdhsa_user_sgpr_flat_scratch_init 0
		.amdhsa_user_sgpr_kernarg_preload_length 0
		.amdhsa_user_sgpr_kernarg_preload_offset 0
		.amdhsa_user_sgpr_private_segment_size 0
		.amdhsa_uses_dynamic_stack 0
		.amdhsa_system_sgpr_private_segment_wavefront_offset 0
		.amdhsa_system_sgpr_workgroup_id_x 1
		.amdhsa_system_sgpr_workgroup_id_y 0
		.amdhsa_system_sgpr_workgroup_id_z 0
		.amdhsa_system_sgpr_workgroup_info 0
		.amdhsa_system_vgpr_workitem_id 0
		.amdhsa_next_free_vgpr 16
		.amdhsa_next_free_sgpr 16
		.amdhsa_accum_offset 16
		.amdhsa_reserve_vcc 1
		.amdhsa_reserve_flat_scratch 0
		.amdhsa_float_round_mode_32 0
		.amdhsa_float_round_mode_16_64 0
		.amdhsa_float_denorm_mode_32 3
		.amdhsa_float_denorm_mode_16_64 3
		.amdhsa_dx10_clamp 1
		.amdhsa_ieee_mode 1
		.amdhsa_fp16_overflow 0
		.amdhsa_tg_split 0
		.amdhsa_exception_fp_ieee_invalid_op 0
		.amdhsa_exception_fp_denorm_src 0
		.amdhsa_exception_fp_ieee_div_zero 0
		.amdhsa_exception_fp_ieee_overflow 0
		.amdhsa_exception_fp_ieee_underflow 0
		.amdhsa_exception_fp_ieee_inexact 0
		.amdhsa_exception_int_div_zero 0
	.end_amdhsa_kernel
	.section	.text._ZL21dequantize_block_q3_KIN3c108BFloat16EEvPKvPT_,"axG",@progbits,_ZL21dequantize_block_q3_KIN3c108BFloat16EEvPKvPT_,comdat
.Lfunc_end44:
	.size	_ZL21dequantize_block_q3_KIN3c108BFloat16EEvPKvPT_, .Lfunc_end44-_ZL21dequantize_block_q3_KIN3c108BFloat16EEvPKvPT_
                                        ; -- End function
	.section	.AMDGPU.csdata,"",@progbits
; Kernel info:
; codeLenInByte = 1048
; NumSgprs: 20
; NumVgprs: 16
; NumAgprs: 0
; TotalNumVgprs: 16
; ScratchSize: 0
; MemoryBound: 0
; FloatMode: 240
; IeeeMode: 1
; LDSByteSize: 0 bytes/workgroup (compile time only)
; SGPRBlocks: 2
; VGPRBlocks: 1
; NumSGPRsForWavesPerEU: 20
; NumVGPRsForWavesPerEU: 16
; AccumOffset: 16
; Occupancy: 8
; WaveLimiterHint : 0
; COMPUTE_PGM_RSRC2:SCRATCH_EN: 0
; COMPUTE_PGM_RSRC2:USER_SGPR: 6
; COMPUTE_PGM_RSRC2:TRAP_HANDLER: 0
; COMPUTE_PGM_RSRC2:TGID_X_EN: 1
; COMPUTE_PGM_RSRC2:TGID_Y_EN: 0
; COMPUTE_PGM_RSRC2:TGID_Z_EN: 0
; COMPUTE_PGM_RSRC2:TIDIG_COMP_CNT: 0
; COMPUTE_PGM_RSRC3_GFX90A:ACCUM_OFFSET: 3
; COMPUTE_PGM_RSRC3_GFX90A:TG_SPLIT: 0
	.section	.text._ZL21dequantize_block_q4_KIN3c108BFloat16EEvPKvPT_,"axG",@progbits,_ZL21dequantize_block_q4_KIN3c108BFloat16EEvPKvPT_,comdat
	.globl	_ZL21dequantize_block_q4_KIN3c108BFloat16EEvPKvPT_ ; -- Begin function _ZL21dequantize_block_q4_KIN3c108BFloat16EEvPKvPT_
	.p2align	8
	.type	_ZL21dequantize_block_q4_KIN3c108BFloat16EEvPKvPT_,@function
_ZL21dequantize_block_q4_KIN3c108BFloat16EEvPKvPT_: ; @_ZL21dequantize_block_q4_KIN3c108BFloat16EEvPKvPT_
; %bb.0:
	s_load_dwordx2 s[0:1], s[4:5], 0x0
	s_mul_i32 s3, s6, 0x90
	v_lshrrev_b32_e32 v1, 3, v0
	s_mul_hi_u32 s2, s6, 0x90
	v_lshlrev_b32_e32 v2, 1, v1
	s_waitcnt lgkmcnt(0)
	s_add_u32 s8, s0, s3
	s_addc_u32 s9, s1, s2
	v_mov_b32_e32 v3, s9
	v_add_co_u32_e64 v4, s[0:1], s8, v2
	v_cmp_lt_u32_e32 vcc, 15, v0
	v_addc_co_u32_e64 v5, s[0:1], 0, v3, s[0:1]
                                        ; implicit-def: $vgpr7
                                        ; implicit-def: $vgpr6
	s_and_saveexec_b64 s[0:1], vcc
	s_xor_b64 s[0:1], exec, s[0:1]
	s_cbranch_execz .LBB45_2
; %bb.1:
	global_load_ubyte v3, v[4:5], off offset:8
	global_load_ubyte v6, v[4:5], off
	global_load_ubyte v7, v[4:5], off offset:4
	s_waitcnt vmcnt(2)
	v_and_b32_e32 v4, 15, v3
	s_waitcnt vmcnt(1)
	v_lshrrev_b16_e32 v5, 2, v6
	s_waitcnt vmcnt(0)
	v_lshrrev_b16_e32 v6, 2, v7
	v_lshrrev_b16_e32 v3, 4, v3
	v_and_b32_e32 v5, 48, v5
	v_and_b32_e32 v7, 48, v6
	v_or_b32_e32 v6, v5, v4
	v_or_b32_e32 v7, v7, v3
                                        ; implicit-def: $vgpr4_vgpr5
.LBB45_2:
	s_andn2_saveexec_b64 s[0:1], s[0:1]
	s_cbranch_execz .LBB45_4
; %bb.3:
	global_load_ubyte v3, v[4:5], off offset:4
	global_load_ubyte v7, v[4:5], off offset:8
	s_waitcnt vmcnt(1)
	v_and_b32_e32 v6, 63, v3
	s_waitcnt vmcnt(0)
	v_and_b32_e32 v7, 63, v7
.LBB45_4:
	s_or_b64 exec, exec, s[0:1]
	s_load_dwordx2 s[2:3], s[4:5], 0x8
	s_load_dword s7, s[8:9], 0x0
	s_add_u32 s0, s8, 4
	s_addc_u32 s1, s9, 0
	v_mov_b32_e32 v3, s1
	v_add_co_u32_e64 v2, s[0:1], s0, v2
	v_addc_co_u32_e64 v3, s[0:1], 0, v3, s[0:1]
                                        ; implicit-def: $vgpr5
                                        ; implicit-def: $vgpr4
	s_and_saveexec_b64 s[0:1], vcc
	s_xor_b64 s[0:1], exec, s[0:1]
	s_cbranch_execz .LBB45_6
; %bb.5:
	global_load_ubyte v4, v[2:3], off offset:5
	global_load_ubyte v5, v[2:3], off offset:-3
	global_load_ubyte v8, v[2:3], off offset:1
	s_waitcnt vmcnt(2)
	v_and_b32_e32 v2, 15, v4
	s_waitcnt vmcnt(1)
	v_lshrrev_b16_e32 v3, 2, v5
	v_lshrrev_b16_e32 v5, 4, v4
	s_waitcnt vmcnt(0)
	v_lshrrev_b16_e32 v4, 2, v8
	v_and_b32_e32 v3, 48, v3
	v_and_b32_e32 v8, 48, v4
	v_or_b32_e32 v4, v3, v2
	v_or_b32_e32 v5, v8, v5
                                        ; implicit-def: $vgpr2_vgpr3
.LBB45_6:
	s_andn2_saveexec_b64 s[0:1], s[0:1]
	s_cbranch_execz .LBB45_8
; %bb.7:
	global_load_ubyte v4, v[2:3], off offset:1
	global_load_ubyte v5, v[2:3], off offset:5
	s_waitcnt vmcnt(1)
	v_and_b32_e32 v4, 63, v4
	s_waitcnt vmcnt(0)
	v_and_b32_e32 v5, 63, v5
.LBB45_8:
	s_or_b64 exec, exec, s[0:1]
	v_lshlrev_b32_e32 v2, 5, v1
	v_mov_b32_e32 v3, s9
	v_add_co_u32_e32 v2, vcc, s8, v2
	v_lshlrev_b32_e32 v0, 2, v0
	v_addc_co_u32_e32 v3, vcc, 0, v3, vcc
	v_and_b32_e32 v0, 28, v0
	v_add_co_u32_e32 v2, vcc, v2, v0
	v_addc_co_u32_e32 v3, vcc, 0, v3, vcc
	global_load_dword v2, v[2:3], off offset:16
	s_mov_b32 s1, 0
	s_lshl_b32 s0, s6, 8
	s_waitcnt lgkmcnt(0)
	s_lshr_b32 s4, s7, 16
	s_lshl_b64 s[0:1], s[0:1], 1
	s_add_u32 s0, s2, s0
	v_lshlrev_b32_e32 v1, 7, v1
	s_addc_u32 s1, s3, s1
	v_mov_b32_e32 v9, s1
	v_add_co_u32_e32 v1, vcc, s0, v1
	v_lshlrev_b32_e32 v0, 1, v0
	v_addc_co_u32_e32 v9, vcc, 0, v9, vcc
	v_mov_b32_e32 v8, 15
	v_add_co_u32_e32 v0, vcc, v1, v0
	v_addc_co_u32_e32 v1, vcc, 0, v9, vcc
	v_cvt_f16_u16_sdwa v3, v7 dst_sel:DWORD dst_unused:UNUSED_PAD src0_sel:BYTE_0
	v_cvt_f16_u16_sdwa v6, v6 dst_sel:DWORD dst_unused:UNUSED_PAD src0_sel:BYTE_0
	v_mul_f16_e32 v3, s4, v3
	v_mul_f16_e32 v6, s7, v6
	v_cvt_f16_u16_sdwa v4, v4 dst_sel:DWORD dst_unused:UNUSED_PAD src0_sel:BYTE_0
	v_cvt_f16_u16_sdwa v5, v5 dst_sel:DWORD dst_unused:UNUSED_PAD src0_sel:BYTE_0
	v_mul_f16_e32 v4, s7, v4
	v_mul_f16_e32 v5, s4, v5
	s_movk_i32 s5, 0x7fff
	v_mov_b32_e32 v7, 0x7fc0
	s_mov_b32 s0, 0x5040100
	s_waitcnt vmcnt(0)
	v_lshrrev_b32_e32 v9, 8, v2
	v_and_b32_sdwa v12, v2, v8 dst_sel:DWORD dst_unused:UNUSED_PAD src0_sel:WORD_1 src1_sel:DWORD
	v_and_b32_sdwa v8, v2, v8 dst_sel:DWORD dst_unused:UNUSED_PAD src0_sel:BYTE_3 src1_sel:DWORD
	v_and_b32_e32 v10, 15, v2
	v_and_b32_e32 v13, 15, v9
	v_cvt_f16_u16_e32 v8, v8
	v_cvt_f16_u16_e32 v12, v12
	v_lshrrev_b16_e32 v11, 4, v2
	v_cvt_f16_u16_e32 v10, v10
	v_lshrrev_b16_e32 v9, 4, v9
	v_cvt_f16_u16_e32 v13, v13
	v_pack_b32_f16 v8, v12, v8
	v_and_b32_e32 v11, 15, v11
	v_and_b32_e32 v9, 15, v9
	v_pack_b32_f16 v10, v10, v13
	v_pk_fma_f16 v8, v6, v8, v3 op_sel_hi:[0,1,0] neg_lo:[0,0,1] neg_hi:[0,0,1]
	v_cvt_f16_u16_e32 v11, v11
	v_cvt_f16_u16_e32 v9, v9
	v_pk_fma_f16 v3, v6, v10, v3 op_sel_hi:[0,1,0] neg_lo:[0,0,1] neg_hi:[0,0,1]
	v_cvt_f32_f16_e32 v10, v8
	v_pack_b32_f16 v6, v11, v9
	v_cvt_f32_f16_e32 v12, v3
	v_cvt_f32_f16_sdwa v11, v3 dst_sel:DWORD dst_unused:UNUSED_PAD src0_sel:WORD_1
	v_pk_fma_f16 v6, v4, v6, v5 op_sel_hi:[0,1,0] neg_lo:[0,0,1] neg_hi:[0,0,1]
	v_cvt_f32_f16_sdwa v9, v8 dst_sel:DWORD dst_unused:UNUSED_PAD src0_sel:WORD_1
	v_cvt_f32_f16_e32 v14, v6
	v_cvt_f32_f16_sdwa v13, v6 dst_sel:DWORD dst_unused:UNUSED_PAD src0_sel:WORD_1
	v_bfe_u32 v15, v10, 16, 1
	v_bfe_u32 v17, v12, 16, 1
	v_add3_u32 v10, v10, v15, s5
	v_bfe_u32 v18, v11, 16, 1
	v_add3_u32 v12, v12, v17, s5
	v_lshrrev_b32_e32 v10, 16, v10
	v_cmp_o_f16_e32 vcc, v8, v8
	v_bfe_u32 v16, v9, 16, 1
	v_add3_u32 v11, v11, v18, s5
	v_bfe_u32 v15, v14, 16, 1
	v_lshrrev_b32_e32 v12, 16, v12
	v_cndmask_b32_e32 v10, v7, v10, vcc
	v_cmp_o_f16_e32 vcc, v3, v3
	v_add3_u32 v9, v9, v16, s5
	v_bfe_u32 v16, v13, 16, 1
	v_lshrrev_b32_e32 v11, 16, v11
	v_add3_u32 v14, v14, v15, s5
	v_cndmask_b32_e32 v12, v7, v12, vcc
	v_cmp_o_f16_sdwa vcc, v3, v3 src0_sel:WORD_1 src1_sel:WORD_1
	v_add3_u32 v13, v13, v16, s5
	v_cndmask_b32_e32 v11, v7, v11, vcc
	v_lshrrev_b32_e32 v3, 16, v14
	v_cmp_o_f16_e32 vcc, v6, v6
	v_lshrrev_b32_e32 v13, 16, v13
	v_cndmask_b32_e32 v14, v7, v3, vcc
	v_cmp_o_f16_sdwa vcc, v6, v6 src0_sel:WORD_1 src1_sel:WORD_1
	v_lshrrev_b32_e32 v9, 16, v9
	v_cndmask_b32_e32 v6, v7, v13, vcc
	v_cmp_o_f16_sdwa vcc, v8, v8 src0_sel:WORD_1 src1_sel:WORD_1
	v_cndmask_b32_e32 v3, v7, v9, vcc
	v_lshrrev_b32_e32 v8, 20, v2
	v_mov_b32_e32 v9, 4
	v_and_b32_e32 v8, 15, v8
	v_lshrrev_b16_sdwa v2, v9, v2 dst_sel:DWORD dst_unused:UNUSED_PAD src0_sel:DWORD src1_sel:BYTE_3
	v_cvt_f16_u16_e32 v2, v2
	v_cvt_f16_u16_e32 v8, v8
	v_pack_b32_f16 v2, v8, v2
	v_pk_fma_f16 v4, v4, v2, v5 op_sel_hi:[0,1,0] neg_lo:[0,0,1] neg_hi:[0,0,1]
	v_cvt_f32_f16_e32 v5, v4
	v_cvt_f32_f16_sdwa v8, v4 dst_sel:DWORD dst_unused:UNUSED_PAD src0_sel:WORD_1
	v_perm_b32 v3, v3, v10, s0
	v_perm_b32 v2, v11, v12, s0
	global_store_dwordx2 v[0:1], v[2:3], off
	v_bfe_u32 v2, v5, 16, 1
	v_bfe_u32 v3, v8, 16, 1
	v_add3_u32 v2, v5, v2, s5
	v_add3_u32 v3, v8, v3, s5
	v_lshrrev_b32_e32 v2, 16, v2
	v_cmp_o_f16_e32 vcc, v4, v4
	v_lshrrev_b32_e32 v3, 16, v3
	v_cndmask_b32_e32 v2, v7, v2, vcc
	v_cmp_o_f16_sdwa vcc, v4, v4 src0_sel:WORD_1 src1_sel:WORD_1
	v_cndmask_b32_e32 v3, v7, v3, vcc
	v_perm_b32 v3, v3, v2, s0
	v_perm_b32 v2, v6, v14, s0
	global_store_dwordx2 v[0:1], v[2:3], off offset:64
	s_endpgm
	.section	.rodata,"a",@progbits
	.p2align	6, 0x0
	.amdhsa_kernel _ZL21dequantize_block_q4_KIN3c108BFloat16EEvPKvPT_
		.amdhsa_group_segment_fixed_size 0
		.amdhsa_private_segment_fixed_size 0
		.amdhsa_kernarg_size 16
		.amdhsa_user_sgpr_count 6
		.amdhsa_user_sgpr_private_segment_buffer 1
		.amdhsa_user_sgpr_dispatch_ptr 0
		.amdhsa_user_sgpr_queue_ptr 0
		.amdhsa_user_sgpr_kernarg_segment_ptr 1
		.amdhsa_user_sgpr_dispatch_id 0
		.amdhsa_user_sgpr_flat_scratch_init 0
		.amdhsa_user_sgpr_kernarg_preload_length 0
		.amdhsa_user_sgpr_kernarg_preload_offset 0
		.amdhsa_user_sgpr_private_segment_size 0
		.amdhsa_uses_dynamic_stack 0
		.amdhsa_system_sgpr_private_segment_wavefront_offset 0
		.amdhsa_system_sgpr_workgroup_id_x 1
		.amdhsa_system_sgpr_workgroup_id_y 0
		.amdhsa_system_sgpr_workgroup_id_z 0
		.amdhsa_system_sgpr_workgroup_info 0
		.amdhsa_system_vgpr_workitem_id 0
		.amdhsa_next_free_vgpr 19
		.amdhsa_next_free_sgpr 10
		.amdhsa_accum_offset 20
		.amdhsa_reserve_vcc 1
		.amdhsa_reserve_flat_scratch 0
		.amdhsa_float_round_mode_32 0
		.amdhsa_float_round_mode_16_64 0
		.amdhsa_float_denorm_mode_32 3
		.amdhsa_float_denorm_mode_16_64 3
		.amdhsa_dx10_clamp 1
		.amdhsa_ieee_mode 1
		.amdhsa_fp16_overflow 0
		.amdhsa_tg_split 0
		.amdhsa_exception_fp_ieee_invalid_op 0
		.amdhsa_exception_fp_denorm_src 0
		.amdhsa_exception_fp_ieee_div_zero 0
		.amdhsa_exception_fp_ieee_overflow 0
		.amdhsa_exception_fp_ieee_underflow 0
		.amdhsa_exception_fp_ieee_inexact 0
		.amdhsa_exception_int_div_zero 0
	.end_amdhsa_kernel
	.section	.text._ZL21dequantize_block_q4_KIN3c108BFloat16EEvPKvPT_,"axG",@progbits,_ZL21dequantize_block_q4_KIN3c108BFloat16EEvPKvPT_,comdat
.Lfunc_end45:
	.size	_ZL21dequantize_block_q4_KIN3c108BFloat16EEvPKvPT_, .Lfunc_end45-_ZL21dequantize_block_q4_KIN3c108BFloat16EEvPKvPT_
                                        ; -- End function
	.section	.AMDGPU.csdata,"",@progbits
; Kernel info:
; codeLenInByte = 1032
; NumSgprs: 14
; NumVgprs: 19
; NumAgprs: 0
; TotalNumVgprs: 19
; ScratchSize: 0
; MemoryBound: 0
; FloatMode: 240
; IeeeMode: 1
; LDSByteSize: 0 bytes/workgroup (compile time only)
; SGPRBlocks: 1
; VGPRBlocks: 2
; NumSGPRsForWavesPerEU: 14
; NumVGPRsForWavesPerEU: 19
; AccumOffset: 20
; Occupancy: 8
; WaveLimiterHint : 0
; COMPUTE_PGM_RSRC2:SCRATCH_EN: 0
; COMPUTE_PGM_RSRC2:USER_SGPR: 6
; COMPUTE_PGM_RSRC2:TRAP_HANDLER: 0
; COMPUTE_PGM_RSRC2:TGID_X_EN: 1
; COMPUTE_PGM_RSRC2:TGID_Y_EN: 0
; COMPUTE_PGM_RSRC2:TGID_Z_EN: 0
; COMPUTE_PGM_RSRC2:TIDIG_COMP_CNT: 0
; COMPUTE_PGM_RSRC3_GFX90A:ACCUM_OFFSET: 4
; COMPUTE_PGM_RSRC3_GFX90A:TG_SPLIT: 0
	.section	.text._ZL21dequantize_block_q5_KIN3c108BFloat16EEvPKvPT_,"axG",@progbits,_ZL21dequantize_block_q5_KIN3c108BFloat16EEvPKvPT_,comdat
	.globl	_ZL21dequantize_block_q5_KIN3c108BFloat16EEvPKvPT_ ; -- Begin function _ZL21dequantize_block_q5_KIN3c108BFloat16EEvPKvPT_
	.p2align	8
	.type	_ZL21dequantize_block_q5_KIN3c108BFloat16EEvPKvPT_,@function
_ZL21dequantize_block_q5_KIN3c108BFloat16EEvPKvPT_: ; @_ZL21dequantize_block_q5_KIN3c108BFloat16EEvPKvPT_
; %bb.0:
	s_load_dwordx2 s[0:1], s[4:5], 0x0
	s_mul_i32 s2, s6, 0xb0
	v_lshrrev_b32_e32 v1, 4, v0
	s_mul_hi_u32 s3, s6, 0xb0
	v_lshlrev_b32_e32 v2, 1, v1
	s_waitcnt lgkmcnt(0)
	s_add_u32 s2, s0, s2
	s_addc_u32 s3, s1, s3
	v_mov_b32_e32 v3, s3
	v_add_co_u32_e64 v4, s[0:1], s2, v2
	v_cmp_lt_u32_e32 vcc, 31, v0
	v_addc_co_u32_e64 v5, s[0:1], 0, v3, s[0:1]
                                        ; implicit-def: $vgpr6
                                        ; implicit-def: $vgpr3
	s_and_saveexec_b64 s[0:1], vcc
	s_xor_b64 s[0:1], exec, s[0:1]
	s_cbranch_execz .LBB46_2
; %bb.1:
	global_load_ubyte v3, v[4:5], off offset:8
	global_load_ubyte v6, v[4:5], off
	global_load_ubyte v7, v[4:5], off offset:4
	s_waitcnt vmcnt(2)
	v_and_b32_e32 v4, 15, v3
	s_waitcnt vmcnt(1)
	v_lshrrev_b16_e32 v5, 2, v6
	v_lshrrev_b16_e32 v6, 4, v3
	s_waitcnt vmcnt(0)
	v_lshrrev_b16_e32 v3, 2, v7
	v_and_b32_e32 v5, 48, v5
	v_and_b32_e32 v7, 48, v3
	v_or_b32_e32 v3, v5, v4
	v_or_b32_e32 v6, v7, v6
                                        ; implicit-def: $vgpr4_vgpr5
.LBB46_2:
	s_andn2_saveexec_b64 s[0:1], s[0:1]
	s_cbranch_execz .LBB46_4
; %bb.3:
	global_load_ubyte v3, v[4:5], off offset:4
	global_load_ubyte v6, v[4:5], off offset:8
	s_waitcnt vmcnt(1)
	v_and_b32_e32 v3, 63, v3
	s_waitcnt vmcnt(0)
	v_and_b32_e32 v6, 63, v6
.LBB46_4:
	s_or_b64 exec, exec, s[0:1]
	s_load_dwordx2 s[8:9], s[4:5], 0x8
	s_load_dword s7, s[2:3], 0x0
	s_add_u32 s0, s2, 4
	s_addc_u32 s1, s3, 0
	v_mov_b32_e32 v5, s1
	v_add_co_u32_e64 v4, s[0:1], s0, v2
	v_addc_co_u32_e64 v5, s[0:1], 0, v5, s[0:1]
                                        ; implicit-def: $vgpr8
                                        ; implicit-def: $vgpr7
	s_and_saveexec_b64 s[0:1], vcc
	s_xor_b64 s[0:1], exec, s[0:1]
	s_cbranch_execz .LBB46_6
; %bb.5:
	global_load_ubyte v7, v[4:5], off offset:5
	global_load_ubyte v8, v[4:5], off offset:-3
	global_load_ubyte v9, v[4:5], off offset:1
	s_waitcnt vmcnt(2)
	v_and_b32_e32 v4, 15, v7
	s_waitcnt vmcnt(1)
	v_lshrrev_b16_e32 v5, 2, v8
	v_lshrrev_b16_e32 v8, 4, v7
	s_waitcnt vmcnt(0)
	v_lshrrev_b16_e32 v7, 2, v9
	v_and_b32_e32 v5, 48, v5
	v_and_b32_e32 v9, 48, v7
	v_or_b32_e32 v7, v5, v4
	v_or_b32_e32 v8, v9, v8
                                        ; implicit-def: $vgpr4_vgpr5
.LBB46_6:
	s_andn2_saveexec_b64 s[0:1], s[0:1]
	s_cbranch_execz .LBB46_8
; %bb.7:
	global_load_ubyte v7, v[4:5], off offset:1
	global_load_ubyte v8, v[4:5], off offset:5
	s_waitcnt vmcnt(1)
	v_and_b32_e32 v7, 63, v7
	s_waitcnt vmcnt(0)
	v_and_b32_e32 v8, 63, v8
.LBB46_8:
	s_or_b64 exec, exec, s[0:1]
	v_lshlrev_b32_e32 v0, 1, v0
	v_and_b32_e32 v0, 30, v0
	v_mov_b32_e32 v4, s3
	v_add_co_u32_e32 v5, vcc, s2, v0
	v_addc_co_u32_e32 v9, vcc, 0, v4, vcc
	v_lshlrev_b32_e32 v4, 5, v1
	v_add_co_u32_e32 v4, vcc, v5, v4
	v_addc_co_u32_e32 v5, vcc, 0, v9, vcc
	global_load_ushort v9, v[4:5], off offset:48
	global_load_ushort v10, v0, s[2:3] offset:16
	s_mov_b32 s1, 0
	s_lshl_b32 s0, s6, 8
	s_waitcnt lgkmcnt(0)
	s_lshr_b32 s2, s7, 16
	s_lshl_b64 s[0:1], s[0:1], 1
	s_add_u32 s0, s8, s0
	v_lshlrev_b32_e32 v1, 7, v1
	s_addc_u32 s1, s9, s1
	v_mov_b32_e32 v12, s1
	v_add_co_u32_e32 v1, vcc, s0, v1
	v_lshlrev_b32_e32 v0, 1, v0
	v_addc_co_u32_e32 v12, vcc, 0, v12, vcc
	v_cvt_f16_u16_sdwa v5, v7 dst_sel:DWORD dst_unused:UNUSED_PAD src0_sel:BYTE_0
	v_lshlrev_b32_e64 v7, v2, 1
	v_add_co_u32_e32 v0, vcc, v1, v0
	v_addc_co_u32_e32 v1, vcc, 0, v12, vcc
	v_lshlrev_b32_e64 v2, v2, 2
	v_mov_b32_e32 v11, 15
	v_cvt_f16_u16_sdwa v4, v6 dst_sel:DWORD dst_unused:UNUSED_PAD src0_sel:BYTE_0
	v_cvt_f16_u16_sdwa v3, v3 dst_sel:DWORD dst_unused:UNUSED_PAD src0_sel:BYTE_0
	;; [unrolled: 1-line block ×3, first 2 shown]
	v_mul_f16_e32 v4, s2, v4
	v_mul_f16_e32 v3, s7, v3
	;; [unrolled: 1-line block ×4, first 2 shown]
	s_movk_i32 s3, 0x7fff
	v_mov_b32_e32 v8, 0x7fc0
	s_mov_b32 s4, 0x5040100
	s_waitcnt vmcnt(1)
	v_lshrrev_b16_e32 v14, 4, v9
	s_waitcnt vmcnt(0)
	v_and_b32_sdwa v13, v7, v10 dst_sel:DWORD dst_unused:UNUSED_PAD src0_sel:DWORD src1_sel:BYTE_0
	v_and_b32_sdwa v7, v7, v10 dst_sel:DWORD dst_unused:UNUSED_PAD src0_sel:DWORD src1_sel:BYTE_1
	v_cmp_ne_u32_e32 vcc, 0, v13
	v_and_b32_sdwa v15, v2, v10 dst_sel:DWORD dst_unused:UNUSED_PAD src0_sel:DWORD src1_sel:BYTE_0
	v_and_b32_sdwa v2, v2, v10 dst_sel:DWORD dst_unused:UNUSED_PAD src0_sel:DWORD src1_sel:BYTE_1
	v_cndmask_b32_e64 v10, 0, 1, vcc
	v_cmp_ne_u32_e32 vcc, 0, v7
	v_cndmask_b32_e64 v7, 0, 1, vcc
	v_cmp_ne_u32_e32 vcc, 0, v15
	v_and_b32_e32 v12, 15, v9
	v_and_b32_e32 v13, 15, v14
	v_cndmask_b32_e64 v14, 0, 1, vcc
	v_cmp_ne_u32_e32 vcc, 0, v2
	v_and_b32_sdwa v11, v9, v11 dst_sel:DWORD dst_unused:UNUSED_PAD src0_sel:BYTE_1 src1_sel:DWORD
	v_lshrrev_b16_e32 v9, 12, v9
	v_cndmask_b32_e64 v2, 0, 1, vcc
	v_lshl_or_b32 v10, v10, 4, v12
	v_lshl_or_b32 v7, v7, 4, v11
	;; [unrolled: 1-line block ×4, first 2 shown]
	v_cvt_f32_ubyte0_e32 v9, v10
	v_cvt_f32_ubyte0_e32 v7, v7
	;; [unrolled: 1-line block ×4, first 2 shown]
	v_cvt_f16_f32_e32 v9, v9
	v_cvt_f16_f32_e32 v7, v7
	;; [unrolled: 1-line block ×4, first 2 shown]
	v_fma_f16 v9, v3, v9, -v4
	v_fma_f16 v3, v3, v7, -v4
	;; [unrolled: 1-line block ×4, first 2 shown]
	v_cvt_f32_f16_e32 v5, v9
	v_cvt_f32_f16_e32 v6, v3
	;; [unrolled: 1-line block ×4, first 2 shown]
	v_bfe_u32 v11, v5, 16, 1
	v_bfe_u32 v12, v6, 16, 1
	v_add3_u32 v5, v5, v11, s3
	v_bfe_u32 v13, v7, 16, 1
	v_add3_u32 v6, v6, v12, s3
	v_lshrrev_b32_e32 v5, 16, v5
	v_cmp_o_f16_e32 vcc, v9, v9
	v_bfe_u32 v14, v10, 16, 1
	v_add3_u32 v7, v7, v13, s3
	v_lshrrev_b32_e32 v6, 16, v6
	v_cndmask_b32_e32 v5, v8, v5, vcc
	v_cmp_o_f16_e32 vcc, v3, v3
	v_add3_u32 v10, v10, v14, s3
	v_lshrrev_b32_e32 v7, 16, v7
	v_cndmask_b32_e32 v3, v8, v6, vcc
	v_cmp_o_f16_e32 vcc, v4, v4
	v_lshrrev_b32_e32 v10, 16, v10
	v_cndmask_b32_e32 v4, v8, v7, vcc
	v_cmp_o_f16_e32 vcc, v2, v2
	v_cndmask_b32_e32 v2, v8, v10, vcc
	v_perm_b32 v3, v3, v5, s4
	v_perm_b32 v2, v2, v4, s4
	global_store_dword v[0:1], v3, off
	global_store_dword v[0:1], v2, off offset:64
	s_endpgm
	.section	.rodata,"a",@progbits
	.p2align	6, 0x0
	.amdhsa_kernel _ZL21dequantize_block_q5_KIN3c108BFloat16EEvPKvPT_
		.amdhsa_group_segment_fixed_size 0
		.amdhsa_private_segment_fixed_size 0
		.amdhsa_kernarg_size 16
		.amdhsa_user_sgpr_count 6
		.amdhsa_user_sgpr_private_segment_buffer 1
		.amdhsa_user_sgpr_dispatch_ptr 0
		.amdhsa_user_sgpr_queue_ptr 0
		.amdhsa_user_sgpr_kernarg_segment_ptr 1
		.amdhsa_user_sgpr_dispatch_id 0
		.amdhsa_user_sgpr_flat_scratch_init 0
		.amdhsa_user_sgpr_kernarg_preload_length 0
		.amdhsa_user_sgpr_kernarg_preload_offset 0
		.amdhsa_user_sgpr_private_segment_size 0
		.amdhsa_uses_dynamic_stack 0
		.amdhsa_system_sgpr_private_segment_wavefront_offset 0
		.amdhsa_system_sgpr_workgroup_id_x 1
		.amdhsa_system_sgpr_workgroup_id_y 0
		.amdhsa_system_sgpr_workgroup_id_z 0
		.amdhsa_system_sgpr_workgroup_info 0
		.amdhsa_system_vgpr_workitem_id 0
		.amdhsa_next_free_vgpr 16
		.amdhsa_next_free_sgpr 10
		.amdhsa_accum_offset 16
		.amdhsa_reserve_vcc 1
		.amdhsa_reserve_flat_scratch 0
		.amdhsa_float_round_mode_32 0
		.amdhsa_float_round_mode_16_64 0
		.amdhsa_float_denorm_mode_32 3
		.amdhsa_float_denorm_mode_16_64 3
		.amdhsa_dx10_clamp 1
		.amdhsa_ieee_mode 1
		.amdhsa_fp16_overflow 0
		.amdhsa_tg_split 0
		.amdhsa_exception_fp_ieee_invalid_op 0
		.amdhsa_exception_fp_denorm_src 0
		.amdhsa_exception_fp_ieee_div_zero 0
		.amdhsa_exception_fp_ieee_overflow 0
		.amdhsa_exception_fp_ieee_underflow 0
		.amdhsa_exception_fp_ieee_inexact 0
		.amdhsa_exception_int_div_zero 0
	.end_amdhsa_kernel
	.section	.text._ZL21dequantize_block_q5_KIN3c108BFloat16EEvPKvPT_,"axG",@progbits,_ZL21dequantize_block_q5_KIN3c108BFloat16EEvPKvPT_,comdat
.Lfunc_end46:
	.size	_ZL21dequantize_block_q5_KIN3c108BFloat16EEvPKvPT_, .Lfunc_end46-_ZL21dequantize_block_q5_KIN3c108BFloat16EEvPKvPT_
                                        ; -- End function
	.section	.AMDGPU.csdata,"",@progbits
; Kernel info:
; codeLenInByte = 924
; NumSgprs: 14
; NumVgprs: 16
; NumAgprs: 0
; TotalNumVgprs: 16
; ScratchSize: 0
; MemoryBound: 0
; FloatMode: 240
; IeeeMode: 1
; LDSByteSize: 0 bytes/workgroup (compile time only)
; SGPRBlocks: 1
; VGPRBlocks: 1
; NumSGPRsForWavesPerEU: 14
; NumVGPRsForWavesPerEU: 16
; AccumOffset: 16
; Occupancy: 8
; WaveLimiterHint : 0
; COMPUTE_PGM_RSRC2:SCRATCH_EN: 0
; COMPUTE_PGM_RSRC2:USER_SGPR: 6
; COMPUTE_PGM_RSRC2:TRAP_HANDLER: 0
; COMPUTE_PGM_RSRC2:TGID_X_EN: 1
; COMPUTE_PGM_RSRC2:TGID_Y_EN: 0
; COMPUTE_PGM_RSRC2:TGID_Z_EN: 0
; COMPUTE_PGM_RSRC2:TIDIG_COMP_CNT: 0
; COMPUTE_PGM_RSRC3_GFX90A:ACCUM_OFFSET: 3
; COMPUTE_PGM_RSRC3_GFX90A:TG_SPLIT: 0
	.section	.text._ZL21dequantize_block_q6_KIN3c108BFloat16EEvPKvPT_,"axG",@progbits,_ZL21dequantize_block_q6_KIN3c108BFloat16EEvPKvPT_,comdat
	.globl	_ZL21dequantize_block_q6_KIN3c108BFloat16EEvPKvPT_ ; -- Begin function _ZL21dequantize_block_q6_KIN3c108BFloat16EEvPKvPT_
	.p2align	8
	.type	_ZL21dequantize_block_q6_KIN3c108BFloat16EEvPKvPT_,@function
_ZL21dequantize_block_q6_KIN3c108BFloat16EEvPKvPT_: ; @_ZL21dequantize_block_q6_KIN3c108BFloat16EEvPKvPT_
; %bb.0:
	s_load_dwordx4 s[0:3], s[4:5], 0x0
	s_lshl_b32 s4, s6, 8
	s_mov_b32 s5, 0
	s_lshl_b64 s[4:5], s[4:5], 1
	v_lshrrev_b32_e32 v1, 5, v0
	s_waitcnt lgkmcnt(0)
	s_add_u32 s2, s2, s4
	s_addc_u32 s3, s3, s5
	s_mul_hi_u32 s4, s6, 0xd2
	s_mulk_i32 s6, 0xd2
	s_add_u32 s0, s0, s6
	s_addc_u32 s1, s1, s4
	v_lshlrev_b32_e32 v2, 6, v1
	v_mov_b32_e32 v3, s1
	v_add_co_u32_e32 v2, vcc, s0, v2
	v_and_b32_e32 v4, 31, v0
	v_addc_co_u32_e32 v3, vcc, 0, v3, vcc
	global_load_ubyte v5, v0, s[0:1] offset:128
	v_add_co_u32_e32 v2, vcc, v2, v4
	v_addc_co_u32_e32 v3, vcc, 0, v3, vcc
	global_load_ubyte v6, v[2:3], off
	global_load_ubyte v7, v[2:3], off offset:32
	v_bfe_u32 v0, v0, 4, 1
	v_lshl_or_b32 v0, v1, 3, v0
	global_load_sbyte v2, v0, s[0:1] offset:192
	global_load_sbyte v3, v0, s[0:1] offset:194
	;; [unrolled: 1-line block ×4, first 2 shown]
	v_mov_b32_e32 v0, 0
	global_load_ushort v10, v0, s[0:1] offset:208
	v_lshlrev_b32_e32 v0, 8, v1
	v_lshlrev_b32_e32 v1, 1, v4
	v_mov_b32_e32 v4, s3
	v_add_co_u32_e32 v0, vcc, s2, v0
	v_addc_co_u32_e32 v4, vcc, 0, v4, vcc
	v_add_co_u32_e32 v0, vcc, v0, v1
	v_addc_co_u32_e32 v1, vcc, 0, v4, vcc
	v_mov_b32_e32 v11, 32
	s_movk_i32 s0, 0x7fff
	v_mov_b32_e32 v12, 0x7fc0
	s_waitcnt vmcnt(7)
	v_lshlrev_b16_e32 v4, 4, v5
	v_lshlrev_b16_e32 v13, 2, v5
	v_and_b32_e32 v4, 48, v4
	v_and_b32_e32 v14, 48, v5
	s_waitcnt vmcnt(6)
	v_and_b32_e32 v15, 15, v6
	v_lshrrev_b16_e32 v5, 2, v5
	v_and_b32_e32 v13, 48, v13
	s_waitcnt vmcnt(5)
	v_and_b32_e32 v16, 15, v7
	v_or_b32_e32 v4, v15, v4
	v_and_b32_e32 v5, 48, v5
	v_lshrrev_b16_e32 v6, 4, v6
	v_lshrrev_b16_e32 v7, 4, v7
	v_or_b32_e32 v13, v16, v13
	v_sub_u32_sdwa v4, v4, v11 dst_sel:DWORD dst_unused:UNUSED_PAD src0_sel:WORD_0 src1_sel:DWORD
	v_or_b32_e32 v6, v6, v14
	v_or_b32_e32 v5, v7, v5
	v_sub_u32_sdwa v7, v13, v11 dst_sel:DWORD dst_unused:UNUSED_PAD src0_sel:WORD_0 src1_sel:DWORD
	s_waitcnt vmcnt(4)
	v_mul_i32_i24_e32 v2, v4, v2
	v_sub_u32_sdwa v6, v6, v11 dst_sel:DWORD dst_unused:UNUSED_PAD src0_sel:WORD_0 src1_sel:DWORD
	s_waitcnt vmcnt(3)
	v_mul_i32_i24_e32 v3, v7, v3
	v_cvt_f32_i32_e32 v2, v2
	v_sub_u32_sdwa v5, v5, v11 dst_sel:DWORD dst_unused:UNUSED_PAD src0_sel:WORD_0 src1_sel:DWORD
	s_waitcnt vmcnt(2)
	v_mul_i32_i24_e32 v4, v6, v8
	v_cvt_f32_i32_e32 v3, v3
	s_waitcnt vmcnt(1)
	v_mul_i32_i24_e32 v5, v5, v9
	v_cvt_f32_i32_e32 v4, v4
	v_cvt_f32_i32_e32 v5, v5
	v_cvt_f16_f32_e32 v2, v2
	v_cvt_f16_f32_e32 v3, v3
	;; [unrolled: 1-line block ×4, first 2 shown]
	s_waitcnt vmcnt(0)
	v_mul_f16_e32 v2, v10, v2
	v_mul_f16_e32 v3, v10, v3
	v_cvt_f32_f16_e32 v6, v2
	v_mul_f16_e32 v4, v10, v4
	v_cvt_f32_f16_e32 v7, v3
	;; [unrolled: 2-line block ×3, first 2 shown]
	v_cvt_f32_f16_e32 v9, v5
	v_bfe_u32 v10, v6, 16, 1
	v_bfe_u32 v11, v7, 16, 1
	v_add3_u32 v6, v6, v10, s0
	v_bfe_u32 v13, v8, 16, 1
	v_add3_u32 v7, v7, v11, s0
	v_lshrrev_b32_e32 v6, 16, v6
	v_cmp_o_f16_e32 vcc, v2, v2
	v_bfe_u32 v14, v9, 16, 1
	v_add3_u32 v8, v8, v13, s0
	v_lshrrev_b32_e32 v7, 16, v7
	v_cndmask_b32_e32 v2, v12, v6, vcc
	v_cmp_o_f16_e32 vcc, v3, v3
	v_add3_u32 v9, v9, v14, s0
	v_lshrrev_b32_e32 v8, 16, v8
	v_cndmask_b32_e32 v3, v12, v7, vcc
	v_cmp_o_f16_e32 vcc, v4, v4
	v_lshrrev_b32_e32 v9, 16, v9
	v_cndmask_b32_e32 v4, v12, v8, vcc
	v_cmp_o_f16_e32 vcc, v5, v5
	v_cndmask_b32_e32 v5, v12, v9, vcc
	global_store_short v[0:1], v2, off
	global_store_short v[0:1], v3, off offset:64
	global_store_short v[0:1], v4, off offset:128
	;; [unrolled: 1-line block ×3, first 2 shown]
	s_endpgm
	.section	.rodata,"a",@progbits
	.p2align	6, 0x0
	.amdhsa_kernel _ZL21dequantize_block_q6_KIN3c108BFloat16EEvPKvPT_
		.amdhsa_group_segment_fixed_size 0
		.amdhsa_private_segment_fixed_size 0
		.amdhsa_kernarg_size 16
		.amdhsa_user_sgpr_count 6
		.amdhsa_user_sgpr_private_segment_buffer 1
		.amdhsa_user_sgpr_dispatch_ptr 0
		.amdhsa_user_sgpr_queue_ptr 0
		.amdhsa_user_sgpr_kernarg_segment_ptr 1
		.amdhsa_user_sgpr_dispatch_id 0
		.amdhsa_user_sgpr_flat_scratch_init 0
		.amdhsa_user_sgpr_kernarg_preload_length 0
		.amdhsa_user_sgpr_kernarg_preload_offset 0
		.amdhsa_user_sgpr_private_segment_size 0
		.amdhsa_uses_dynamic_stack 0
		.amdhsa_system_sgpr_private_segment_wavefront_offset 0
		.amdhsa_system_sgpr_workgroup_id_x 1
		.amdhsa_system_sgpr_workgroup_id_y 0
		.amdhsa_system_sgpr_workgroup_id_z 0
		.amdhsa_system_sgpr_workgroup_info 0
		.amdhsa_system_vgpr_workitem_id 0
		.amdhsa_next_free_vgpr 17
		.amdhsa_next_free_sgpr 7
		.amdhsa_accum_offset 20
		.amdhsa_reserve_vcc 1
		.amdhsa_reserve_flat_scratch 0
		.amdhsa_float_round_mode_32 0
		.amdhsa_float_round_mode_16_64 0
		.amdhsa_float_denorm_mode_32 3
		.amdhsa_float_denorm_mode_16_64 3
		.amdhsa_dx10_clamp 1
		.amdhsa_ieee_mode 1
		.amdhsa_fp16_overflow 0
		.amdhsa_tg_split 0
		.amdhsa_exception_fp_ieee_invalid_op 0
		.amdhsa_exception_fp_denorm_src 0
		.amdhsa_exception_fp_ieee_div_zero 0
		.amdhsa_exception_fp_ieee_overflow 0
		.amdhsa_exception_fp_ieee_underflow 0
		.amdhsa_exception_fp_ieee_inexact 0
		.amdhsa_exception_int_div_zero 0
	.end_amdhsa_kernel
	.section	.text._ZL21dequantize_block_q6_KIN3c108BFloat16EEvPKvPT_,"axG",@progbits,_ZL21dequantize_block_q6_KIN3c108BFloat16EEvPKvPT_,comdat
.Lfunc_end47:
	.size	_ZL21dequantize_block_q6_KIN3c108BFloat16EEvPKvPT_, .Lfunc_end47-_ZL21dequantize_block_q6_KIN3c108BFloat16EEvPKvPT_
                                        ; -- End function
	.section	.AMDGPU.csdata,"",@progbits
; Kernel info:
; codeLenInByte = 564
; NumSgprs: 11
; NumVgprs: 17
; NumAgprs: 0
; TotalNumVgprs: 17
; ScratchSize: 0
; MemoryBound: 0
; FloatMode: 240
; IeeeMode: 1
; LDSByteSize: 0 bytes/workgroup (compile time only)
; SGPRBlocks: 1
; VGPRBlocks: 2
; NumSGPRsForWavesPerEU: 11
; NumVGPRsForWavesPerEU: 17
; AccumOffset: 20
; Occupancy: 8
; WaveLimiterHint : 0
; COMPUTE_PGM_RSRC2:SCRATCH_EN: 0
; COMPUTE_PGM_RSRC2:USER_SGPR: 6
; COMPUTE_PGM_RSRC2:TRAP_HANDLER: 0
; COMPUTE_PGM_RSRC2:TGID_X_EN: 1
; COMPUTE_PGM_RSRC2:TGID_Y_EN: 0
; COMPUTE_PGM_RSRC2:TGID_Z_EN: 0
; COMPUTE_PGM_RSRC2:TIDIG_COMP_CNT: 0
; COMPUTE_PGM_RSRC3_GFX90A:ACCUM_OFFSET: 4
; COMPUTE_PGM_RSRC3_GFX90A:TG_SPLIT: 0
	.section	.text._ZL24dequantize_block_iq2_xxsIN3c108BFloat16EEvPKvPT_,"axG",@progbits,_ZL24dequantize_block_iq2_xxsIN3c108BFloat16EEvPKvPT_,comdat
	.globl	_ZL24dequantize_block_iq2_xxsIN3c108BFloat16EEvPKvPT_ ; -- Begin function _ZL24dequantize_block_iq2_xxsIN3c108BFloat16EEvPKvPT_
	.p2align	8
	.type	_ZL24dequantize_block_iq2_xxsIN3c108BFloat16EEvPKvPT_,@function
_ZL24dequantize_block_iq2_xxsIN3c108BFloat16EEvPKvPT_: ; @_ZL24dequantize_block_iq2_xxsIN3c108BFloat16EEvPKvPT_
; %bb.0:
	s_load_dwordx4 s[0:3], s[4:5], 0x0
	s_lshl_b32 s4, s6, 8
	s_mov_b32 s5, 0
	s_lshl_b64 s[4:5], s[4:5], 1
	v_and_b32_e32 v4, 7, v0
	s_waitcnt lgkmcnt(0)
	s_add_u32 s4, s2, s4
	s_addc_u32 s5, s3, s5
	s_mul_hi_u32 s2, s6, 0x42
	s_mulk_i32 s6, 0x42
	s_add_u32 s0, s0, s6
	s_addc_u32 s1, s1, s2
	v_lshlrev_b32_e32 v5, 3, v4
	v_mov_b32_e32 v2, s1
	v_add_co_u32_e32 v3, vcc, s0, v5
	v_lshrrev_b32_e32 v1, 3, v0
	v_addc_co_u32_e32 v6, vcc, 0, v2, vcc
	v_add_co_u32_e32 v2, vcc, v3, v1
	v_addc_co_u32_e32 v3, vcc, 0, v6, vcc
	global_load_ubyte v6, v[2:3], off offset:2
	global_load_dword v7, v5, s[0:1] offset:6
	v_mov_b32_e32 v2, 0
	global_load_ushort v8, v2, s[0:1]
	s_getpc_b64 s[0:1]
	s_add_u32 s0, s0, _ZL11iq2xxs_grid@rel32@lo+4
	s_addc_u32 s1, s1, _ZL11iq2xxs_grid@rel32@hi+12
	v_mul_u32_u24_e32 v1, 7, v1
	s_getpc_b64 s[2:3]
	s_add_u32 s2, s2, _ZL12ksigns_iq2xs@rel32@lo+4
	s_addc_u32 s3, s3, _ZL12ksigns_iq2xs@rel32@hi+12
	v_lshlrev_b32_e32 v4, 6, v4
	v_and_b32_e32 v0, 0x3f8, v0
	v_add_co_u32_e32 v4, vcc, s4, v4
	v_lshlrev_b32_e32 v0, 1, v0
	v_mov_b32_e32 v11, 0x7fc0
	s_waitcnt vmcnt(2)
	v_lshlrev_b32_e32 v5, 3, v6
	s_waitcnt vmcnt(1)
	v_bfe_u32 v1, v7, v1, 7
	global_load_dwordx2 v[2:3], v5, s[0:1]
	global_load_sbyte v10, v1, s[2:3]
	v_mov_b32_e32 v5, s5
	v_addc_co_u32_e32 v5, vcc, 0, v5, vcc
	v_add_co_u32_e32 v4, vcc, v4, v0
	s_waitcnt vmcnt(2)
	v_cvt_f32_f16_e32 v0, v8
	v_lshrrev_b32_e32 v6, 28, v7
	v_cvt_f32_ubyte0_e32 v6, v6
	v_add_f32_e32 v6, 0.5, v6
	v_mul_f32_e32 v0, v6, v0
	v_addc_co_u32_e32 v5, vcc, 0, v5, vcc
	v_mul_f32_e32 v0, 0x3e800000, v0
	s_movk_i32 s0, 0x7fff
	s_mov_b32 s1, 0x5040100
	s_waitcnt vmcnt(1)
	v_cvt_f32_ubyte0_e32 v12, v2
	s_waitcnt vmcnt(0)
	v_and_b32_e32 v13, 1, v10
	v_cvt_f32_ubyte1_e32 v14, v2
	v_and_b32_e32 v15, 2, v10
	v_cvt_f32_ubyte2_e32 v9, v3
	v_cvt_f32_ubyte1_e32 v8, v3
	v_mul_f32_e32 v12, v0, v12
	v_cmp_eq_u16_e32 vcc, 0, v13
	v_cvt_f32_ubyte2_e32 v16, v2
	v_and_b32_e32 v17, 4, v10
	v_cvt_f32_ubyte0_e32 v7, v3
	v_cvt_f32_ubyte3_e32 v6, v2
	v_cvt_f32_ubyte3_e32 v21, v3
	v_mul_f32_e32 v14, v0, v14
	v_pk_mul_f32 v[2:3], v[0:1], v[8:9] op_sel_hi:[0,1]
	v_cndmask_b32_e64 v8, -v12, v12, vcc
	v_cmp_eq_u16_e32 vcc, 0, v15
	v_and_b32_e32 v20, 32, v10
	v_mul_f32_e32 v16, v0, v16
	v_cndmask_b32_e64 v9, -v14, v14, vcc
	v_cmp_eq_u16_e32 vcc, 0, v17
	v_and_b32_e32 v19, 16, v10
	v_cndmask_b32_e64 v12, -v16, v16, vcc
	v_cmp_eq_u16_e32 vcc, 0, v20
	v_pk_mul_f32 v[6:7], v[0:1], v[6:7] op_sel_hi:[0,1]
	v_cndmask_b32_e64 v2, -v2, v2, vcc
	v_cmp_eq_u16_e32 vcc, 0, v19
	v_and_b32_e32 v18, 8, v10
	v_cndmask_b32_e64 v7, -v7, v7, vcc
	v_cmp_gt_u32_e32 vcc, 64, v1
	v_cndmask_b32_e64 v1, -v3, v3, vcc
	v_cmp_eq_u16_e32 vcc, 0, v18
	v_cndmask_b32_e64 v3, -v6, v6, vcc
	v_bfe_u32 v6, v8, 16, 1
	v_mul_f32_e32 v0, v0, v21
	v_cmp_gt_i16_e32 vcc, 0, v10
	v_bfe_u32 v10, v9, 16, 1
	v_add3_u32 v6, v8, v6, s0
	v_cndmask_b32_e64 v0, v0, -v0, vcc
	v_bfe_u32 v13, v12, 16, 1
	v_add3_u32 v10, v9, v10, s0
	v_lshrrev_b32_e32 v6, 16, v6
	v_cmp_o_f32_e32 vcc, v8, v8
	v_bfe_u32 v14, v3, 16, 1
	v_add3_u32 v13, v12, v13, s0
	v_lshrrev_b32_e32 v10, 16, v10
	v_cndmask_b32_e32 v6, v11, v6, vcc
	v_cmp_o_f32_e32 vcc, v9, v9
	v_bfe_u32 v15, v1, 16, 1
	v_add3_u32 v14, v3, v14, s0
	v_lshrrev_b32_e32 v13, 16, v13
	v_cndmask_b32_e32 v8, v11, v10, vcc
	;; [unrolled: 5-line block ×5, first 2 shown]
	v_cmp_o_f32_e32 vcc, v7, v7
	v_add3_u32 v18, v0, v18, s0
	v_lshrrev_b32_e32 v17, 16, v17
	v_cndmask_b32_e32 v3, v11, v16, vcc
	v_cmp_o_f32_e32 vcc, v2, v2
	v_lshrrev_b32_e32 v18, 16, v18
	v_cndmask_b32_e32 v2, v11, v17, vcc
	v_cmp_o_f32_e32 vcc, v0, v0
	v_cndmask_b32_e32 v7, v11, v18, vcc
	v_perm_b32 v2, v2, v3, s1
	v_perm_b32 v0, v8, v6, s1
	;; [unrolled: 1-line block ×4, first 2 shown]
	global_store_dwordx4 v[4:5], v[0:3], off
	s_endpgm
	.section	.rodata,"a",@progbits
	.p2align	6, 0x0
	.amdhsa_kernel _ZL24dequantize_block_iq2_xxsIN3c108BFloat16EEvPKvPT_
		.amdhsa_group_segment_fixed_size 0
		.amdhsa_private_segment_fixed_size 0
		.amdhsa_kernarg_size 16
		.amdhsa_user_sgpr_count 6
		.amdhsa_user_sgpr_private_segment_buffer 1
		.amdhsa_user_sgpr_dispatch_ptr 0
		.amdhsa_user_sgpr_queue_ptr 0
		.amdhsa_user_sgpr_kernarg_segment_ptr 1
		.amdhsa_user_sgpr_dispatch_id 0
		.amdhsa_user_sgpr_flat_scratch_init 0
		.amdhsa_user_sgpr_kernarg_preload_length 0
		.amdhsa_user_sgpr_kernarg_preload_offset 0
		.amdhsa_user_sgpr_private_segment_size 0
		.amdhsa_uses_dynamic_stack 0
		.amdhsa_system_sgpr_private_segment_wavefront_offset 0
		.amdhsa_system_sgpr_workgroup_id_x 1
		.amdhsa_system_sgpr_workgroup_id_y 0
		.amdhsa_system_sgpr_workgroup_id_z 0
		.amdhsa_system_sgpr_workgroup_info 0
		.amdhsa_system_vgpr_workitem_id 0
		.amdhsa_next_free_vgpr 22
		.amdhsa_next_free_sgpr 7
		.amdhsa_accum_offset 24
		.amdhsa_reserve_vcc 1
		.amdhsa_reserve_flat_scratch 0
		.amdhsa_float_round_mode_32 0
		.amdhsa_float_round_mode_16_64 0
		.amdhsa_float_denorm_mode_32 3
		.amdhsa_float_denorm_mode_16_64 3
		.amdhsa_dx10_clamp 1
		.amdhsa_ieee_mode 1
		.amdhsa_fp16_overflow 0
		.amdhsa_tg_split 0
		.amdhsa_exception_fp_ieee_invalid_op 0
		.amdhsa_exception_fp_denorm_src 0
		.amdhsa_exception_fp_ieee_div_zero 0
		.amdhsa_exception_fp_ieee_overflow 0
		.amdhsa_exception_fp_ieee_underflow 0
		.amdhsa_exception_fp_ieee_inexact 0
		.amdhsa_exception_int_div_zero 0
	.end_amdhsa_kernel
	.section	.text._ZL24dequantize_block_iq2_xxsIN3c108BFloat16EEvPKvPT_,"axG",@progbits,_ZL24dequantize_block_iq2_xxsIN3c108BFloat16EEvPKvPT_,comdat
.Lfunc_end48:
	.size	_ZL24dequantize_block_iq2_xxsIN3c108BFloat16EEvPKvPT_, .Lfunc_end48-_ZL24dequantize_block_iq2_xxsIN3c108BFloat16EEvPKvPT_
                                        ; -- End function
	.section	.AMDGPU.csdata,"",@progbits
; Kernel info:
; codeLenInByte = 740
; NumSgprs: 11
; NumVgprs: 22
; NumAgprs: 0
; TotalNumVgprs: 22
; ScratchSize: 0
; MemoryBound: 0
; FloatMode: 240
; IeeeMode: 1
; LDSByteSize: 0 bytes/workgroup (compile time only)
; SGPRBlocks: 1
; VGPRBlocks: 2
; NumSGPRsForWavesPerEU: 11
; NumVGPRsForWavesPerEU: 22
; AccumOffset: 24
; Occupancy: 8
; WaveLimiterHint : 0
; COMPUTE_PGM_RSRC2:SCRATCH_EN: 0
; COMPUTE_PGM_RSRC2:USER_SGPR: 6
; COMPUTE_PGM_RSRC2:TRAP_HANDLER: 0
; COMPUTE_PGM_RSRC2:TGID_X_EN: 1
; COMPUTE_PGM_RSRC2:TGID_Y_EN: 0
; COMPUTE_PGM_RSRC2:TGID_Z_EN: 0
; COMPUTE_PGM_RSRC2:TIDIG_COMP_CNT: 0
; COMPUTE_PGM_RSRC3_GFX90A:ACCUM_OFFSET: 5
; COMPUTE_PGM_RSRC3_GFX90A:TG_SPLIT: 0
	.section	.text._ZL23dequantize_block_iq2_xsIN3c108BFloat16EEvPKvPT_,"axG",@progbits,_ZL23dequantize_block_iq2_xsIN3c108BFloat16EEvPKvPT_,comdat
	.globl	_ZL23dequantize_block_iq2_xsIN3c108BFloat16EEvPKvPT_ ; -- Begin function _ZL23dequantize_block_iq2_xsIN3c108BFloat16EEvPKvPT_
	.p2align	8
	.type	_ZL23dequantize_block_iq2_xsIN3c108BFloat16EEvPKvPT_,@function
_ZL23dequantize_block_iq2_xsIN3c108BFloat16EEvPKvPT_: ; @_ZL23dequantize_block_iq2_xsIN3c108BFloat16EEvPKvPT_
; %bb.0:
	s_load_dwordx4 s[0:3], s[4:5], 0x0
	s_lshl_b32 s4, s6, 8
	s_mov_b32 s5, 0
	s_lshl_b64 s[4:5], s[4:5], 1
	v_and_b32_e32 v1, 7, v0
	s_waitcnt lgkmcnt(0)
	s_add_u32 s7, s2, s4
	s_addc_u32 s8, s3, s5
	s_mul_hi_u32 s2, s6, 0x4a
	s_mulk_i32 s6, 0x4a
	s_add_u32 s0, s0, s6
	s_addc_u32 s1, s1, s2
	v_lshlrev_b32_e32 v2, 3, v1
	v_mov_b32_e32 v3, s1
	v_add_co_u32_e32 v2, vcc, s0, v2
	v_lshrrev_b32_e32 v6, 2, v0
	v_addc_co_u32_e32 v3, vcc, 0, v3, vcc
	v_and_b32_e32 v4, 0xfe, v6
	v_add_co_u32_e32 v2, vcc, v2, v4
	v_addc_co_u32_e32 v3, vcc, 0, v3, vcc
	global_load_ushort v8, v[2:3], off offset:2
	v_mov_b32_e32 v2, 0
	global_load_ushort v9, v2, s[0:1]
	global_load_ubyte v10, v1, s[0:1] offset:66
	s_getpc_b64 s[2:3]
	s_add_u32 s2, s2, _ZL10iq2xs_grid@rel32@lo+4
	s_addc_u32 s3, s3, _ZL10iq2xs_grid@rel32@hi+12
	v_mov_b32_e32 v3, 3
	s_getpc_b64 s[4:5]
	s_add_u32 s4, s4, _ZL12ksigns_iq2xs@rel32@lo+4
	s_addc_u32 s5, s5, _ZL12ksigns_iq2xs@rel32@hi+12
	v_mov_b32_e32 v4, s5
	v_lshlrev_b32_e32 v1, 6, v1
	v_and_b32_e32 v0, 0x3f8, v0
	v_lshlrev_b32_e32 v0, 1, v0
	s_movk_i32 s0, 0x7fff
	v_mov_b32_e32 v12, 0x7fc0
	s_mov_b32 s1, 0x5040100
	s_waitcnt vmcnt(2)
	v_and_b32_e32 v2, 0x1ff, v8
	v_lshrrev_b16_e32 v5, 9, v8
	v_lshlrev_b32_sdwa v7, v3, v2 dst_sel:DWORD dst_unused:UNUSED_PAD src0_sel:DWORD src1_sel:WORD_0
	v_add_co_u32_e32 v2, vcc, s4, v5
	v_addc_co_u32_e32 v3, vcc, 0, v4, vcc
	global_load_dwordx2 v[4:5], v7, s[2:3]
	global_load_sbyte v11, v[2:3], off
	v_mov_b32_e32 v3, s8
	v_add_co_u32_e32 v1, vcc, s7, v1
	v_addc_co_u32_e32 v3, vcc, 0, v3, vcc
	v_and_b32_e32 v2, 0xfc, v6
	v_add_co_u32_e32 v6, vcc, v1, v0
	s_waitcnt vmcnt(3)
	v_cvt_f32_f16_e32 v0, v9
	s_waitcnt vmcnt(2)
	v_bfe_u32 v1, v10, v2, 4
	v_cvt_f32_ubyte0_e32 v1, v1
	v_add_f32_e32 v1, 0.5, v1
	v_mul_f32_e32 v0, v1, v0
	v_addc_co_u32_e32 v7, vcc, 0, v3, vcc
	v_mul_f32_e32 v0, 0x3e800000, v0
	s_waitcnt vmcnt(1)
	v_cvt_f32_ubyte0_e32 v1, v4
	s_waitcnt vmcnt(0)
	v_and_b32_e32 v9, 1, v11
	v_cvt_f32_ubyte1_e32 v10, v4
	v_and_b32_e32 v13, 2, v11
	v_cvt_f32_ubyte0_e32 v3, v5
	v_cvt_f32_ubyte3_e32 v2, v4
	v_mul_f32_e32 v1, v0, v1
	v_cmp_eq_u16_e32 vcc, 0, v9
	v_cvt_f32_ubyte2_e32 v14, v4
	v_and_b32_e32 v15, 4, v11
	v_cvt_f32_ubyte1_e32 v4, v5
	v_cvt_f32_ubyte2_e32 v19, v5
	v_cvt_f32_ubyte3_e32 v5, v5
	v_mul_f32_e32 v10, v0, v10
	v_pk_mul_f32 v[2:3], v[0:1], v[2:3] op_sel_hi:[0,1]
	v_cndmask_b32_e64 v1, -v1, v1, vcc
	v_cmp_eq_u16_e32 vcc, 0, v13
	v_and_b32_e32 v17, 16, v11
	v_mul_f32_e32 v14, v0, v14
	v_mul_f32_e32 v4, v0, v4
	;; [unrolled: 1-line block ×4, first 2 shown]
	v_cndmask_b32_e64 v5, -v10, v10, vcc
	v_cmp_eq_u16_e32 vcc, 0, v15
	v_and_b32_e32 v16, 8, v11
	v_cndmask_b32_e64 v9, -v14, v14, vcc
	v_cmp_eq_u16_e32 vcc, 0, v17
	v_cndmask_b32_e64 v3, -v3, v3, vcc
	v_cmp_eq_u16_e32 vcc, 0, v16
	v_and_b32_e32 v18, 32, v11
	v_cndmask_b32_e64 v2, -v2, v2, vcc
	v_cmp_gt_i16_e32 vcc, 0, v8
	v_cndmask_b32_e64 v8, v19, -v19, vcc
	v_cmp_eq_u16_e32 vcc, 0, v18
	v_bfe_u32 v10, v1, 16, 1
	v_cndmask_b32_e64 v4, -v4, v4, vcc
	v_cmp_gt_i16_e32 vcc, 0, v11
	v_bfe_u32 v11, v5, 16, 1
	v_add3_u32 v10, v1, v10, s0
	v_cndmask_b32_e64 v0, v0, -v0, vcc
	v_bfe_u32 v13, v9, 16, 1
	v_add3_u32 v11, v5, v11, s0
	v_lshrrev_b32_e32 v10, 16, v10
	v_cmp_o_f32_e32 vcc, v1, v1
	v_bfe_u32 v14, v2, 16, 1
	v_add3_u32 v13, v9, v13, s0
	v_lshrrev_b32_e32 v11, 16, v11
	v_cndmask_b32_e32 v1, v12, v10, vcc
	v_cmp_o_f32_e32 vcc, v5, v5
	v_bfe_u32 v15, v3, 16, 1
	v_add3_u32 v14, v2, v14, s0
	v_lshrrev_b32_e32 v13, 16, v13
	v_cndmask_b32_e32 v5, v12, v11, vcc
	;; [unrolled: 5-line block ×5, first 2 shown]
	v_cmp_o_f32_e32 vcc, v4, v4
	v_add3_u32 v18, v0, v18, s0
	v_lshrrev_b32_e32 v17, 16, v17
	v_cndmask_b32_e32 v4, v12, v16, vcc
	v_cmp_o_f32_e32 vcc, v8, v8
	v_lshrrev_b32_e32 v18, 16, v18
	v_cndmask_b32_e32 v3, v12, v17, vcc
	v_cmp_o_f32_e32 vcc, v0, v0
	v_cndmask_b32_e32 v0, v12, v18, vcc
	v_perm_b32 v3, v0, v3, s1
	v_perm_b32 v0, v5, v1, s1
	;; [unrolled: 1-line block ×4, first 2 shown]
	global_store_dwordx4 v[6:7], v[0:3], off
	s_endpgm
	.section	.rodata,"a",@progbits
	.p2align	6, 0x0
	.amdhsa_kernel _ZL23dequantize_block_iq2_xsIN3c108BFloat16EEvPKvPT_
		.amdhsa_group_segment_fixed_size 0
		.amdhsa_private_segment_fixed_size 0
		.amdhsa_kernarg_size 16
		.amdhsa_user_sgpr_count 6
		.amdhsa_user_sgpr_private_segment_buffer 1
		.amdhsa_user_sgpr_dispatch_ptr 0
		.amdhsa_user_sgpr_queue_ptr 0
		.amdhsa_user_sgpr_kernarg_segment_ptr 1
		.amdhsa_user_sgpr_dispatch_id 0
		.amdhsa_user_sgpr_flat_scratch_init 0
		.amdhsa_user_sgpr_kernarg_preload_length 0
		.amdhsa_user_sgpr_kernarg_preload_offset 0
		.amdhsa_user_sgpr_private_segment_size 0
		.amdhsa_uses_dynamic_stack 0
		.amdhsa_system_sgpr_private_segment_wavefront_offset 0
		.amdhsa_system_sgpr_workgroup_id_x 1
		.amdhsa_system_sgpr_workgroup_id_y 0
		.amdhsa_system_sgpr_workgroup_id_z 0
		.amdhsa_system_sgpr_workgroup_info 0
		.amdhsa_system_vgpr_workitem_id 0
		.amdhsa_next_free_vgpr 20
		.amdhsa_next_free_sgpr 9
		.amdhsa_accum_offset 20
		.amdhsa_reserve_vcc 1
		.amdhsa_reserve_flat_scratch 0
		.amdhsa_float_round_mode_32 0
		.amdhsa_float_round_mode_16_64 0
		.amdhsa_float_denorm_mode_32 3
		.amdhsa_float_denorm_mode_16_64 3
		.amdhsa_dx10_clamp 1
		.amdhsa_ieee_mode 1
		.amdhsa_fp16_overflow 0
		.amdhsa_tg_split 0
		.amdhsa_exception_fp_ieee_invalid_op 0
		.amdhsa_exception_fp_denorm_src 0
		.amdhsa_exception_fp_ieee_div_zero 0
		.amdhsa_exception_fp_ieee_overflow 0
		.amdhsa_exception_fp_ieee_underflow 0
		.amdhsa_exception_fp_ieee_inexact 0
		.amdhsa_exception_int_div_zero 0
	.end_amdhsa_kernel
	.section	.text._ZL23dequantize_block_iq2_xsIN3c108BFloat16EEvPKvPT_,"axG",@progbits,_ZL23dequantize_block_iq2_xsIN3c108BFloat16EEvPKvPT_,comdat
.Lfunc_end49:
	.size	_ZL23dequantize_block_iq2_xsIN3c108BFloat16EEvPKvPT_, .Lfunc_end49-_ZL23dequantize_block_iq2_xsIN3c108BFloat16EEvPKvPT_
                                        ; -- End function
	.section	.AMDGPU.csdata,"",@progbits
; Kernel info:
; codeLenInByte = 780
; NumSgprs: 13
; NumVgprs: 20
; NumAgprs: 0
; TotalNumVgprs: 20
; ScratchSize: 0
; MemoryBound: 0
; FloatMode: 240
; IeeeMode: 1
; LDSByteSize: 0 bytes/workgroup (compile time only)
; SGPRBlocks: 1
; VGPRBlocks: 2
; NumSGPRsForWavesPerEU: 13
; NumVGPRsForWavesPerEU: 20
; AccumOffset: 20
; Occupancy: 8
; WaveLimiterHint : 0
; COMPUTE_PGM_RSRC2:SCRATCH_EN: 0
; COMPUTE_PGM_RSRC2:USER_SGPR: 6
; COMPUTE_PGM_RSRC2:TRAP_HANDLER: 0
; COMPUTE_PGM_RSRC2:TGID_X_EN: 1
; COMPUTE_PGM_RSRC2:TGID_Y_EN: 0
; COMPUTE_PGM_RSRC2:TGID_Z_EN: 0
; COMPUTE_PGM_RSRC2:TIDIG_COMP_CNT: 0
; COMPUTE_PGM_RSRC3_GFX90A:ACCUM_OFFSET: 4
; COMPUTE_PGM_RSRC3_GFX90A:TG_SPLIT: 0
	.section	.text._ZL24dequantize_block_iq3_xxsIN3c108BFloat16EEvPKvPT_,"axG",@progbits,_ZL24dequantize_block_iq3_xxsIN3c108BFloat16EEvPKvPT_,comdat
	.globl	_ZL24dequantize_block_iq3_xxsIN3c108BFloat16EEvPKvPT_ ; -- Begin function _ZL24dequantize_block_iq3_xxsIN3c108BFloat16EEvPKvPT_
	.p2align	8
	.type	_ZL24dequantize_block_iq3_xxsIN3c108BFloat16EEvPKvPT_,@function
_ZL24dequantize_block_iq3_xxsIN3c108BFloat16EEvPKvPT_: ; @_ZL24dequantize_block_iq3_xxsIN3c108BFloat16EEvPKvPT_
; %bb.0:
	s_load_dwordx4 s[0:3], s[4:5], 0x0
	s_lshl_b32 s4, s6, 8
	s_mov_b32 s5, 0
	s_lshl_b64 s[4:5], s[4:5], 1
	v_and_b32_e32 v4, 7, v0
	s_waitcnt lgkmcnt(0)
	s_add_u32 s4, s2, s4
	s_addc_u32 s5, s3, s5
	s_mul_hi_u32 s2, s6, 0x62
	s_mulk_i32 s6, 0x62
	s_add_u32 s0, s0, s6
	s_addc_u32 s1, s1, s2
	v_lshlrev_b32_e32 v2, 3, v4
	v_lshrrev_b32_e32 v1, 3, v0
	v_mov_b32_e32 v3, s1
	v_add_co_u32_e32 v2, vcc, s0, v2
	v_addc_co_u32_e32 v3, vcc, 0, v3, vcc
	v_lshlrev_b32_e32 v6, 1, v1
	v_add_co_u32_e32 v2, vcc, v2, v6
	v_addc_co_u32_e32 v3, vcc, 0, v3, vcc
	v_lshlrev_b32_e32 v5, 2, v4
	global_load_ushort v6, v[2:3], off offset:2
	global_load_dword v7, v5, s[0:1] offset:66
	v_mov_b32_e32 v2, 0
	global_load_ushort v2, v2, s[0:1]
	v_mov_b32_e32 v3, 2
	s_getpc_b64 s[0:1]
	s_add_u32 s0, s0, _ZL11iq3xxs_grid@rel32@lo+4
	s_addc_u32 s1, s1, _ZL11iq3xxs_grid@rel32@hi+12
	v_mul_u32_u24_e32 v1, 7, v1
	s_getpc_b64 s[2:3]
	s_add_u32 s2, s2, _ZL12ksigns_iq2xs@rel32@lo+4
	s_addc_u32 s3, s3, _ZL12ksigns_iq2xs@rel32@hi+12
	v_and_b32_e32 v0, 0x3f8, v0
	v_lshlrev_b32_e32 v0, 1, v0
	v_mov_b32_e32 v11, 0x7fc0
	s_waitcnt vmcnt(2)
	v_lshlrev_b32_sdwa v5, v3, v6 dst_sel:DWORD dst_unused:UNUSED_PAD src0_sel:DWORD src1_sel:BYTE_0
	s_waitcnt vmcnt(1)
	v_bfe_u32 v1, v7, v1, 7
	global_load_dword v8, v5, s[0:1]
	global_load_sbyte v9, v1, s[2:3]
	v_lshlrev_b32_sdwa v3, v3, v6 dst_sel:DWORD dst_unused:UNUSED_PAD src0_sel:DWORD src1_sel:BYTE_1
	global_load_dword v10, v3, s[0:1]
	v_lshlrev_b32_e32 v3, 6, v4
	v_mov_b32_e32 v4, s5
	v_add_co_u32_e32 v3, vcc, s4, v3
	v_addc_co_u32_e32 v5, vcc, 0, v4, vcc
	v_add_co_u32_e32 v4, vcc, v3, v0
	s_waitcnt vmcnt(3)
	v_cvt_f32_f16_e32 v0, v2
	v_lshrrev_b32_e32 v2, 28, v7
	v_cvt_f32_ubyte0_e32 v2, v2
	v_add_f32_e32 v2, 0.5, v2
	v_mul_f32_e32 v0, v2, v0
	v_addc_co_u32_e32 v5, vcc, 0, v5, vcc
	v_mul_f32_e32 v0, 0.5, v0
	s_movk_i32 s0, 0x7fff
	s_mov_b32 s1, 0x5040100
	s_waitcnt vmcnt(2)
	v_cvt_f32_ubyte0_e32 v12, v8
	s_waitcnt vmcnt(1)
	v_and_b32_e32 v13, 1, v9
	v_cvt_f32_ubyte1_e32 v15, v8
	v_and_b32_e32 v16, 2, v9
	v_cvt_f32_ubyte2_e32 v18, v8
	s_waitcnt vmcnt(0)
	v_cvt_f32_ubyte0_e32 v3, v10
	v_cvt_f32_ubyte3_e32 v2, v8
	v_cvt_f32_ubyte2_e32 v7, v10
	v_cvt_f32_ubyte1_e32 v6, v10
	v_cvt_f32_ubyte3_e32 v8, v10
	v_mul_f32_e32 v10, v0, v12
	v_cmp_eq_u16_e32 vcc, 0, v13
	v_and_b32_e32 v19, 4, v9
	v_mul_f32_e32 v12, v0, v15
	v_mul_f32_e32 v15, v0, v18
	v_pk_mul_f32 v[6:7], v[0:1], v[6:7] op_sel_hi:[0,1]
	v_pk_mul_f32 v[2:3], v[0:1], v[2:3] op_sel_hi:[0,1]
	v_mul_f32_e32 v0, v0, v8
	v_cndmask_b32_e64 v8, -v10, v10, vcc
	v_cmp_eq_u16_e32 vcc, 0, v16
	v_and_b32_e32 v14, 16, v9
	v_cndmask_b32_e64 v10, -v12, v12, vcc
	v_cmp_eq_u16_e32 vcc, 0, v19
	v_and_b32_e32 v17, 32, v9
	v_cndmask_b32_e64 v12, -v15, v15, vcc
	v_cmp_eq_u16_e32 vcc, 0, v14
	v_cndmask_b32_e64 v3, -v3, v3, vcc
	v_cmp_eq_u16_e32 vcc, 0, v17
	v_and_b32_e32 v20, 8, v9
	v_cndmask_b32_e64 v6, -v6, v6, vcc
	v_cmp_gt_u32_e32 vcc, 64, v1
	v_cndmask_b32_e64 v1, -v7, v7, vcc
	v_cmp_eq_u16_e32 vcc, 0, v20
	v_bfe_u32 v7, v8, 16, 1
	v_cndmask_b32_e64 v2, -v2, v2, vcc
	v_cmp_gt_i16_e32 vcc, 0, v9
	v_bfe_u32 v9, v10, 16, 1
	v_add3_u32 v7, v8, v7, s0
	v_cndmask_b32_e64 v0, v0, -v0, vcc
	v_bfe_u32 v13, v12, 16, 1
	v_add3_u32 v9, v10, v9, s0
	v_lshrrev_b32_e32 v7, 16, v7
	v_cmp_o_f32_e32 vcc, v8, v8
	v_bfe_u32 v14, v2, 16, 1
	v_add3_u32 v13, v12, v13, s0
	v_lshrrev_b32_e32 v9, 16, v9
	v_cndmask_b32_e32 v7, v11, v7, vcc
	v_cmp_o_f32_e32 vcc, v10, v10
	v_bfe_u32 v15, v1, 16, 1
	v_add3_u32 v14, v2, v14, s0
	v_lshrrev_b32_e32 v13, 16, v13
	v_cndmask_b32_e32 v8, v11, v9, vcc
	;; [unrolled: 5-line block ×5, first 2 shown]
	v_cmp_o_f32_e32 vcc, v6, v6
	v_add3_u32 v18, v0, v18, s0
	v_lshrrev_b32_e32 v17, 16, v17
	v_cndmask_b32_e32 v2, v11, v16, vcc
	v_cmp_o_f32_e32 vcc, v3, v3
	v_lshrrev_b32_e32 v18, 16, v18
	v_cndmask_b32_e32 v3, v11, v17, vcc
	v_cmp_o_f32_e32 vcc, v0, v0
	v_cndmask_b32_e32 v6, v11, v18, vcc
	v_perm_b32 v2, v2, v3, s1
	v_perm_b32 v0, v8, v7, s1
	;; [unrolled: 1-line block ×4, first 2 shown]
	global_store_dwordx4 v[4:5], v[0:3], off
	s_endpgm
	.section	.rodata,"a",@progbits
	.p2align	6, 0x0
	.amdhsa_kernel _ZL24dequantize_block_iq3_xxsIN3c108BFloat16EEvPKvPT_
		.amdhsa_group_segment_fixed_size 0
		.amdhsa_private_segment_fixed_size 0
		.amdhsa_kernarg_size 16
		.amdhsa_user_sgpr_count 6
		.amdhsa_user_sgpr_private_segment_buffer 1
		.amdhsa_user_sgpr_dispatch_ptr 0
		.amdhsa_user_sgpr_queue_ptr 0
		.amdhsa_user_sgpr_kernarg_segment_ptr 1
		.amdhsa_user_sgpr_dispatch_id 0
		.amdhsa_user_sgpr_flat_scratch_init 0
		.amdhsa_user_sgpr_kernarg_preload_length 0
		.amdhsa_user_sgpr_kernarg_preload_offset 0
		.amdhsa_user_sgpr_private_segment_size 0
		.amdhsa_uses_dynamic_stack 0
		.amdhsa_system_sgpr_private_segment_wavefront_offset 0
		.amdhsa_system_sgpr_workgroup_id_x 1
		.amdhsa_system_sgpr_workgroup_id_y 0
		.amdhsa_system_sgpr_workgroup_id_z 0
		.amdhsa_system_sgpr_workgroup_info 0
		.amdhsa_system_vgpr_workitem_id 0
		.amdhsa_next_free_vgpr 21
		.amdhsa_next_free_sgpr 7
		.amdhsa_accum_offset 24
		.amdhsa_reserve_vcc 1
		.amdhsa_reserve_flat_scratch 0
		.amdhsa_float_round_mode_32 0
		.amdhsa_float_round_mode_16_64 0
		.amdhsa_float_denorm_mode_32 3
		.amdhsa_float_denorm_mode_16_64 3
		.amdhsa_dx10_clamp 1
		.amdhsa_ieee_mode 1
		.amdhsa_fp16_overflow 0
		.amdhsa_tg_split 0
		.amdhsa_exception_fp_ieee_invalid_op 0
		.amdhsa_exception_fp_denorm_src 0
		.amdhsa_exception_fp_ieee_div_zero 0
		.amdhsa_exception_fp_ieee_overflow 0
		.amdhsa_exception_fp_ieee_underflow 0
		.amdhsa_exception_fp_ieee_inexact 0
		.amdhsa_exception_int_div_zero 0
	.end_amdhsa_kernel
	.section	.text._ZL24dequantize_block_iq3_xxsIN3c108BFloat16EEvPKvPT_,"axG",@progbits,_ZL24dequantize_block_iq3_xxsIN3c108BFloat16EEvPKvPT_,comdat
.Lfunc_end50:
	.size	_ZL24dequantize_block_iq3_xxsIN3c108BFloat16EEvPKvPT_, .Lfunc_end50-_ZL24dequantize_block_iq3_xxsIN3c108BFloat16EEvPKvPT_
                                        ; -- End function
	.section	.AMDGPU.csdata,"",@progbits
; Kernel info:
; codeLenInByte = 772
; NumSgprs: 11
; NumVgprs: 21
; NumAgprs: 0
; TotalNumVgprs: 21
; ScratchSize: 0
; MemoryBound: 0
; FloatMode: 240
; IeeeMode: 1
; LDSByteSize: 0 bytes/workgroup (compile time only)
; SGPRBlocks: 1
; VGPRBlocks: 2
; NumSGPRsForWavesPerEU: 11
; NumVGPRsForWavesPerEU: 21
; AccumOffset: 24
; Occupancy: 8
; WaveLimiterHint : 0
; COMPUTE_PGM_RSRC2:SCRATCH_EN: 0
; COMPUTE_PGM_RSRC2:USER_SGPR: 6
; COMPUTE_PGM_RSRC2:TRAP_HANDLER: 0
; COMPUTE_PGM_RSRC2:TGID_X_EN: 1
; COMPUTE_PGM_RSRC2:TGID_Y_EN: 0
; COMPUTE_PGM_RSRC2:TGID_Z_EN: 0
; COMPUTE_PGM_RSRC2:TIDIG_COMP_CNT: 0
; COMPUTE_PGM_RSRC3_GFX90A:ACCUM_OFFSET: 5
; COMPUTE_PGM_RSRC3_GFX90A:TG_SPLIT: 0
	.section	.text._ZL22dequantize_block_iq1_sIN3c108BFloat16EEvPKvPT_,"axG",@progbits,_ZL22dequantize_block_iq1_sIN3c108BFloat16EEvPKvPT_,comdat
	.globl	_ZL22dequantize_block_iq1_sIN3c108BFloat16EEvPKvPT_ ; -- Begin function _ZL22dequantize_block_iq1_sIN3c108BFloat16EEvPKvPT_
	.p2align	8
	.type	_ZL22dequantize_block_iq1_sIN3c108BFloat16EEvPKvPT_,@function
_ZL22dequantize_block_iq1_sIN3c108BFloat16EEvPKvPT_: ; @_ZL22dequantize_block_iq1_sIN3c108BFloat16EEvPKvPT_
; %bb.0:
	s_load_dwordx4 s[0:3], s[4:5], 0x0
	s_mov_b32 s7, 0
	s_lshl_b64 s[4:5], s[6:7], 9
	v_and_b32_e32 v4, 7, v0
	v_lshlrev_b32_e32 v2, 1, v4
	s_waitcnt lgkmcnt(0)
	s_add_u32 s4, s2, s4
	s_addc_u32 s5, s3, s5
	s_mul_i32 s3, s6, 50
	s_mul_hi_u32 s2, s6, 50
	s_add_u32 s0, s0, s3
	s_addc_u32 s1, s1, s2
	v_lshrrev_b32_e32 v1, 3, v0
	global_load_ushort v6, v2, s[0:1] offset:34
	v_lshlrev_b32_e32 v2, 2, v4
	v_add_co_u32_e32 v2, vcc, v2, v1
	v_addc_co_u32_e64 v3, s[2:3], 0, 0, vcc
	v_mov_b32_e32 v5, s1
	v_add_co_u32_e32 v2, vcc, s0, v2
	v_addc_co_u32_e32 v3, vcc, v5, v3, vcc
	global_load_ubyte v2, v[2:3], off offset:2
	v_mul_u32_u24_e32 v1, 3, v1
	v_mov_b32_e32 v3, 0
	s_movk_i32 s6, 0x700
	global_load_ushort v3, v3, s[0:1]
	s_getpc_b64 s[2:3]
	s_add_u32 s2, s2, _ZL13iq1s_grid_gpu@rel32@lo+4
	s_addc_u32 s3, s3, _ZL13iq1s_grid_gpu@rel32@hi+12
	v_lshlrev_b32_e32 v4, 6, v4
	v_and_b32_e32 v0, 0x3f8, v0
	v_mov_b32_e32 v5, s5
	v_add_co_u32_e32 v4, vcc, s4, v4
	v_lshlrev_b32_e32 v0, 1, v0
	v_addc_co_u32_e32 v5, vcc, 0, v5, vcc
	v_add_co_u32_e32 v4, vcc, v4, v0
	v_addc_co_u32_e32 v5, vcc, 0, v5, vcc
	v_mov_b32_e32 v7, 0xbf600000
	s_movk_i32 s0, 0x7fff
	v_mov_b32_e32 v14, 0x7fc0
	s_mov_b32 s1, 0x5040100
	s_waitcnt vmcnt(2)
	v_lshrrev_b32_sdwa v1, v1, v6 dst_sel:DWORD dst_unused:UNUSED_PAD src0_sel:DWORD src1_sel:WORD_0
	v_lshlrev_b32_e32 v1, 8, v1
	v_cmp_lt_i16_e32 vcc, -1, v6
	s_waitcnt vmcnt(1)
	v_and_or_b32 v1, v1, s6, v2
	v_lshlrev_b32_e32 v1, 3, v1
	global_load_dword v1, v1, s[2:3]
	v_mov_b32_e32 v2, 0xbf900000
	v_cndmask_b32_e32 v0, v2, v7, vcc
	v_lshrrev_b16_e32 v2, 11, v6
	s_waitcnt vmcnt(1)
	v_cvt_f32_f16_e32 v3, v3
	v_and_b32_e32 v2, 14, v2
	v_or_b32_e32 v2, 1, v2
	v_cvt_f32_ubyte0_e32 v2, v2
	v_mul_f32_e32 v2, v3, v2
	s_waitcnt vmcnt(0)
	v_bfe_u32 v6, v1, 8, 4
	v_and_b32_e32 v8, 15, v1
	v_and_b32_e32 v3, 0xf0f0f0f, v1
	v_bfe_u32 v10, v1, 16, 4
	v_lshrrev_b32_e32 v12, 28, v1
	v_bfe_u32 v11, v1, 12, 4
	v_bfe_u32 v13, v1, 4, 4
	;; [unrolled: 1-line block ×3, first 2 shown]
	v_cvt_f32_ubyte0_e32 v7, v6
	v_cvt_f32_ubyte0_e32 v6, v8
	v_pk_add_f32 v[6:7], v[0:1], v[6:7] op_sel_hi:[0,1]
	v_cvt_f32_ubyte3_e32 v9, v3
	v_cvt_f32_ubyte0_e32 v8, v10
	v_cvt_f32_ubyte0_e32 v11, v11
	;; [unrolled: 1-line block ×5, first 2 shown]
	v_pk_mul_f32 v[6:7], v[2:3], v[6:7] op_sel_hi:[0,1]
	v_pk_add_f32 v[8:9], v[0:1], v[8:9] op_sel_hi:[0,1]
	v_pk_add_f32 v[12:13], v[0:1], v[12:13] op_sel_hi:[0,1]
	;; [unrolled: 1-line block ×3, first 2 shown]
	v_bfe_u32 v10, v6, 16, 1
	v_pk_mul_f32 v[8:9], v[2:3], v[8:9] op_sel_hi:[0,1]
	v_bfe_u32 v11, v7, 16, 1
	v_add3_u32 v10, v6, v10, s0
	v_pk_mul_f32 v[0:1], v[2:3], v[0:1] op_sel_hi:[0,1]
	v_pk_mul_f32 v[2:3], v[2:3], v[12:13] op_sel_hi:[0,1]
	v_bfe_u32 v12, v8, 16, 1
	v_add3_u32 v11, v7, v11, s0
	v_lshrrev_b32_e32 v10, 16, v10
	v_cmp_o_f32_e32 vcc, v6, v6
	v_bfe_u32 v13, v9, 16, 1
	v_add3_u32 v12, v8, v12, s0
	v_lshrrev_b32_e32 v11, 16, v11
	v_cndmask_b32_e32 v6, v14, v10, vcc
	v_cmp_o_f32_e32 vcc, v7, v7
	v_bfe_u32 v15, v0, 16, 1
	v_add3_u32 v13, v9, v13, s0
	v_lshrrev_b32_e32 v12, 16, v12
	v_cndmask_b32_e32 v7, v14, v11, vcc
	;; [unrolled: 5-line block ×5, first 2 shown]
	v_cmp_o_f32_e32 vcc, v1, v1
	v_add3_u32 v18, v3, v18, s0
	v_lshrrev_b32_e32 v17, 16, v17
	v_cndmask_b32_e32 v1, v14, v16, vcc
	v_cmp_o_f32_e32 vcc, v2, v2
	v_lshrrev_b32_e32 v18, 16, v18
	v_cndmask_b32_e32 v2, v14, v17, vcc
	v_cmp_o_f32_e32 vcc, v3, v3
	v_cndmask_b32_e32 v3, v14, v18, vcc
	v_perm_b32 v3, v3, v2, s1
	v_perm_b32 v2, v1, v0, s1
	;; [unrolled: 1-line block ×4, first 2 shown]
	global_store_dwordx4 v[4:5], v[0:3], off
	s_endpgm
	.section	.rodata,"a",@progbits
	.p2align	6, 0x0
	.amdhsa_kernel _ZL22dequantize_block_iq1_sIN3c108BFloat16EEvPKvPT_
		.amdhsa_group_segment_fixed_size 0
		.amdhsa_private_segment_fixed_size 0
		.amdhsa_kernarg_size 16
		.amdhsa_user_sgpr_count 6
		.amdhsa_user_sgpr_private_segment_buffer 1
		.amdhsa_user_sgpr_dispatch_ptr 0
		.amdhsa_user_sgpr_queue_ptr 0
		.amdhsa_user_sgpr_kernarg_segment_ptr 1
		.amdhsa_user_sgpr_dispatch_id 0
		.amdhsa_user_sgpr_flat_scratch_init 0
		.amdhsa_user_sgpr_kernarg_preload_length 0
		.amdhsa_user_sgpr_kernarg_preload_offset 0
		.amdhsa_user_sgpr_private_segment_size 0
		.amdhsa_uses_dynamic_stack 0
		.amdhsa_system_sgpr_private_segment_wavefront_offset 0
		.amdhsa_system_sgpr_workgroup_id_x 1
		.amdhsa_system_sgpr_workgroup_id_y 0
		.amdhsa_system_sgpr_workgroup_id_z 0
		.amdhsa_system_sgpr_workgroup_info 0
		.amdhsa_system_vgpr_workitem_id 0
		.amdhsa_next_free_vgpr 19
		.amdhsa_next_free_sgpr 8
		.amdhsa_accum_offset 20
		.amdhsa_reserve_vcc 1
		.amdhsa_reserve_flat_scratch 0
		.amdhsa_float_round_mode_32 0
		.amdhsa_float_round_mode_16_64 0
		.amdhsa_float_denorm_mode_32 3
		.amdhsa_float_denorm_mode_16_64 3
		.amdhsa_dx10_clamp 1
		.amdhsa_ieee_mode 1
		.amdhsa_fp16_overflow 0
		.amdhsa_tg_split 0
		.amdhsa_exception_fp_ieee_invalid_op 0
		.amdhsa_exception_fp_denorm_src 0
		.amdhsa_exception_fp_ieee_div_zero 0
		.amdhsa_exception_fp_ieee_overflow 0
		.amdhsa_exception_fp_ieee_underflow 0
		.amdhsa_exception_fp_ieee_inexact 0
		.amdhsa_exception_int_div_zero 0
	.end_amdhsa_kernel
	.section	.text._ZL22dequantize_block_iq1_sIN3c108BFloat16EEvPKvPT_,"axG",@progbits,_ZL22dequantize_block_iq1_sIN3c108BFloat16EEvPKvPT_,comdat
.Lfunc_end51:
	.size	_ZL22dequantize_block_iq1_sIN3c108BFloat16EEvPKvPT_, .Lfunc_end51-_ZL22dequantize_block_iq1_sIN3c108BFloat16EEvPKvPT_
                                        ; -- End function
	.section	.AMDGPU.csdata,"",@progbits
; Kernel info:
; codeLenInByte = 712
; NumSgprs: 12
; NumVgprs: 19
; NumAgprs: 0
; TotalNumVgprs: 19
; ScratchSize: 0
; MemoryBound: 0
; FloatMode: 240
; IeeeMode: 1
; LDSByteSize: 0 bytes/workgroup (compile time only)
; SGPRBlocks: 1
; VGPRBlocks: 2
; NumSGPRsForWavesPerEU: 12
; NumVGPRsForWavesPerEU: 19
; AccumOffset: 20
; Occupancy: 8
; WaveLimiterHint : 0
; COMPUTE_PGM_RSRC2:SCRATCH_EN: 0
; COMPUTE_PGM_RSRC2:USER_SGPR: 6
; COMPUTE_PGM_RSRC2:TRAP_HANDLER: 0
; COMPUTE_PGM_RSRC2:TGID_X_EN: 1
; COMPUTE_PGM_RSRC2:TGID_Y_EN: 0
; COMPUTE_PGM_RSRC2:TGID_Z_EN: 0
; COMPUTE_PGM_RSRC2:TIDIG_COMP_CNT: 0
; COMPUTE_PGM_RSRC3_GFX90A:ACCUM_OFFSET: 4
; COMPUTE_PGM_RSRC3_GFX90A:TG_SPLIT: 0
	.section	.text._ZL23dequantize_block_iq4_nlIN3c108BFloat16EEvPKvPT_,"axG",@progbits,_ZL23dequantize_block_iq4_nlIN3c108BFloat16EEvPKvPT_,comdat
	.globl	_ZL23dequantize_block_iq4_nlIN3c108BFloat16EEvPKvPT_ ; -- Begin function _ZL23dequantize_block_iq4_nlIN3c108BFloat16EEvPKvPT_
	.p2align	8
	.type	_ZL23dequantize_block_iq4_nlIN3c108BFloat16EEvPKvPT_,@function
_ZL23dequantize_block_iq4_nlIN3c108BFloat16EEvPKvPT_: ; @_ZL23dequantize_block_iq4_nlIN3c108BFloat16EEvPKvPT_
; %bb.0:
	s_load_dwordx4 s[0:3], s[4:5], 0x0
	s_lshl_b32 s4, s6, 3
	s_mul_i32 s5, s6, 0x90
	s_mul_hi_u32 s4, s4, 18
	v_and_b32_e32 v4, 7, v0
	s_waitcnt lgkmcnt(0)
	s_add_u32 s0, s0, s5
	s_addc_u32 s1, s1, s4
	v_lshrrev_b32_e32 v0, 1, v0
	v_and_b32_e32 v5, 0x1fc, v0
	v_mad_u64_u32 v[0:1], s[0:1], v4, 18, s[0:1]
	v_add_co_u32_e32 v2, vcc, v0, v5
	v_addc_co_u32_e32 v3, vcc, 0, v1, vcc
	global_load_dword v6, v[2:3], off offset:2
	global_load_ushort v7, v[0:1], off
	s_mov_b32 s1, 0
	s_lshl_b32 s0, s6, 8
	s_lshl_b64 s[0:1], s[0:1], 1
	v_mov_b32_e32 v0, 4
	s_add_u32 s2, s2, s0
	s_addc_u32 s3, s3, s1
	s_getpc_b64 s[0:1]
	s_add_u32 s0, s0, _ZL13kvalues_iq4nl@rel32@lo+4
	s_addc_u32 s1, s1, _ZL13kvalues_iq4nl@rel32@hi+12
	v_mov_b32_e32 v8, s1
	s_waitcnt vmcnt(1)
	v_lshrrev_b16_e32 v2, 4, v6
	v_lshrrev_b32_e32 v1, 8, v6
	v_and_b32_e32 v9, 15, v6
	v_bfe_u32 v10, v6, 8, 4
	v_bfe_u32 v11, v6, 16, 4
	;; [unrolled: 1-line block ×4, first 2 shown]
	v_lshrrev_b16_sdwa v6, v0, v6 dst_sel:DWORD dst_unused:UNUSED_PAD src0_sel:DWORD src1_sel:BYTE_3
	v_and_b32_e32 v0, 15, v2
	v_lshrrev_b16_e32 v1, 4, v1
	v_and_b32_e32 v0, 0xffff, v0
	v_and_b32_e32 v2, 15, v1
	v_add_co_u32_e32 v0, vcc, s0, v0
	v_addc_co_u32_e32 v1, vcc, 0, v8, vcc
	v_and_b32_e32 v2, 0xffff, v2
	v_add_co_u32_e32 v2, vcc, s0, v2
	v_addc_co_u32_e32 v3, vcc, 0, v8, vcc
	global_load_sbyte v14, v9, s[0:1]
	global_load_sbyte v15, v[0:1], off
	global_load_sbyte v16, v10, s[0:1]
	global_load_sbyte v17, v[2:3], off
	global_load_sbyte v18, v11, s[0:1]
	global_load_sbyte v19, v12, s[0:1]
	;; [unrolled: 1-line block ×3, first 2 shown]
	v_add_co_u32_e32 v0, vcc, s0, v6
	v_addc_co_u32_e32 v1, vcc, 0, v8, vcc
	global_load_sbyte v3, v[0:1], off
	v_lshlrev_b32_e32 v0, 6, v4
	v_mov_b32_e32 v2, s3
	v_add_co_u32_e32 v0, vcc, s2, v0
	v_lshlrev_b32_e32 v1, 1, v5
	v_addc_co_u32_e32 v2, vcc, 0, v2, vcc
	v_add_co_u32_e32 v0, vcc, v0, v1
	v_addc_co_u32_e32 v1, vcc, 0, v2, vcc
	s_waitcnt vmcnt(8)
	v_cvt_f32_f16_e32 v2, v7
	s_movk_i32 s0, 0x7fff
	v_mov_b32_e32 v12, 0x7fc0
	s_mov_b32 s1, 0x5040100
	s_waitcnt vmcnt(7)
	v_cvt_f32_i32_e32 v4, v14
	s_waitcnt vmcnt(6)
	v_cvt_f32_i32_e32 v6, v15
	;; [unrolled: 2-line block ×8, first 2 shown]
	v_pk_mul_f32 v[4:5], v[2:3], v[4:5] op_sel_hi:[0,1]
	v_bfe_u32 v13, v4, 16, 1
	v_pk_mul_f32 v[8:9], v[2:3], v[8:9] op_sel_hi:[0,1]
	v_bfe_u32 v14, v5, 16, 1
	v_add3_u32 v13, v4, v13, s0
	v_pk_mul_f32 v[10:11], v[2:3], v[10:11] op_sel_hi:[0,1]
	v_pk_mul_f32 v[2:3], v[2:3], v[6:7] op_sel_hi:[0,1]
	v_bfe_u32 v6, v8, 16, 1
	v_add3_u32 v14, v5, v14, s0
	v_lshrrev_b32_e32 v13, 16, v13
	v_cmp_o_f32_e32 vcc, v4, v4
	v_bfe_u32 v7, v9, 16, 1
	v_add3_u32 v6, v8, v6, s0
	v_lshrrev_b32_e32 v14, 16, v14
	v_cndmask_b32_e32 v4, v12, v13, vcc
	v_cmp_o_f32_e32 vcc, v5, v5
	v_bfe_u32 v15, v10, 16, 1
	v_add3_u32 v7, v9, v7, s0
	v_lshrrev_b32_e32 v6, 16, v6
	v_cndmask_b32_e32 v5, v12, v14, vcc
	;; [unrolled: 5-line block ×5, first 2 shown]
	v_cmp_o_f32_e32 vcc, v11, v11
	v_add3_u32 v18, v3, v18, s0
	v_lshrrev_b32_e32 v15, 16, v17
	v_cndmask_b32_e32 v9, v12, v14, vcc
	v_cmp_o_f32_e32 vcc, v2, v2
	v_lshrrev_b32_e32 v16, 16, v18
	v_cndmask_b32_e32 v2, v12, v15, vcc
	v_cmp_o_f32_e32 vcc, v3, v3
	v_perm_b32 v4, v5, v4, s1
	v_cndmask_b32_e32 v10, v12, v16, vcc
	v_perm_b32 v5, v7, v6, s1
	v_perm_b32 v3, v9, v8, s1
	;; [unrolled: 1-line block ×3, first 2 shown]
	global_store_dwordx2 v[0:1], v[4:5], off
	global_store_dwordx2 v[0:1], v[2:3], off offset:32
	s_endpgm
	.section	.rodata,"a",@progbits
	.p2align	6, 0x0
	.amdhsa_kernel _ZL23dequantize_block_iq4_nlIN3c108BFloat16EEvPKvPT_
		.amdhsa_group_segment_fixed_size 0
		.amdhsa_private_segment_fixed_size 0
		.amdhsa_kernarg_size 16
		.amdhsa_user_sgpr_count 6
		.amdhsa_user_sgpr_private_segment_buffer 1
		.amdhsa_user_sgpr_dispatch_ptr 0
		.amdhsa_user_sgpr_queue_ptr 0
		.amdhsa_user_sgpr_kernarg_segment_ptr 1
		.amdhsa_user_sgpr_dispatch_id 0
		.amdhsa_user_sgpr_flat_scratch_init 0
		.amdhsa_user_sgpr_kernarg_preload_length 0
		.amdhsa_user_sgpr_kernarg_preload_offset 0
		.amdhsa_user_sgpr_private_segment_size 0
		.amdhsa_uses_dynamic_stack 0
		.amdhsa_system_sgpr_private_segment_wavefront_offset 0
		.amdhsa_system_sgpr_workgroup_id_x 1
		.amdhsa_system_sgpr_workgroup_id_y 0
		.amdhsa_system_sgpr_workgroup_id_z 0
		.amdhsa_system_sgpr_workgroup_info 0
		.amdhsa_system_vgpr_workitem_id 0
		.amdhsa_next_free_vgpr 21
		.amdhsa_next_free_sgpr 7
		.amdhsa_accum_offset 24
		.amdhsa_reserve_vcc 1
		.amdhsa_reserve_flat_scratch 0
		.amdhsa_float_round_mode_32 0
		.amdhsa_float_round_mode_16_64 0
		.amdhsa_float_denorm_mode_32 3
		.amdhsa_float_denorm_mode_16_64 3
		.amdhsa_dx10_clamp 1
		.amdhsa_ieee_mode 1
		.amdhsa_fp16_overflow 0
		.amdhsa_tg_split 0
		.amdhsa_exception_fp_ieee_invalid_op 0
		.amdhsa_exception_fp_denorm_src 0
		.amdhsa_exception_fp_ieee_div_zero 0
		.amdhsa_exception_fp_ieee_overflow 0
		.amdhsa_exception_fp_ieee_underflow 0
		.amdhsa_exception_fp_ieee_inexact 0
		.amdhsa_exception_int_div_zero 0
	.end_amdhsa_kernel
	.section	.text._ZL23dequantize_block_iq4_nlIN3c108BFloat16EEvPKvPT_,"axG",@progbits,_ZL23dequantize_block_iq4_nlIN3c108BFloat16EEvPKvPT_,comdat
.Lfunc_end52:
	.size	_ZL23dequantize_block_iq4_nlIN3c108BFloat16EEvPKvPT_, .Lfunc_end52-_ZL23dequantize_block_iq4_nlIN3c108BFloat16EEvPKvPT_
                                        ; -- End function
	.section	.AMDGPU.csdata,"",@progbits
; Kernel info:
; codeLenInByte = 732
; NumSgprs: 11
; NumVgprs: 21
; NumAgprs: 0
; TotalNumVgprs: 21
; ScratchSize: 0
; MemoryBound: 0
; FloatMode: 240
; IeeeMode: 1
; LDSByteSize: 0 bytes/workgroup (compile time only)
; SGPRBlocks: 1
; VGPRBlocks: 2
; NumSGPRsForWavesPerEU: 11
; NumVGPRsForWavesPerEU: 21
; AccumOffset: 24
; Occupancy: 8
; WaveLimiterHint : 0
; COMPUTE_PGM_RSRC2:SCRATCH_EN: 0
; COMPUTE_PGM_RSRC2:USER_SGPR: 6
; COMPUTE_PGM_RSRC2:TRAP_HANDLER: 0
; COMPUTE_PGM_RSRC2:TGID_X_EN: 1
; COMPUTE_PGM_RSRC2:TGID_Y_EN: 0
; COMPUTE_PGM_RSRC2:TGID_Z_EN: 0
; COMPUTE_PGM_RSRC2:TIDIG_COMP_CNT: 0
; COMPUTE_PGM_RSRC3_GFX90A:ACCUM_OFFSET: 5
; COMPUTE_PGM_RSRC3_GFX90A:TG_SPLIT: 0
	.section	.text._ZL22dequantize_block_iq3_sIN3c108BFloat16EEvPKvPT_,"axG",@progbits,_ZL22dequantize_block_iq3_sIN3c108BFloat16EEvPKvPT_,comdat
	.globl	_ZL22dequantize_block_iq3_sIN3c108BFloat16EEvPKvPT_ ; -- Begin function _ZL22dequantize_block_iq3_sIN3c108BFloat16EEvPKvPT_
	.p2align	8
	.type	_ZL22dequantize_block_iq3_sIN3c108BFloat16EEvPKvPT_,@function
_ZL22dequantize_block_iq3_sIN3c108BFloat16EEvPKvPT_: ; @_ZL22dequantize_block_iq3_sIN3c108BFloat16EEvPKvPT_
; %bb.0:
	s_load_dwordx4 s[0:3], s[4:5], 0x0
	s_lshl_b32 s4, s6, 8
	s_mov_b32 s5, 0
	s_lshl_b64 s[4:5], s[4:5], 1
	v_and_b32_e32 v4, 7, v0
	s_waitcnt lgkmcnt(0)
	s_add_u32 s2, s2, s4
	s_addc_u32 s3, s3, s5
	s_mul_hi_u32 s4, s6, 0x6e
	s_mulk_i32 s6, 0x6e
	s_add_u32 s0, s0, s6
	s_addc_u32 s1, s1, s4
	v_lshlrev_b32_e32 v2, 3, v4
	v_lshrrev_b32_e32 v1, 3, v0
	v_mov_b32_e32 v3, s1
	v_add_co_u32_e32 v2, vcc, s0, v2
	v_addc_co_u32_e32 v3, vcc, 0, v3, vcc
	v_lshlrev_b32_e32 v5, 1, v1
	v_add_co_u32_e32 v2, vcc, v2, v5
	v_addc_co_u32_e32 v3, vcc, 0, v3, vcc
	global_load_ubyte v6, v4, s[0:1] offset:66
	v_bfe_u32 v7, v0, 1, 2
	global_load_ushort v2, v[2:3], off offset:2
	v_mov_b32_e32 v3, 0
	v_lshl_add_u32 v1, v4, 2, v1
	global_load_ubyte v8, v7, s[0:1] offset:106
	global_load_sbyte v9, v1, s[0:1] offset:74
	global_load_ushort v10, v3, s[0:1]
	v_sub_u32_e32 v1, 8, v5
	s_movk_i32 s4, 0x100
	v_sub_u32_e32 v3, 7, v5
	s_getpc_b64 s[0:1]
	s_add_u32 s0, s0, _ZL10iq3xs_grid@rel32@lo+4
	s_addc_u32 s1, s1, _ZL10iq3xs_grid@rel32@hi+12
	v_lshlrev_b32_e32 v4, 6, v4
	v_add_co_u32_e32 v4, vcc, s2, v4
	s_waitcnt vmcnt(4)
	v_lshlrev_b32_e32 v1, v1, v6
	v_lshlrev_b32_e32 v3, v3, v6
	s_waitcnt vmcnt(3)
	v_and_b32_e32 v5, 0xff, v2
	v_lshrrev_b16_e32 v2, 8, v2
	v_and_or_b32 v1, v1, s4, v5
	v_and_or_b32 v2, v3, s4, v2
	v_lshlrev_b32_e32 v1, 2, v1
	v_lshlrev_b32_e32 v2, 2, v2
	global_load_dword v3, v1, s[0:1]
	global_load_dword v6, v2, s[0:1]
	v_and_b32_e32 v2, 0x3f8, v0
	v_mov_b32_e32 v5, s3
	v_lshlrev_b32_e32 v0, 2, v0
	v_lshlrev_b32_e32 v2, 1, v2
	v_addc_co_u32_e32 v5, vcc, 0, v5, vcc
	v_and_b32_e32 v0, 4, v0
	v_add_co_u32_e32 v4, vcc, v4, v2
	s_waitcnt vmcnt(2)
	v_cvt_f32_f16_e32 v2, v10
	v_bfe_u32 v0, v8, v0, 4
	v_cvt_f32_ubyte0_e32 v0, v0
	v_add_f32_e32 v0, 0.5, v0
	v_mul_f32_e32 v0, v0, v2
	v_addc_co_u32_e32 v5, vcc, 0, v5, vcc
	v_and_b32_e32 v7, 1, v9
	v_mul_f32_e32 v0, 0.5, v0
	v_and_b32_e32 v8, 16, v9
	v_cmp_eq_u16_e32 vcc, 0, v7
	v_and_b32_e32 v10, 2, v9
	v_and_b32_e32 v11, 32, v9
	;; [unrolled: 1-line block ×4, first 2 shown]
	s_movk_i32 s0, 0x7fff
	v_and_b32_e32 v13, 64, v9
	v_mov_b32_e32 v1, 0x7fc0
	s_mov_b32 s1, 0x5040100
	s_waitcnt vmcnt(1)
	v_cvt_f32_ubyte0_e32 v2, v3
	s_waitcnt vmcnt(0)
	v_cvt_f32_ubyte0_e32 v15, v6
	v_mul_f32_e32 v2, v0, v2
	v_cvt_f32_ubyte1_e32 v16, v3
	v_cvt_f32_ubyte1_e32 v17, v6
	v_cvt_f32_ubyte2_e32 v18, v3
	v_cvt_f32_ubyte2_e32 v19, v6
	v_cvt_f32_ubyte3_e32 v3, v3
	v_cvt_f32_ubyte3_e32 v6, v6
	v_mul_f32_e32 v15, v0, v15
	v_cndmask_b32_e64 v2, -v2, v2, vcc
	v_cmp_eq_u16_e32 vcc, 0, v8
	v_mul_f32_e32 v16, v0, v16
	v_mul_f32_e32 v17, v0, v17
	;; [unrolled: 1-line block ×6, first 2 shown]
	v_cndmask_b32_e64 v6, -v15, v15, vcc
	v_cmp_eq_u16_e32 vcc, 0, v10
	v_cndmask_b32_e64 v7, -v16, v16, vcc
	v_cmp_eq_u16_e32 vcc, 0, v11
	;; [unrolled: 2-line block ×4, first 2 shown]
	v_cndmask_b32_e64 v3, -v3, v3, vcc
	v_cmp_gt_i16_e32 vcc, 0, v9
	v_bfe_u32 v11, v2, 16, 1
	v_cndmask_b32_e64 v0, v0, -v0, vcc
	v_cmp_eq_u16_e32 vcc, 0, v13
	v_bfe_u32 v12, v6, 16, 1
	v_add3_u32 v11, v2, v11, s0
	v_cndmask_b32_e64 v9, -v19, v19, vcc
	v_bfe_u32 v13, v7, 16, 1
	v_add3_u32 v12, v6, v12, s0
	v_lshrrev_b32_e32 v11, 16, v11
	v_cmp_o_f32_e32 vcc, v2, v2
	v_bfe_u32 v14, v8, 16, 1
	v_add3_u32 v13, v7, v13, s0
	v_lshrrev_b32_e32 v12, 16, v12
	v_cndmask_b32_e32 v11, v1, v11, vcc
	v_cmp_o_f32_e32 vcc, v6, v6
	v_bfe_u32 v15, v10, 16, 1
	v_add3_u32 v14, v8, v14, s0
	v_lshrrev_b32_e32 v13, 16, v13
	v_cndmask_b32_e32 v2, v1, v12, vcc
	;; [unrolled: 5-line block ×5, first 2 shown]
	v_cmp_o_f32_e32 vcc, v3, v3
	v_add3_u32 v18, v0, v18, s0
	v_lshrrev_b32_e32 v17, 16, v17
	v_cndmask_b32_e32 v10, v1, v16, vcc
	v_cmp_o_f32_e32 vcc, v9, v9
	v_lshrrev_b32_e32 v18, 16, v18
	v_cndmask_b32_e32 v3, v1, v17, vcc
	v_cmp_o_f32_e32 vcc, v0, v0
	v_cndmask_b32_e32 v0, v1, v18, vcc
	v_perm_b32 v3, v0, v3, s1
	v_perm_b32 v2, v7, v2, s1
	;; [unrolled: 1-line block ×4, first 2 shown]
	global_store_dwordx4 v[4:5], v[0:3], off
	s_endpgm
	.section	.rodata,"a",@progbits
	.p2align	6, 0x0
	.amdhsa_kernel _ZL22dequantize_block_iq3_sIN3c108BFloat16EEvPKvPT_
		.amdhsa_group_segment_fixed_size 0
		.amdhsa_private_segment_fixed_size 0
		.amdhsa_kernarg_size 16
		.amdhsa_user_sgpr_count 6
		.amdhsa_user_sgpr_private_segment_buffer 1
		.amdhsa_user_sgpr_dispatch_ptr 0
		.amdhsa_user_sgpr_queue_ptr 0
		.amdhsa_user_sgpr_kernarg_segment_ptr 1
		.amdhsa_user_sgpr_dispatch_id 0
		.amdhsa_user_sgpr_flat_scratch_init 0
		.amdhsa_user_sgpr_kernarg_preload_length 0
		.amdhsa_user_sgpr_kernarg_preload_offset 0
		.amdhsa_user_sgpr_private_segment_size 0
		.amdhsa_uses_dynamic_stack 0
		.amdhsa_system_sgpr_private_segment_wavefront_offset 0
		.amdhsa_system_sgpr_workgroup_id_x 1
		.amdhsa_system_sgpr_workgroup_id_y 0
		.amdhsa_system_sgpr_workgroup_id_z 0
		.amdhsa_system_sgpr_workgroup_info 0
		.amdhsa_system_vgpr_workitem_id 0
		.amdhsa_next_free_vgpr 20
		.amdhsa_next_free_sgpr 7
		.amdhsa_accum_offset 20
		.amdhsa_reserve_vcc 1
		.amdhsa_reserve_flat_scratch 0
		.amdhsa_float_round_mode_32 0
		.amdhsa_float_round_mode_16_64 0
		.amdhsa_float_denorm_mode_32 3
		.amdhsa_float_denorm_mode_16_64 3
		.amdhsa_dx10_clamp 1
		.amdhsa_ieee_mode 1
		.amdhsa_fp16_overflow 0
		.amdhsa_tg_split 0
		.amdhsa_exception_fp_ieee_invalid_op 0
		.amdhsa_exception_fp_denorm_src 0
		.amdhsa_exception_fp_ieee_div_zero 0
		.amdhsa_exception_fp_ieee_overflow 0
		.amdhsa_exception_fp_ieee_underflow 0
		.amdhsa_exception_fp_ieee_inexact 0
		.amdhsa_exception_int_div_zero 0
	.end_amdhsa_kernel
	.section	.text._ZL22dequantize_block_iq3_sIN3c108BFloat16EEvPKvPT_,"axG",@progbits,_ZL22dequantize_block_iq3_sIN3c108BFloat16EEvPKvPT_,comdat
.Lfunc_end53:
	.size	_ZL22dequantize_block_iq3_sIN3c108BFloat16EEvPKvPT_, .Lfunc_end53-_ZL22dequantize_block_iq3_sIN3c108BFloat16EEvPKvPT_
                                        ; -- End function
	.section	.AMDGPU.csdata,"",@progbits
; Kernel info:
; codeLenInByte = 808
; NumSgprs: 11
; NumVgprs: 20
; NumAgprs: 0
; TotalNumVgprs: 20
; ScratchSize: 0
; MemoryBound: 0
; FloatMode: 240
; IeeeMode: 1
; LDSByteSize: 0 bytes/workgroup (compile time only)
; SGPRBlocks: 1
; VGPRBlocks: 2
; NumSGPRsForWavesPerEU: 11
; NumVGPRsForWavesPerEU: 20
; AccumOffset: 20
; Occupancy: 8
; WaveLimiterHint : 0
; COMPUTE_PGM_RSRC2:SCRATCH_EN: 0
; COMPUTE_PGM_RSRC2:USER_SGPR: 6
; COMPUTE_PGM_RSRC2:TRAP_HANDLER: 0
; COMPUTE_PGM_RSRC2:TGID_X_EN: 1
; COMPUTE_PGM_RSRC2:TGID_Y_EN: 0
; COMPUTE_PGM_RSRC2:TGID_Z_EN: 0
; COMPUTE_PGM_RSRC2:TIDIG_COMP_CNT: 0
; COMPUTE_PGM_RSRC3_GFX90A:ACCUM_OFFSET: 4
; COMPUTE_PGM_RSRC3_GFX90A:TG_SPLIT: 0
	.section	.text._ZL22dequantize_block_iq2_sIN3c108BFloat16EEvPKvPT_,"axG",@progbits,_ZL22dequantize_block_iq2_sIN3c108BFloat16EEvPKvPT_,comdat
	.globl	_ZL22dequantize_block_iq2_sIN3c108BFloat16EEvPKvPT_ ; -- Begin function _ZL22dequantize_block_iq2_sIN3c108BFloat16EEvPKvPT_
	.p2align	8
	.type	_ZL22dequantize_block_iq2_sIN3c108BFloat16EEvPKvPT_,@function
_ZL22dequantize_block_iq2_sIN3c108BFloat16EEvPKvPT_: ; @_ZL22dequantize_block_iq2_sIN3c108BFloat16EEvPKvPT_
; %bb.0:
	s_load_dwordx4 s[0:3], s[4:5], 0x0
	s_lshl_b32 s4, s6, 8
	s_mov_b32 s5, 0
	s_lshl_b64 s[4:5], s[4:5], 1
	v_and_b32_e32 v4, 7, v0
	s_waitcnt lgkmcnt(0)
	s_add_u32 s4, s2, s4
	s_addc_u32 s5, s3, s5
	s_mul_hi_u32 s2, s6, 0x52
	s_mulk_i32 s6, 0x52
	s_add_u32 s0, s0, s6
	v_lshrrev_b32_e32 v1, 3, v0
	s_addc_u32 s1, s1, s2
	v_lshlrev_b32_e32 v2, 2, v4
	v_add_u32_e32 v3, v2, v1
	global_load_ubyte v5, v4, s[0:1] offset:66
	global_load_ubyte v6, v3, s[0:1] offset:2
	v_add_co_u32_e32 v2, vcc, v1, v2
	v_addc_co_u32_e64 v3, s[2:3], 0, 0, vcc
	s_add_u32 s2, s0, 2
	s_addc_u32 s3, s1, 0
	v_mov_b32_e32 v8, s3
	v_add_co_u32_e32 v2, vcc, s2, v2
	v_addc_co_u32_e32 v3, vcc, v8, v3, vcc
	v_lshlrev_b32_e32 v1, 1, v1
	v_mov_b32_e32 v7, 0
	global_load_sbyte v8, v[2:3], off offset:32
	global_load_ushort v9, v7, s[0:1]
	global_load_ubyte v10, v4, s[0:1] offset:74
	v_sub_u32_e32 v1, 8, v1
	s_movk_i32 s2, 0x300
	s_getpc_b64 s[0:1]
	s_add_u32 s0, s0, _ZL9iq2s_grid@rel32@lo+4
	s_addc_u32 s1, s1, _ZL9iq2s_grid@rel32@hi+12
	v_lshlrev_b32_e32 v4, 6, v4
	v_add_co_u32_e32 v4, vcc, s4, v4
	s_waitcnt vmcnt(4)
	v_lshlrev_b32_e32 v1, v1, v5
	s_waitcnt vmcnt(3)
	v_and_or_b32 v1, v1, s2, v6
	v_lshlrev_b32_e32 v1, 3, v1
	global_load_dwordx2 v[2:3], v1, s[0:1]
	v_and_b32_e32 v5, 0x3f8, v0
	v_mov_b32_e32 v6, s5
	v_lshlrev_b32_e32 v5, 1, v5
	v_addc_co_u32_e32 v6, vcc, 0, v6, vcc
	v_lshrrev_b32_e32 v0, 2, v0
	v_add_co_u32_e32 v4, vcc, v4, v5
	v_and_b32_e32 v0, 0xfc, v0
	v_addc_co_u32_e32 v5, vcc, 0, v6, vcc
	s_waitcnt vmcnt(2)
	v_cvt_f32_f16_e32 v6, v9
	s_waitcnt vmcnt(1)
	v_bfe_u32 v0, v10, v0, 4
	v_cvt_f32_ubyte0_e32 v0, v0
	v_add_f32_e32 v0, 0.5, v0
	v_mul_f32_e32 v0, v0, v6
	v_and_b32_e32 v7, 1, v8
	v_mul_f32_e32 v0, 0x3e800000, v0
	v_and_b32_e32 v9, 2, v8
	v_cmp_eq_u16_e32 vcc, 0, v7
	v_and_b32_e32 v10, 4, v8
	v_and_b32_e32 v11, 8, v8
	;; [unrolled: 1-line block ×4, first 2 shown]
	s_movk_i32 s0, 0x7fff
	v_and_b32_e32 v14, 64, v8
	v_mov_b32_e32 v1, 0x7fc0
	s_mov_b32 s1, 0x5040100
	s_waitcnt vmcnt(0)
	v_cvt_f32_ubyte0_e32 v6, v2
	v_cvt_f32_ubyte1_e32 v15, v2
	v_cvt_f32_ubyte2_e32 v16, v2
	v_cvt_f32_ubyte3_e32 v2, v2
	v_cvt_f32_ubyte0_e32 v17, v3
	v_cvt_f32_ubyte1_e32 v18, v3
	v_cvt_f32_ubyte2_e32 v19, v3
	v_cvt_f32_ubyte3_e32 v3, v3
	v_mul_f32_e32 v6, v0, v6
	v_mul_f32_e32 v15, v0, v15
	v_mul_f32_e32 v16, v0, v16
	v_mul_f32_e32 v2, v0, v2
	v_mul_f32_e32 v17, v0, v17
	v_mul_f32_e32 v18, v0, v18
	v_mul_f32_e32 v19, v0, v19
	v_mul_f32_e32 v0, v0, v3
	v_cndmask_b32_e64 v3, -v6, v6, vcc
	v_cmp_eq_u16_e32 vcc, 0, v9
	v_cndmask_b32_e64 v6, -v15, v15, vcc
	v_cmp_eq_u16_e32 vcc, 0, v10
	;; [unrolled: 2-line block ×5, first 2 shown]
	v_cndmask_b32_e64 v10, -v18, v18, vcc
	v_cmp_gt_i16_e32 vcc, 0, v8
	v_bfe_u32 v11, v3, 16, 1
	v_cndmask_b32_e64 v0, v0, -v0, vcc
	v_cmp_eq_u16_e32 vcc, 0, v14
	v_bfe_u32 v12, v6, 16, 1
	v_add3_u32 v11, v3, v11, s0
	v_cndmask_b32_e64 v8, -v19, v19, vcc
	v_bfe_u32 v13, v7, 16, 1
	v_add3_u32 v12, v6, v12, s0
	v_lshrrev_b32_e32 v11, 16, v11
	v_cmp_o_f32_e32 vcc, v3, v3
	v_bfe_u32 v14, v2, 16, 1
	v_add3_u32 v13, v7, v13, s0
	v_lshrrev_b32_e32 v12, 16, v12
	v_cndmask_b32_e32 v11, v1, v11, vcc
	v_cmp_o_f32_e32 vcc, v6, v6
	v_bfe_u32 v15, v9, 16, 1
	v_add3_u32 v14, v2, v14, s0
	v_lshrrev_b32_e32 v13, 16, v13
	v_cndmask_b32_e32 v6, v1, v12, vcc
	;; [unrolled: 5-line block ×5, first 2 shown]
	v_cmp_o_f32_e32 vcc, v10, v10
	v_add3_u32 v18, v0, v18, s0
	v_lshrrev_b32_e32 v17, 16, v17
	v_cndmask_b32_e32 v9, v1, v16, vcc
	v_cmp_o_f32_e32 vcc, v8, v8
	v_lshrrev_b32_e32 v18, 16, v18
	v_cndmask_b32_e32 v3, v1, v17, vcc
	v_cmp_o_f32_e32 vcc, v0, v0
	v_cndmask_b32_e32 v0, v1, v18, vcc
	v_perm_b32 v3, v0, v3, s1
	v_perm_b32 v2, v9, v2, s1
	;; [unrolled: 1-line block ×4, first 2 shown]
	global_store_dwordx4 v[4:5], v[0:3], off
	s_endpgm
	.section	.rodata,"a",@progbits
	.p2align	6, 0x0
	.amdhsa_kernel _ZL22dequantize_block_iq2_sIN3c108BFloat16EEvPKvPT_
		.amdhsa_group_segment_fixed_size 0
		.amdhsa_private_segment_fixed_size 0
		.amdhsa_kernarg_size 16
		.amdhsa_user_sgpr_count 6
		.amdhsa_user_sgpr_private_segment_buffer 1
		.amdhsa_user_sgpr_dispatch_ptr 0
		.amdhsa_user_sgpr_queue_ptr 0
		.amdhsa_user_sgpr_kernarg_segment_ptr 1
		.amdhsa_user_sgpr_dispatch_id 0
		.amdhsa_user_sgpr_flat_scratch_init 0
		.amdhsa_user_sgpr_kernarg_preload_length 0
		.amdhsa_user_sgpr_kernarg_preload_offset 0
		.amdhsa_user_sgpr_private_segment_size 0
		.amdhsa_uses_dynamic_stack 0
		.amdhsa_system_sgpr_private_segment_wavefront_offset 0
		.amdhsa_system_sgpr_workgroup_id_x 1
		.amdhsa_system_sgpr_workgroup_id_y 0
		.amdhsa_system_sgpr_workgroup_id_z 0
		.amdhsa_system_sgpr_workgroup_info 0
		.amdhsa_system_vgpr_workitem_id 0
		.amdhsa_next_free_vgpr 20
		.amdhsa_next_free_sgpr 7
		.amdhsa_accum_offset 20
		.amdhsa_reserve_vcc 1
		.amdhsa_reserve_flat_scratch 0
		.amdhsa_float_round_mode_32 0
		.amdhsa_float_round_mode_16_64 0
		.amdhsa_float_denorm_mode_32 3
		.amdhsa_float_denorm_mode_16_64 3
		.amdhsa_dx10_clamp 1
		.amdhsa_ieee_mode 1
		.amdhsa_fp16_overflow 0
		.amdhsa_tg_split 0
		.amdhsa_exception_fp_ieee_invalid_op 0
		.amdhsa_exception_fp_denorm_src 0
		.amdhsa_exception_fp_ieee_div_zero 0
		.amdhsa_exception_fp_ieee_overflow 0
		.amdhsa_exception_fp_ieee_underflow 0
		.amdhsa_exception_fp_ieee_inexact 0
		.amdhsa_exception_int_div_zero 0
	.end_amdhsa_kernel
	.section	.text._ZL22dequantize_block_iq2_sIN3c108BFloat16EEvPKvPT_,"axG",@progbits,_ZL22dequantize_block_iq2_sIN3c108BFloat16EEvPKvPT_,comdat
.Lfunc_end54:
	.size	_ZL22dequantize_block_iq2_sIN3c108BFloat16EEvPKvPT_, .Lfunc_end54-_ZL22dequantize_block_iq2_sIN3c108BFloat16EEvPKvPT_
                                        ; -- End function
	.section	.AMDGPU.csdata,"",@progbits
; Kernel info:
; codeLenInByte = 776
; NumSgprs: 11
; NumVgprs: 20
; NumAgprs: 0
; TotalNumVgprs: 20
; ScratchSize: 0
; MemoryBound: 0
; FloatMode: 240
; IeeeMode: 1
; LDSByteSize: 0 bytes/workgroup (compile time only)
; SGPRBlocks: 1
; VGPRBlocks: 2
; NumSGPRsForWavesPerEU: 11
; NumVGPRsForWavesPerEU: 20
; AccumOffset: 20
; Occupancy: 8
; WaveLimiterHint : 0
; COMPUTE_PGM_RSRC2:SCRATCH_EN: 0
; COMPUTE_PGM_RSRC2:USER_SGPR: 6
; COMPUTE_PGM_RSRC2:TRAP_HANDLER: 0
; COMPUTE_PGM_RSRC2:TGID_X_EN: 1
; COMPUTE_PGM_RSRC2:TGID_Y_EN: 0
; COMPUTE_PGM_RSRC2:TGID_Z_EN: 0
; COMPUTE_PGM_RSRC2:TIDIG_COMP_CNT: 0
; COMPUTE_PGM_RSRC3_GFX90A:ACCUM_OFFSET: 4
; COMPUTE_PGM_RSRC3_GFX90A:TG_SPLIT: 0
	.section	.text._ZL23dequantize_block_iq4_xsIN3c108BFloat16EEvPKvPT_,"axG",@progbits,_ZL23dequantize_block_iq4_xsIN3c108BFloat16EEvPKvPT_,comdat
	.globl	_ZL23dequantize_block_iq4_xsIN3c108BFloat16EEvPKvPT_ ; -- Begin function _ZL23dequantize_block_iq4_xsIN3c108BFloat16EEvPKvPT_
	.p2align	8
	.type	_ZL23dequantize_block_iq4_xsIN3c108BFloat16EEvPKvPT_,@function
_ZL23dequantize_block_iq4_xsIN3c108BFloat16EEvPKvPT_: ; @_ZL23dequantize_block_iq4_xsIN3c108BFloat16EEvPKvPT_
; %bb.0:
	s_load_dwordx4 s[0:3], s[4:5], 0x0
	s_lshl_b32 s4, s6, 8
	s_mov_b32 s5, 0
	s_lshl_b64 s[4:5], s[4:5], 1
	v_and_b32_e32 v1, 7, v0
	s_waitcnt lgkmcnt(0)
	s_add_u32 s2, s2, s4
	s_addc_u32 s3, s3, s5
	s_mul_hi_u32 s4, s6, 0x88
	s_mulk_i32 s6, 0x88
	v_lshrrev_b32_e32 v2, 1, v0
	s_add_u32 s0, s0, s6
	v_and_b32_e32 v6, 0x1fc, v2
	s_addc_u32 s1, s1, s4
	v_lshlrev_b32_e32 v2, 4, v1
	v_mov_b32_e32 v3, s1
	v_add_co_u32_e32 v2, vcc, s0, v2
	v_addc_co_u32_e32 v3, vcc, 0, v3, vcc
	v_add_co_u32_e32 v2, vcc, v2, v6
	v_addc_co_u32_e32 v3, vcc, 0, v3, vcc
	global_load_dword v2, v[2:3], off offset:8
	v_mov_b32_e32 v3, 0
	global_load_dword v7, v3, s[0:1]
	v_bfe_u32 v3, v0, 1, 2
	global_load_ubyte v8, v3, s[0:1] offset:4
	v_mov_b32_e32 v3, 4
	s_getpc_b64 s[0:1]
	s_add_u32 s0, s0, _ZL13kvalues_iq4nl@rel32@lo+4
	s_addc_u32 s1, s1, _ZL13kvalues_iq4nl@rel32@hi+12
	v_mov_b32_e32 v9, s1
	v_lshlrev_b32_e32 v0, 2, v0
	v_and_b32_e32 v0, 4, v0
	s_waitcnt vmcnt(2)
	v_lshrrev_b16_e32 v5, 4, v2
	v_lshrrev_b32_e32 v4, 8, v2
	v_and_b32_e32 v10, 15, v2
	v_bfe_u32 v11, v2, 8, 4
	v_bfe_u32 v12, v2, 16, 4
	v_bfe_u32 v13, v2, 20, 4
	v_bfe_u32 v14, v2, 24, 4
	v_lshrrev_b16_sdwa v15, v3, v2 dst_sel:DWORD dst_unused:UNUSED_PAD src0_sel:DWORD src1_sel:BYTE_3
	v_and_b32_e32 v2, 15, v5
	v_lshrrev_b16_e32 v3, 4, v4
	v_and_b32_e32 v2, 0xffff, v2
	v_and_b32_e32 v4, 15, v3
	v_add_co_u32_e32 v2, vcc, s0, v2
	v_addc_co_u32_e32 v3, vcc, 0, v9, vcc
	v_and_b32_e32 v4, 0xffff, v4
	v_add_co_u32_e32 v4, vcc, s0, v4
	v_addc_co_u32_e32 v5, vcc, 0, v9, vcc
	global_load_sbyte v16, v10, s[0:1]
	global_load_sbyte v17, v[2:3], off
	global_load_sbyte v18, v11, s[0:1]
	global_load_sbyte v19, v[4:5], off
	global_load_sbyte v20, v12, s[0:1]
	global_load_sbyte v21, v13, s[0:1]
	;; [unrolled: 1-line block ×3, first 2 shown]
	v_add_co_u32_e32 v2, vcc, s0, v15
	v_addc_co_u32_e32 v3, vcc, 0, v9, vcc
	global_load_sbyte v3, v[2:3], off
	v_lshlrev_b32_e32 v2, 6, v1
	v_lshlrev_b32_e32 v1, 1, v1
	s_waitcnt vmcnt(9)
	v_lshrrev_b32_sdwa v1, v1, v7 dst_sel:DWORD dst_unused:UNUSED_PAD src0_sel:DWORD src1_sel:WORD_1
	s_waitcnt vmcnt(8)
	v_bfe_u32 v0, v8, v0, 4
	v_lshlrev_b32_e32 v1, 4, v1
	v_mov_b32_e32 v5, s3
	v_add_co_u32_e32 v2, vcc, s2, v2
	v_and_or_b32 v0, v1, 48, v0
	v_lshlrev_b32_e32 v4, 1, v6
	v_addc_co_u32_e32 v5, vcc, 0, v5, vcc
	v_subrev_u32_e32 v0, 32, v0
	v_cvt_f32_f16_e32 v6, v7
	v_cvt_f32_i32_e32 v7, v0
	v_add_co_u32_e32 v0, vcc, v2, v4
	v_addc_co_u32_e32 v1, vcc, 0, v5, vcc
	v_mul_f32_e32 v2, v6, v7
	s_movk_i32 s0, 0x7fff
	v_mov_b32_e32 v12, 0x7fc0
	s_mov_b32 s1, 0x5040100
	s_waitcnt vmcnt(7)
	v_cvt_f32_i32_e32 v4, v16
	s_waitcnt vmcnt(6)
	v_cvt_f32_i32_e32 v6, v17
	;; [unrolled: 2-line block ×8, first 2 shown]
	v_pk_mul_f32 v[4:5], v[2:3], v[4:5] op_sel_hi:[0,1]
	v_bfe_u32 v13, v4, 16, 1
	v_pk_mul_f32 v[8:9], v[2:3], v[8:9] op_sel_hi:[0,1]
	v_bfe_u32 v14, v5, 16, 1
	v_add3_u32 v13, v4, v13, s0
	v_pk_mul_f32 v[10:11], v[2:3], v[10:11] op_sel_hi:[0,1]
	v_pk_mul_f32 v[2:3], v[2:3], v[6:7] op_sel_hi:[0,1]
	v_bfe_u32 v6, v8, 16, 1
	v_add3_u32 v14, v5, v14, s0
	v_lshrrev_b32_e32 v13, 16, v13
	v_cmp_o_f32_e32 vcc, v4, v4
	v_bfe_u32 v7, v9, 16, 1
	v_add3_u32 v6, v8, v6, s0
	v_lshrrev_b32_e32 v14, 16, v14
	v_cndmask_b32_e32 v4, v12, v13, vcc
	v_cmp_o_f32_e32 vcc, v5, v5
	v_bfe_u32 v15, v10, 16, 1
	v_add3_u32 v7, v9, v7, s0
	v_lshrrev_b32_e32 v6, 16, v6
	v_cndmask_b32_e32 v5, v12, v14, vcc
	;; [unrolled: 5-line block ×5, first 2 shown]
	v_cmp_o_f32_e32 vcc, v11, v11
	v_add3_u32 v18, v3, v18, s0
	v_lshrrev_b32_e32 v15, 16, v17
	v_cndmask_b32_e32 v9, v12, v14, vcc
	v_cmp_o_f32_e32 vcc, v2, v2
	v_lshrrev_b32_e32 v16, 16, v18
	v_cndmask_b32_e32 v2, v12, v15, vcc
	v_cmp_o_f32_e32 vcc, v3, v3
	v_perm_b32 v4, v5, v4, s1
	v_cndmask_b32_e32 v10, v12, v16, vcc
	v_perm_b32 v5, v7, v6, s1
	v_perm_b32 v3, v9, v8, s1
	;; [unrolled: 1-line block ×3, first 2 shown]
	global_store_dwordx2 v[0:1], v[4:5], off
	global_store_dwordx2 v[0:1], v[2:3], off offset:32
	s_endpgm
	.section	.rodata,"a",@progbits
	.p2align	6, 0x0
	.amdhsa_kernel _ZL23dequantize_block_iq4_xsIN3c108BFloat16EEvPKvPT_
		.amdhsa_group_segment_fixed_size 0
		.amdhsa_private_segment_fixed_size 0
		.amdhsa_kernarg_size 16
		.amdhsa_user_sgpr_count 6
		.amdhsa_user_sgpr_private_segment_buffer 1
		.amdhsa_user_sgpr_dispatch_ptr 0
		.amdhsa_user_sgpr_queue_ptr 0
		.amdhsa_user_sgpr_kernarg_segment_ptr 1
		.amdhsa_user_sgpr_dispatch_id 0
		.amdhsa_user_sgpr_flat_scratch_init 0
		.amdhsa_user_sgpr_kernarg_preload_length 0
		.amdhsa_user_sgpr_kernarg_preload_offset 0
		.amdhsa_user_sgpr_private_segment_size 0
		.amdhsa_uses_dynamic_stack 0
		.amdhsa_system_sgpr_private_segment_wavefront_offset 0
		.amdhsa_system_sgpr_workgroup_id_x 1
		.amdhsa_system_sgpr_workgroup_id_y 0
		.amdhsa_system_sgpr_workgroup_id_z 0
		.amdhsa_system_sgpr_workgroup_info 0
		.amdhsa_system_vgpr_workitem_id 0
		.amdhsa_next_free_vgpr 23
		.amdhsa_next_free_sgpr 7
		.amdhsa_accum_offset 24
		.amdhsa_reserve_vcc 1
		.amdhsa_reserve_flat_scratch 0
		.amdhsa_float_round_mode_32 0
		.amdhsa_float_round_mode_16_64 0
		.amdhsa_float_denorm_mode_32 3
		.amdhsa_float_denorm_mode_16_64 3
		.amdhsa_dx10_clamp 1
		.amdhsa_ieee_mode 1
		.amdhsa_fp16_overflow 0
		.amdhsa_tg_split 0
		.amdhsa_exception_fp_ieee_invalid_op 0
		.amdhsa_exception_fp_denorm_src 0
		.amdhsa_exception_fp_ieee_div_zero 0
		.amdhsa_exception_fp_ieee_overflow 0
		.amdhsa_exception_fp_ieee_underflow 0
		.amdhsa_exception_fp_ieee_inexact 0
		.amdhsa_exception_int_div_zero 0
	.end_amdhsa_kernel
	.section	.text._ZL23dequantize_block_iq4_xsIN3c108BFloat16EEvPKvPT_,"axG",@progbits,_ZL23dequantize_block_iq4_xsIN3c108BFloat16EEvPKvPT_,comdat
.Lfunc_end55:
	.size	_ZL23dequantize_block_iq4_xsIN3c108BFloat16EEvPKvPT_, .Lfunc_end55-_ZL23dequantize_block_iq4_xsIN3c108BFloat16EEvPKvPT_
                                        ; -- End function
	.section	.AMDGPU.csdata,"",@progbits
; Kernel info:
; codeLenInByte = 812
; NumSgprs: 11
; NumVgprs: 23
; NumAgprs: 0
; TotalNumVgprs: 23
; ScratchSize: 0
; MemoryBound: 0
; FloatMode: 240
; IeeeMode: 1
; LDSByteSize: 0 bytes/workgroup (compile time only)
; SGPRBlocks: 1
; VGPRBlocks: 2
; NumSGPRsForWavesPerEU: 11
; NumVGPRsForWavesPerEU: 23
; AccumOffset: 24
; Occupancy: 8
; WaveLimiterHint : 0
; COMPUTE_PGM_RSRC2:SCRATCH_EN: 0
; COMPUTE_PGM_RSRC2:USER_SGPR: 6
; COMPUTE_PGM_RSRC2:TRAP_HANDLER: 0
; COMPUTE_PGM_RSRC2:TGID_X_EN: 1
; COMPUTE_PGM_RSRC2:TGID_Y_EN: 0
; COMPUTE_PGM_RSRC2:TGID_Z_EN: 0
; COMPUTE_PGM_RSRC2:TIDIG_COMP_CNT: 0
; COMPUTE_PGM_RSRC3_GFX90A:ACCUM_OFFSET: 5
; COMPUTE_PGM_RSRC3_GFX90A:TG_SPLIT: 0
	.section	.text._ZL22dequantize_block_iq1_mIN3c108BFloat16EEvPKvPT_,"axG",@progbits,_ZL22dequantize_block_iq1_mIN3c108BFloat16EEvPKvPT_,comdat
	.globl	_ZL22dequantize_block_iq1_mIN3c108BFloat16EEvPKvPT_ ; -- Begin function _ZL22dequantize_block_iq1_mIN3c108BFloat16EEvPKvPT_
	.p2align	8
	.type	_ZL22dequantize_block_iq1_mIN3c108BFloat16EEvPKvPT_,@function
_ZL22dequantize_block_iq1_mIN3c108BFloat16EEvPKvPT_: ; @_ZL22dequantize_block_iq1_mIN3c108BFloat16EEvPKvPT_
; %bb.0:
	s_load_dwordx4 s[0:3], s[4:5], 0x0
	s_mov_b32 s7, 0
	s_lshl_b64 s[4:5], s[6:7], 9
	v_and_b32_e32 v4, 7, v0
	v_lshlrev_b32_e32 v2, 1, v4
	s_waitcnt lgkmcnt(0)
	s_add_u32 s4, s2, s4
	s_addc_u32 s5, s3, s5
	s_mul_i32 s3, s6, 56
	s_mul_hi_u32 s2, s6, 56
	s_add_u32 s0, s0, s3
	v_lshrrev_b32_e32 v3, 4, v0
	s_addc_u32 s1, s1, s2
	v_add_co_u32_e32 v5, vcc, v2, v3
	v_addc_co_u32_e64 v3, s[2:3], 0, 0, vcc
	v_mov_b32_e32 v6, s1
	v_add_co_u32_e32 v2, vcc, s0, v5
	v_addc_co_u32_e32 v3, vcc, v6, v3, vcc
	v_lshrrev_b32_e32 v1, 3, v0
	global_load_ubyte v6, v[2:3], off offset:32
	v_lshlrev_b32_e32 v2, 2, v4
	v_add_co_u32_e32 v1, vcc, v2, v1
	v_addc_co_u32_e64 v3, s[2:3], 0, 0, vcc
	v_mov_b32_e32 v7, s1
	v_add_co_u32_e32 v2, vcc, s0, v1
	v_addc_co_u32_e32 v3, vcc, v7, v3, vcc
	global_load_ubyte v1, v[2:3], off
	v_mov_b32_e32 v2, 0
	global_load_dwordx2 v[2:3], v2, s[0:1] offset:48
	v_lshrrev_b32_e32 v8, 1, v0
	v_lshrrev_b32_e32 v7, 1, v5
	v_and_b32_e32 v8, 4, v8
	v_and_b32_e32 v7, 62, v7
	global_load_ushort v7, v7, s[0:1] offset:48
	s_movk_i32 s2, 0x700
	s_getpc_b64 s[0:1]
	s_add_u32 s0, s0, _ZL13iq1s_grid_gpu@rel32@lo+4
	s_addc_u32 s1, s1, _ZL13iq1s_grid_gpu@rel32@hi+12
	v_lshlrev_b32_e32 v4, 6, v4
	v_and_b32_e32 v5, 3, v5
	v_and_b32_e32 v0, 0x3f8, v0
	v_mul_u32_u24_e32 v11, 3, v5
	v_mov_b32_e32 v5, s5
	v_add_co_u32_e32 v4, vcc, s4, v4
	v_lshlrev_b32_e32 v0, 1, v0
	v_addc_co_u32_e32 v5, vcc, 0, v5, vcc
	v_add_co_u32_e32 v4, vcc, v4, v0
	v_addc_co_u32_e32 v5, vcc, 0, v5, vcc
	v_mov_b32_e32 v9, 0xbf900000
	v_mov_b32_e32 v10, 0xbf600000
	;; [unrolled: 1-line block ×3, first 2 shown]
	s_mov_b32 s3, 0x5040100
	s_waitcnt vmcnt(3)
	v_lshrrev_b32_e32 v6, v8, v6
	v_lshlrev_b32_e32 v8, 8, v6
	s_waitcnt vmcnt(2)
	v_and_or_b32 v1, v8, s2, v1
	v_lshlrev_b32_e32 v1, 3, v1
	global_load_dword v1, v1, s[0:1]
	v_mov_b32_e32 v8, 0xffff
	s_waitcnt vmcnt(2)
	v_and_b32_sdwa v0, v8, v2 dst_sel:DWORD dst_unused:UNUSED_PAD src0_sel:DWORD src1_sel:WORD_1
	s_mov_b32 s0, 0x40008
	v_lshl_or_b32 v0, v3, 16, v0
	v_pk_lshrrev_b16 v0, s0, v0
	v_bfe_u32 v2, v2, 12, 4
	v_and_b32_e32 v0, 0xf0000f0, v0
	s_mov_b32 s1, 0xf000
	v_or_b32_e32 v2, v0, v2
	v_and_b32_sdwa v8, v3, s1 dst_sel:DWORD dst_unused:UNUSED_PAD src0_sel:WORD_1 src1_sel:DWORD
	v_or_b32_sdwa v0, v2, v0 dst_sel:DWORD dst_unused:UNUSED_PAD src0_sel:DWORD src1_sel:WORD_1
	v_or_b32_e32 v0, v0, v8
	s_waitcnt vmcnt(1)
	v_lshrrev_b32_e32 v7, v11, v7
	v_cvt_f32_f16_e32 v2, v0
	v_lshlrev_b32_e32 v3, 1, v7
	v_and_or_b32 v3, v3, 14, 1
	v_and_b32_e32 v0, 8, v6
	v_cvt_f32_ubyte0_e32 v3, v3
	v_cmp_eq_u32_e32 vcc, 0, v0
	v_cndmask_b32_e32 v0, v9, v10, vcc
	v_mul_f32_e32 v2, v2, v3
	s_movk_i32 s2, 0x7fff
	s_waitcnt vmcnt(0)
	v_bfe_u32 v6, v1, 8, 4
	v_and_b32_e32 v8, 15, v1
	v_and_b32_e32 v3, 0xf0f0f0f, v1
	v_bfe_u32 v10, v1, 16, 4
	v_lshrrev_b32_e32 v12, 28, v1
	v_bfe_u32 v11, v1, 12, 4
	v_bfe_u32 v13, v1, 4, 4
	;; [unrolled: 1-line block ×3, first 2 shown]
	v_cvt_f32_ubyte0_e32 v7, v6
	v_cvt_f32_ubyte0_e32 v6, v8
	v_pk_add_f32 v[6:7], v[0:1], v[6:7] op_sel_hi:[0,1]
	v_cvt_f32_ubyte3_e32 v9, v3
	v_cvt_f32_ubyte0_e32 v8, v10
	v_cvt_f32_ubyte0_e32 v11, v11
	;; [unrolled: 1-line block ×5, first 2 shown]
	v_pk_mul_f32 v[6:7], v[2:3], v[6:7] op_sel_hi:[0,1]
	v_pk_add_f32 v[8:9], v[0:1], v[8:9] op_sel_hi:[0,1]
	v_pk_add_f32 v[12:13], v[0:1], v[12:13] op_sel_hi:[0,1]
	;; [unrolled: 1-line block ×3, first 2 shown]
	v_bfe_u32 v10, v6, 16, 1
	v_pk_mul_f32 v[8:9], v[2:3], v[8:9] op_sel_hi:[0,1]
	v_bfe_u32 v11, v7, 16, 1
	v_add3_u32 v10, v6, v10, s2
	v_pk_mul_f32 v[0:1], v[2:3], v[0:1] op_sel_hi:[0,1]
	v_pk_mul_f32 v[2:3], v[2:3], v[12:13] op_sel_hi:[0,1]
	v_bfe_u32 v12, v8, 16, 1
	v_add3_u32 v11, v7, v11, s2
	v_lshrrev_b32_e32 v10, 16, v10
	v_cmp_o_f32_e32 vcc, v6, v6
	v_bfe_u32 v13, v9, 16, 1
	v_add3_u32 v12, v8, v12, s2
	v_lshrrev_b32_e32 v11, 16, v11
	v_cndmask_b32_e32 v6, v14, v10, vcc
	v_cmp_o_f32_e32 vcc, v7, v7
	v_bfe_u32 v15, v0, 16, 1
	v_add3_u32 v13, v9, v13, s2
	v_lshrrev_b32_e32 v12, 16, v12
	v_cndmask_b32_e32 v7, v14, v11, vcc
	;; [unrolled: 5-line block ×5, first 2 shown]
	v_cmp_o_f32_e32 vcc, v1, v1
	v_add3_u32 v18, v3, v18, s2
	v_lshrrev_b32_e32 v17, 16, v17
	v_cndmask_b32_e32 v1, v14, v16, vcc
	v_cmp_o_f32_e32 vcc, v2, v2
	v_lshrrev_b32_e32 v18, 16, v18
	v_cndmask_b32_e32 v2, v14, v17, vcc
	v_cmp_o_f32_e32 vcc, v3, v3
	v_cndmask_b32_e32 v3, v14, v18, vcc
	v_perm_b32 v3, v3, v2, s3
	v_perm_b32 v2, v1, v0, s3
	;; [unrolled: 1-line block ×4, first 2 shown]
	global_store_dwordx4 v[4:5], v[0:3], off
	s_endpgm
	.section	.rodata,"a",@progbits
	.p2align	6, 0x0
	.amdhsa_kernel _ZL22dequantize_block_iq1_mIN3c108BFloat16EEvPKvPT_
		.amdhsa_group_segment_fixed_size 0
		.amdhsa_private_segment_fixed_size 0
		.amdhsa_kernarg_size 16
		.amdhsa_user_sgpr_count 6
		.amdhsa_user_sgpr_private_segment_buffer 1
		.amdhsa_user_sgpr_dispatch_ptr 0
		.amdhsa_user_sgpr_queue_ptr 0
		.amdhsa_user_sgpr_kernarg_segment_ptr 1
		.amdhsa_user_sgpr_dispatch_id 0
		.amdhsa_user_sgpr_flat_scratch_init 0
		.amdhsa_user_sgpr_kernarg_preload_length 0
		.amdhsa_user_sgpr_kernarg_preload_offset 0
		.amdhsa_user_sgpr_private_segment_size 0
		.amdhsa_uses_dynamic_stack 0
		.amdhsa_system_sgpr_private_segment_wavefront_offset 0
		.amdhsa_system_sgpr_workgroup_id_x 1
		.amdhsa_system_sgpr_workgroup_id_y 0
		.amdhsa_system_sgpr_workgroup_id_z 0
		.amdhsa_system_sgpr_workgroup_info 0
		.amdhsa_system_vgpr_workitem_id 0
		.amdhsa_next_free_vgpr 19
		.amdhsa_next_free_sgpr 8
		.amdhsa_accum_offset 20
		.amdhsa_reserve_vcc 1
		.amdhsa_reserve_flat_scratch 0
		.amdhsa_float_round_mode_32 0
		.amdhsa_float_round_mode_16_64 0
		.amdhsa_float_denorm_mode_32 3
		.amdhsa_float_denorm_mode_16_64 3
		.amdhsa_dx10_clamp 1
		.amdhsa_ieee_mode 1
		.amdhsa_fp16_overflow 0
		.amdhsa_tg_split 0
		.amdhsa_exception_fp_ieee_invalid_op 0
		.amdhsa_exception_fp_denorm_src 0
		.amdhsa_exception_fp_ieee_div_zero 0
		.amdhsa_exception_fp_ieee_overflow 0
		.amdhsa_exception_fp_ieee_underflow 0
		.amdhsa_exception_fp_ieee_inexact 0
		.amdhsa_exception_int_div_zero 0
	.end_amdhsa_kernel
	.section	.text._ZL22dequantize_block_iq1_mIN3c108BFloat16EEvPKvPT_,"axG",@progbits,_ZL22dequantize_block_iq1_mIN3c108BFloat16EEvPKvPT_,comdat
.Lfunc_end56:
	.size	_ZL22dequantize_block_iq1_mIN3c108BFloat16EEvPKvPT_, .Lfunc_end56-_ZL22dequantize_block_iq1_mIN3c108BFloat16EEvPKvPT_
                                        ; -- End function
	.section	.AMDGPU.csdata,"",@progbits
; Kernel info:
; codeLenInByte = 864
; NumSgprs: 12
; NumVgprs: 19
; NumAgprs: 0
; TotalNumVgprs: 19
; ScratchSize: 0
; MemoryBound: 0
; FloatMode: 240
; IeeeMode: 1
; LDSByteSize: 0 bytes/workgroup (compile time only)
; SGPRBlocks: 1
; VGPRBlocks: 2
; NumSGPRsForWavesPerEU: 12
; NumVGPRsForWavesPerEU: 19
; AccumOffset: 20
; Occupancy: 8
; WaveLimiterHint : 0
; COMPUTE_PGM_RSRC2:SCRATCH_EN: 0
; COMPUTE_PGM_RSRC2:USER_SGPR: 6
; COMPUTE_PGM_RSRC2:TRAP_HANDLER: 0
; COMPUTE_PGM_RSRC2:TGID_X_EN: 1
; COMPUTE_PGM_RSRC2:TGID_Y_EN: 0
; COMPUTE_PGM_RSRC2:TGID_Z_EN: 0
; COMPUTE_PGM_RSRC2:TIDIG_COMP_CNT: 0
; COMPUTE_PGM_RSRC3_GFX90A:ACCUM_OFFSET: 4
; COMPUTE_PGM_RSRC3_GFX90A:TG_SPLIT: 0
	.section	.text._ZL13quantize_q8_1IfEvPKT_Pvii,"axG",@progbits,_ZL13quantize_q8_1IfEvPKT_Pvii,comdat
	.globl	_ZL13quantize_q8_1IfEvPKT_Pvii  ; -- Begin function _ZL13quantize_q8_1IfEvPKT_Pvii
	.p2align	8
	.type	_ZL13quantize_q8_1IfEvPKT_Pvii,@function
_ZL13quantize_q8_1IfEvPKT_Pvii:         ; @_ZL13quantize_q8_1IfEvPKT_Pvii
; %bb.0:
	s_load_dword s2, s[4:5], 0x24
	s_load_dwordx2 s[0:1], s[4:5], 0x10
	s_add_u32 s8, s4, 24
	s_addc_u32 s9, s5, 0
	v_and_b32_e32 v1, 0x3ff, v0
	s_waitcnt lgkmcnt(0)
	s_and_b32 s2, s2, 0xffff
	s_mul_i32 s6, s6, s2
	v_add_u32_e32 v2, s6, v1
	v_cmp_gt_u32_e32 vcc, s1, v2
	s_and_saveexec_b64 s[2:3], vcc
	s_cbranch_execz .LBB57_7
; %bb.1:
	s_load_dword s6, s[8:9], 0xc
	s_load_dwordx2 s[2:3], s[4:5], 0x8
	v_bfe_u32 v0, v0, 10, 10
	v_cmp_gt_u32_e32 vcc, s0, v2
	v_mov_b32_e32 v3, 0
	s_waitcnt lgkmcnt(0)
	s_lshr_b32 s6, s6, 16
	s_mul_i32 s7, s7, s6
	v_add_u32_e32 v0, s7, v0
	v_mov_b32_e32 v1, 0
	s_and_saveexec_b64 s[6:7], vcc
	s_cbranch_execz .LBB57_3
; %bb.2:
	s_load_dwordx2 s[4:5], s[4:5], 0x0
	v_mad_u64_u32 v[4:5], s[8:9], v0, s0, v[2:3]
	v_mov_b32_e32 v5, 0
	v_lshlrev_b64 v[4:5], 2, v[4:5]
	s_waitcnt lgkmcnt(0)
	v_mov_b32_e32 v1, s5
	v_add_co_u32_e32 v4, vcc, s4, v4
	v_addc_co_u32_e32 v5, vcc, v1, v5, vcc
	global_load_dword v1, v[4:5], off
.LBB57_3:
	s_or_b64 exec, exec, s[6:7]
	v_mbcnt_lo_u32_b32 v5, -1, 0
	v_mbcnt_hi_u32_b32 v5, -1, v5
	v_and_b32_e32 v6, 0x60, v5
	v_add_u32_e32 v6, 32, v6
	v_xor_b32_e32 v7, 16, v5
	v_cmp_lt_i32_e32 vcc, v7, v6
	v_cndmask_b32_e32 v7, v5, v7, vcc
	s_waitcnt vmcnt(0)
	v_and_b32_e32 v4, 0x7fffffff, v1
	v_lshlrev_b32_e32 v7, 2, v7
	ds_bpermute_b32 v4, v7, v4
	v_max_f32_e64 v8, |v1|, |v1|
	ds_bpermute_b32 v7, v7, v1
	s_mov_b32 s6, 0x42fe0000
	s_brev_b32 s0, -2
	s_waitcnt lgkmcnt(1)
	v_max_f32_e32 v4, v4, v4
	v_max_f32_e32 v4, v8, v4
	v_xor_b32_e32 v8, 8, v5
	v_cmp_lt_i32_e32 vcc, v8, v6
	v_cndmask_b32_e32 v8, v5, v8, vcc
	v_lshlrev_b32_e32 v8, 2, v8
	ds_bpermute_b32 v9, v8, v4
	s_waitcnt lgkmcnt(1)
	v_add_f32_e32 v7, v1, v7
	ds_bpermute_b32 v8, v8, v7
	s_waitcnt lgkmcnt(1)
	v_max_f32_e32 v9, v9, v9
	v_max_f32_e32 v4, v4, v9
	v_xor_b32_e32 v9, 4, v5
	v_cmp_lt_i32_e32 vcc, v9, v6
	v_cndmask_b32_e32 v9, v5, v9, vcc
	v_lshlrev_b32_e32 v9, 2, v9
	ds_bpermute_b32 v10, v9, v4
	s_waitcnt lgkmcnt(1)
	v_add_f32_e32 v7, v7, v8
	ds_bpermute_b32 v8, v9, v7
	;; [unrolled: 11-line block ×3, first 2 shown]
	s_waitcnt lgkmcnt(1)
	v_max_f32_e32 v9, v11, v11
	v_max_f32_e32 v4, v4, v9
	v_xor_b32_e32 v9, 1, v5
	v_cmp_lt_i32_e32 vcc, v9, v6
	v_cndmask_b32_e32 v5, v5, v9, vcc
	v_lshlrev_b32_e32 v5, 2, v5
	ds_bpermute_b32 v6, v5, v4
	s_waitcnt lgkmcnt(0)
	v_max_f32_e32 v6, v6, v6
	v_max_f32_e32 v9, v4, v6
	v_div_scale_f32 v6, s[4:5], s6, s6, v9
	v_rcp_f32_e32 v10, v6
	v_add_f32_e32 v4, v7, v8
	ds_bpermute_b32 v5, v5, v4
	v_fma_f32 v7, -v6, v10, 1.0
	v_fmac_f32_e32 v10, v7, v10
	v_div_scale_f32 v7, vcc, v9, s6, v9
	v_mul_f32_e32 v8, v7, v10
	v_fma_f32 v11, -v6, v8, v7
	v_fmac_f32_e32 v8, v11, v10
	v_fma_f32 v6, -v6, v8, v7
	v_div_fmas_f32 v6, v6, v10, v8
	v_div_fixup_f32 v6, v6, s6, v9
	v_cmp_neq_f32_e32 vcc, 0, v9
	s_and_saveexec_b64 s[4:5], vcc
	s_cbranch_execz .LBB57_5
; %bb.4:
	v_div_scale_f32 v3, s[6:7], v6, v6, v1
	v_rcp_f32_e32 v7, v3
	v_div_scale_f32 v8, vcc, v1, v6, v1
	v_fma_f32 v9, -v3, v7, 1.0
	v_fmac_f32_e32 v7, v9, v7
	v_mul_f32_e32 v9, v8, v7
	v_fma_f32 v10, -v3, v9, v8
	v_fmac_f32_e32 v9, v10, v7
	v_fma_f32 v3, -v3, v9, v8
	v_div_fmas_f32 v3, v3, v7, v9
	v_div_fixup_f32 v1, v3, v6, v1
	v_trunc_f32_e32 v3, v1
	v_sub_f32_e32 v7, v1, v3
	v_cmp_ge_f32_e64 s[6:7], |v7|, 0.5
	v_cndmask_b32_e64 v7, 0, 1.0, s[6:7]
	v_bfi_b32 v1, s0, v7, v1
	v_add_f32_e32 v1, v3, v1
	v_cvt_i32_f32_e32 v3, v1
.LBB57_5:
	s_or_b64 exec, exec, s[4:5]
	v_mad_u64_u32 v[0:1], s[0:1], v0, s1, v[2:3]
	v_ashrrev_i32_e32 v1, 31, v0
	v_lshrrev_b32_e32 v1, 27, v1
	v_add_u32_e32 v1, v0, v1
	v_ashrrev_i32_e32 v2, 5, v1
	v_and_b32_e32 v1, 0xffffffe0, v1
	v_sub_u32_e32 v7, v0, v1
	v_mad_i64_i32 v[0:1], s[0:1], v2, 36, s[2:3]
	v_ashrrev_i32_e32 v2, 31, v7
	v_add_co_u32_e32 v8, vcc, v0, v7
	v_addc_co_u32_e32 v9, vcc, v1, v2, vcc
	v_cmp_gt_i32_e32 vcc, 1, v7
	global_store_byte v[8:9], v3, off offset:4
	s_and_b64 exec, exec, vcc
	s_cbranch_execz .LBB57_7
; %bb.6:
	s_waitcnt lgkmcnt(0)
	v_add_f32_e32 v2, v4, v5
	v_cvt_f16_f32_e32 v2, v2
	v_cvt_f16_f32_e32 v3, v6
	v_pack_b32_f16 v2, v3, v2
	global_store_dword v[0:1], v2, off
.LBB57_7:
	s_endpgm
	.section	.rodata,"a",@progbits
	.p2align	6, 0x0
	.amdhsa_kernel _ZL13quantize_q8_1IfEvPKT_Pvii
		.amdhsa_group_segment_fixed_size 0
		.amdhsa_private_segment_fixed_size 0
		.amdhsa_kernarg_size 280
		.amdhsa_user_sgpr_count 6
		.amdhsa_user_sgpr_private_segment_buffer 1
		.amdhsa_user_sgpr_dispatch_ptr 0
		.amdhsa_user_sgpr_queue_ptr 0
		.amdhsa_user_sgpr_kernarg_segment_ptr 1
		.amdhsa_user_sgpr_dispatch_id 0
		.amdhsa_user_sgpr_flat_scratch_init 0
		.amdhsa_user_sgpr_kernarg_preload_length 0
		.amdhsa_user_sgpr_kernarg_preload_offset 0
		.amdhsa_user_sgpr_private_segment_size 0
		.amdhsa_uses_dynamic_stack 0
		.amdhsa_system_sgpr_private_segment_wavefront_offset 0
		.amdhsa_system_sgpr_workgroup_id_x 1
		.amdhsa_system_sgpr_workgroup_id_y 1
		.amdhsa_system_sgpr_workgroup_id_z 0
		.amdhsa_system_sgpr_workgroup_info 0
		.amdhsa_system_vgpr_workitem_id 1
		.amdhsa_next_free_vgpr 12
		.amdhsa_next_free_sgpr 10
		.amdhsa_accum_offset 12
		.amdhsa_reserve_vcc 1
		.amdhsa_reserve_flat_scratch 0
		.amdhsa_float_round_mode_32 0
		.amdhsa_float_round_mode_16_64 0
		.amdhsa_float_denorm_mode_32 3
		.amdhsa_float_denorm_mode_16_64 3
		.amdhsa_dx10_clamp 1
		.amdhsa_ieee_mode 1
		.amdhsa_fp16_overflow 0
		.amdhsa_tg_split 0
		.amdhsa_exception_fp_ieee_invalid_op 0
		.amdhsa_exception_fp_denorm_src 0
		.amdhsa_exception_fp_ieee_div_zero 0
		.amdhsa_exception_fp_ieee_overflow 0
		.amdhsa_exception_fp_ieee_underflow 0
		.amdhsa_exception_fp_ieee_inexact 0
		.amdhsa_exception_int_div_zero 0
	.end_amdhsa_kernel
	.section	.text._ZL13quantize_q8_1IfEvPKT_Pvii,"axG",@progbits,_ZL13quantize_q8_1IfEvPKT_Pvii,comdat
.Lfunc_end57:
	.size	_ZL13quantize_q8_1IfEvPKT_Pvii, .Lfunc_end57-_ZL13quantize_q8_1IfEvPKT_Pvii
                                        ; -- End function
	.section	.AMDGPU.csdata,"",@progbits
; Kernel info:
; codeLenInByte = 800
; NumSgprs: 14
; NumVgprs: 12
; NumAgprs: 0
; TotalNumVgprs: 12
; ScratchSize: 0
; MemoryBound: 0
; FloatMode: 240
; IeeeMode: 1
; LDSByteSize: 0 bytes/workgroup (compile time only)
; SGPRBlocks: 1
; VGPRBlocks: 1
; NumSGPRsForWavesPerEU: 14
; NumVGPRsForWavesPerEU: 12
; AccumOffset: 12
; Occupancy: 8
; WaveLimiterHint : 0
; COMPUTE_PGM_RSRC2:SCRATCH_EN: 0
; COMPUTE_PGM_RSRC2:USER_SGPR: 6
; COMPUTE_PGM_RSRC2:TRAP_HANDLER: 0
; COMPUTE_PGM_RSRC2:TGID_X_EN: 1
; COMPUTE_PGM_RSRC2:TGID_Y_EN: 1
; COMPUTE_PGM_RSRC2:TGID_Z_EN: 0
; COMPUTE_PGM_RSRC2:TIDIG_COMP_CNT: 1
; COMPUTE_PGM_RSRC3_GFX90A:ACCUM_OFFSET: 2
; COMPUTE_PGM_RSRC3_GFX90A:TG_SPLIT: 0
	.section	.text._ZL13mul_mat_vec_qIfLi32ELi4E10block_q4_0Li2EXadL_ZL17vec_dot_q4_0_q8_1PKvPK10block_q8_1RKiEEEvS2_S2_PT_iii,"axG",@progbits,_ZL13mul_mat_vec_qIfLi32ELi4E10block_q4_0Li2EXadL_ZL17vec_dot_q4_0_q8_1PKvPK10block_q8_1RKiEEEvS2_S2_PT_iii,comdat
	.globl	_ZL13mul_mat_vec_qIfLi32ELi4E10block_q4_0Li2EXadL_ZL17vec_dot_q4_0_q8_1PKvPK10block_q8_1RKiEEEvS2_S2_PT_iii ; -- Begin function _ZL13mul_mat_vec_qIfLi32ELi4E10block_q4_0Li2EXadL_ZL17vec_dot_q4_0_q8_1PKvPK10block_q8_1RKiEEEvS2_S2_PT_iii
	.p2align	8
	.type	_ZL13mul_mat_vec_qIfLi32ELi4E10block_q4_0Li2EXadL_ZL17vec_dot_q4_0_q8_1PKvPK10block_q8_1RKiEEEvS2_S2_PT_iii,@function
_ZL13mul_mat_vec_qIfLi32ELi4E10block_q4_0Li2EXadL_ZL17vec_dot_q4_0_q8_1PKvPK10block_q8_1RKiEEEvS2_S2_PT_iii: ; @_ZL13mul_mat_vec_qIfLi32ELi4E10block_q4_0Li2EXadL_ZL17vec_dot_q4_0_q8_1PKvPK10block_q8_1RKiEEEvS2_S2_PT_iii
; %bb.0:
	s_load_dword s8, s[4:5], 0x34
	s_load_dwordx4 s[0:3], s[4:5], 0x18
	v_bfe_u32 v1, v0, 10, 10
	s_waitcnt lgkmcnt(0)
	s_lshr_b32 s3, s8, 16
	s_mul_i32 s6, s6, s3
	v_add_u32_e32 v1, s6, v1
	s_cmp_lt_u32 s7, s2
	v_cmp_gt_u32_e32 vcc, s1, v1
	s_cselect_b64 s[2:3], -1, 0
	s_and_b64 s[2:3], s[2:3], vcc
	s_and_saveexec_b64 s[8:9], s[2:3]
	s_cbranch_execz .LBB58_7
; %bb.1:
	s_load_dwordx2 s[2:3], s[4:5], 0x10
	s_ashr_i32 s6, s0, 31
	s_lshr_b32 s6, s6, 27
	s_add_i32 s6, s0, s6
	v_and_b32_e32 v4, 0x3ff, v0
	s_ashr_i32 s6, s6, 5
	v_lshrrev_b32_e32 v6, 1, v4
	v_cmp_gt_u32_e32 vcc, s6, v6
	v_mov_b32_e32 v5, 0
	s_and_saveexec_b64 s[12:13], vcc
	s_cbranch_execz .LBB58_5
; %bb.2:
	s_addk_i32 s0, 0x1ff
	s_load_dwordx4 s[8:11], s[4:5], 0x0
	s_ashr_i32 s4, s0, 31
	s_lshr_b32 s4, s4, 23
	s_add_i32 s0, s0, s4
	s_ashr_i32 s0, s0, 9
	s_mul_i32 s0, s7, s0
	v_lshlrev_b32_e32 v0, 3, v4
	v_mul_lo_u32 v7, v1, s6
	s_lshl_b32 s0, s0, 4
	v_and_b32_e32 v0, 8, v0
	v_mov_b32_e32 v5, 0
	s_mov_b64 s[4:5], 0
	v_mov_b32_e32 v3, 4.0
.LBB58_3:                               ; =>This Inner Loop Header: Depth=1
	v_add_u32_e32 v2, v7, v6
	s_waitcnt lgkmcnt(0)
	v_mad_i64_i32 v[8:9], s[14:15], v2, 18, s[8:9]
	v_add_u32_e32 v10, s0, v6
	v_add_co_u32_e32 v12, vcc, v8, v0
	v_mad_i64_i32 v[10:11], s[14:15], v10, 36, s[10:11]
	v_addc_co_u32_e32 v13, vcc, 0, v9, vcc
	v_add_co_u32_e32 v14, vcc, v10, v0
	v_addc_co_u32_e32 v15, vcc, 0, v11, vcc
	global_load_dwordx2 v[16:17], v[14:15], off offset:4
	global_load_dwordx2 v[18:19], v[14:15], off offset:20
	global_load_dword v2, v[12:13], off offset:2
	global_load_dword v20, v[12:13], off offset:6
	global_load_dword v21, v[10:11], off
	global_load_ushort v22, v[8:9], off
	v_mov_b32_e32 v10, 0
	v_add_u32_e32 v6, 32, v6
	v_cmp_le_u32_e32 vcc, s6, v6
	s_or_b64 s[4:5], vcc, s[4:5]
	s_waitcnt vmcnt(3)
	v_and_b32_e32 v11, 0xf0f0f0f, v2
	v_lshrrev_b32_e32 v2, 4, v2
	v_and_b32_e32 v2, 0xf0f0f0f, v2
	v_dot4c_i32_i8_e32 v10, v11, v16
	s_waitcnt vmcnt(2)
	v_and_b32_e32 v12, 0xf0f0f0f, v20
	v_lshrrev_b32_e32 v13, 4, v20
	v_dot4c_i32_i8_e32 v10, v2, v18
	v_and_b32_e32 v11, 0xf0f0f0f, v13
	v_dot4c_i32_i8_e32 v10, v12, v17
	v_dot4c_i32_i8_e32 v10, v11, v19
	s_waitcnt vmcnt(1)
	v_cvt_f32_f16_e32 v8, v21
	v_cvt_f32_f16_sdwa v9, v21 dst_sel:DWORD dst_unused:UNUSED_PAD src0_sel:WORD_1
	v_cvt_f32_i32_e32 v2, v10
	v_pk_mul_f32 v[8:9], v[2:3], v[8:9]
	v_sub_f32_e32 v2, v8, v9
	s_waitcnt vmcnt(0)
	v_fma_mix_f32 v5, v2, v22, v5 op_sel_hi:[0,1,0]
	s_andn2_b64 exec, exec, s[4:5]
	s_cbranch_execnz .LBB58_3
; %bb.4:
	s_or_b64 exec, exec, s[4:5]
.LBB58_5:
	s_or_b64 exec, exec, s[12:13]
	v_mbcnt_lo_u32_b32 v0, -1, 0
	v_mbcnt_hi_u32_b32 v2, -1, v0
	v_and_b32_e32 v0, 64, v2
	v_add_u32_e32 v3, 64, v0
	v_xor_b32_e32 v0, 32, v2
	v_cmp_lt_i32_e32 vcc, v0, v3
	v_cndmask_b32_e32 v0, v2, v0, vcc
	v_lshlrev_b32_e32 v0, 2, v0
	ds_bpermute_b32 v0, v0, v5
	v_xor_b32_e32 v6, 16, v2
	v_cmp_lt_i32_e32 vcc, v6, v3
	s_waitcnt lgkmcnt(0)
	v_add_f32_e32 v0, v5, v0
	v_cndmask_b32_e32 v5, v2, v6, vcc
	v_lshlrev_b32_e32 v5, 2, v5
	ds_bpermute_b32 v5, v5, v0
	v_xor_b32_e32 v6, 8, v2
	v_cmp_lt_i32_e32 vcc, v6, v3
	s_waitcnt lgkmcnt(0)
	v_add_f32_e32 v0, v0, v5
	;; [unrolled: 7-line block ×4, first 2 shown]
	v_cndmask_b32_e32 v5, v2, v6, vcc
	v_lshlrev_b32_e32 v5, 2, v5
	ds_bpermute_b32 v5, v5, v0
	v_xor_b32_e32 v6, 1, v2
	v_cmp_lt_i32_e32 vcc, v6, v3
	v_cndmask_b32_e32 v2, v2, v6, vcc
	v_lshlrev_b32_e32 v2, 2, v2
	s_waitcnt lgkmcnt(0)
	v_add_f32_e32 v0, v0, v5
	ds_bpermute_b32 v2, v2, v0
	v_cmp_eq_u32_e32 vcc, 0, v4
	s_and_b64 exec, exec, vcc
	s_cbranch_execz .LBB58_7
; %bb.6:
	s_mul_i32 s7, s7, s1
	s_waitcnt lgkmcnt(0)
	v_add_f32_e32 v2, v0, v2
	v_add_u32_e32 v0, s7, v1
	v_mov_b32_e32 v1, 0
	v_lshlrev_b64 v[0:1], 2, v[0:1]
	v_mov_b32_e32 v3, s3
	v_add_co_u32_e32 v0, vcc, s2, v0
	v_addc_co_u32_e32 v1, vcc, v3, v1, vcc
	global_store_dword v[0:1], v2, off
.LBB58_7:
	s_endpgm
	.section	.rodata,"a",@progbits
	.p2align	6, 0x0
	.amdhsa_kernel _ZL13mul_mat_vec_qIfLi32ELi4E10block_q4_0Li2EXadL_ZL17vec_dot_q4_0_q8_1PKvPK10block_q8_1RKiEEEvS2_S2_PT_iii
		.amdhsa_group_segment_fixed_size 0
		.amdhsa_private_segment_fixed_size 0
		.amdhsa_kernarg_size 296
		.amdhsa_user_sgpr_count 6
		.amdhsa_user_sgpr_private_segment_buffer 1
		.amdhsa_user_sgpr_dispatch_ptr 0
		.amdhsa_user_sgpr_queue_ptr 0
		.amdhsa_user_sgpr_kernarg_segment_ptr 1
		.amdhsa_user_sgpr_dispatch_id 0
		.amdhsa_user_sgpr_flat_scratch_init 0
		.amdhsa_user_sgpr_kernarg_preload_length 0
		.amdhsa_user_sgpr_kernarg_preload_offset 0
		.amdhsa_user_sgpr_private_segment_size 0
		.amdhsa_uses_dynamic_stack 0
		.amdhsa_system_sgpr_private_segment_wavefront_offset 0
		.amdhsa_system_sgpr_workgroup_id_x 1
		.amdhsa_system_sgpr_workgroup_id_y 1
		.amdhsa_system_sgpr_workgroup_id_z 0
		.amdhsa_system_sgpr_workgroup_info 0
		.amdhsa_system_vgpr_workitem_id 1
		.amdhsa_next_free_vgpr 23
		.amdhsa_next_free_sgpr 16
		.amdhsa_accum_offset 24
		.amdhsa_reserve_vcc 1
		.amdhsa_reserve_flat_scratch 0
		.amdhsa_float_round_mode_32 0
		.amdhsa_float_round_mode_16_64 0
		.amdhsa_float_denorm_mode_32 3
		.amdhsa_float_denorm_mode_16_64 3
		.amdhsa_dx10_clamp 1
		.amdhsa_ieee_mode 1
		.amdhsa_fp16_overflow 0
		.amdhsa_tg_split 0
		.amdhsa_exception_fp_ieee_invalid_op 0
		.amdhsa_exception_fp_denorm_src 0
		.amdhsa_exception_fp_ieee_div_zero 0
		.amdhsa_exception_fp_ieee_overflow 0
		.amdhsa_exception_fp_ieee_underflow 0
		.amdhsa_exception_fp_ieee_inexact 0
		.amdhsa_exception_int_div_zero 0
	.end_amdhsa_kernel
	.section	.text._ZL13mul_mat_vec_qIfLi32ELi4E10block_q4_0Li2EXadL_ZL17vec_dot_q4_0_q8_1PKvPK10block_q8_1RKiEEEvS2_S2_PT_iii,"axG",@progbits,_ZL13mul_mat_vec_qIfLi32ELi4E10block_q4_0Li2EXadL_ZL17vec_dot_q4_0_q8_1PKvPK10block_q8_1RKiEEEvS2_S2_PT_iii,comdat
.Lfunc_end58:
	.size	_ZL13mul_mat_vec_qIfLi32ELi4E10block_q4_0Li2EXadL_ZL17vec_dot_q4_0_q8_1PKvPK10block_q8_1RKiEEEvS2_S2_PT_iii, .Lfunc_end58-_ZL13mul_mat_vec_qIfLi32ELi4E10block_q4_0Li2EXadL_ZL17vec_dot_q4_0_q8_1PKvPK10block_q8_1RKiEEEvS2_S2_PT_iii
                                        ; -- End function
	.section	.AMDGPU.csdata,"",@progbits
; Kernel info:
; codeLenInByte = 684
; NumSgprs: 20
; NumVgprs: 23
; NumAgprs: 0
; TotalNumVgprs: 23
; ScratchSize: 0
; MemoryBound: 0
; FloatMode: 240
; IeeeMode: 1
; LDSByteSize: 0 bytes/workgroup (compile time only)
; SGPRBlocks: 2
; VGPRBlocks: 2
; NumSGPRsForWavesPerEU: 20
; NumVGPRsForWavesPerEU: 23
; AccumOffset: 24
; Occupancy: 8
; WaveLimiterHint : 0
; COMPUTE_PGM_RSRC2:SCRATCH_EN: 0
; COMPUTE_PGM_RSRC2:USER_SGPR: 6
; COMPUTE_PGM_RSRC2:TRAP_HANDLER: 0
; COMPUTE_PGM_RSRC2:TGID_X_EN: 1
; COMPUTE_PGM_RSRC2:TGID_Y_EN: 1
; COMPUTE_PGM_RSRC2:TGID_Z_EN: 0
; COMPUTE_PGM_RSRC2:TIDIG_COMP_CNT: 1
; COMPUTE_PGM_RSRC3_GFX90A:ACCUM_OFFSET: 5
; COMPUTE_PGM_RSRC3_GFX90A:TG_SPLIT: 0
	.section	.text._ZL13mul_mat_vec_qIfLi32ELi4E10block_q4_1Li2EXadL_ZL17vec_dot_q4_1_q8_1PKvPK10block_q8_1RKiEEEvS2_S2_PT_iii,"axG",@progbits,_ZL13mul_mat_vec_qIfLi32ELi4E10block_q4_1Li2EXadL_ZL17vec_dot_q4_1_q8_1PKvPK10block_q8_1RKiEEEvS2_S2_PT_iii,comdat
	.globl	_ZL13mul_mat_vec_qIfLi32ELi4E10block_q4_1Li2EXadL_ZL17vec_dot_q4_1_q8_1PKvPK10block_q8_1RKiEEEvS2_S2_PT_iii ; -- Begin function _ZL13mul_mat_vec_qIfLi32ELi4E10block_q4_1Li2EXadL_ZL17vec_dot_q4_1_q8_1PKvPK10block_q8_1RKiEEEvS2_S2_PT_iii
	.p2align	8
	.type	_ZL13mul_mat_vec_qIfLi32ELi4E10block_q4_1Li2EXadL_ZL17vec_dot_q4_1_q8_1PKvPK10block_q8_1RKiEEEvS2_S2_PT_iii,@function
_ZL13mul_mat_vec_qIfLi32ELi4E10block_q4_1Li2EXadL_ZL17vec_dot_q4_1_q8_1PKvPK10block_q8_1RKiEEEvS2_S2_PT_iii: ; @_ZL13mul_mat_vec_qIfLi32ELi4E10block_q4_1Li2EXadL_ZL17vec_dot_q4_1_q8_1PKvPK10block_q8_1RKiEEEvS2_S2_PT_iii
; %bb.0:
	s_load_dword s8, s[4:5], 0x34
	s_load_dwordx4 s[0:3], s[4:5], 0x18
	v_bfe_u32 v1, v0, 10, 10
	s_waitcnt lgkmcnt(0)
	s_lshr_b32 s3, s8, 16
	s_mul_i32 s6, s6, s3
	v_add_u32_e32 v1, s6, v1
	s_cmp_lt_u32 s7, s2
	v_cmp_gt_u32_e32 vcc, s1, v1
	s_cselect_b64 s[2:3], -1, 0
	s_and_b64 s[2:3], s[2:3], vcc
	s_and_saveexec_b64 s[8:9], s[2:3]
	s_cbranch_execz .LBB59_7
; %bb.1:
	s_load_dwordx2 s[2:3], s[4:5], 0x10
	s_ashr_i32 s6, s0, 31
	s_lshr_b32 s6, s6, 27
	s_add_i32 s6, s0, s6
	v_and_b32_e32 v2, 0x3ff, v0
	s_ashr_i32 s6, s6, 5
	v_lshrrev_b32_e32 v4, 1, v2
	v_cmp_gt_u32_e32 vcc, s6, v4
	v_mov_b32_e32 v3, 0
	s_and_saveexec_b64 s[12:13], vcc
	s_cbranch_execz .LBB59_5
; %bb.2:
	s_addk_i32 s0, 0x1ff
	s_load_dwordx4 s[8:11], s[4:5], 0x0
	s_ashr_i32 s4, s0, 31
	s_lshr_b32 s4, s4, 23
	s_add_i32 s0, s0, s4
	s_ashr_i32 s0, s0, 9
	s_mul_i32 s0, s7, s0
	v_lshlrev_b32_e32 v0, 3, v2
	v_mul_lo_u32 v5, v1, s6
	s_lshl_b32 s0, s0, 4
	v_and_b32_e32 v0, 8, v0
	v_mov_b32_e32 v3, 0
	s_mov_b64 s[4:5], 0
	s_mov_b32 s14, 0.5
.LBB59_3:                               ; =>This Inner Loop Header: Depth=1
	v_add_u32_e32 v6, v5, v4
	s_waitcnt lgkmcnt(0)
	v_mad_i64_i32 v[6:7], s[16:17], v6, 20, s[8:9]
	v_add_u32_e32 v8, s0, v4
	v_add_co_u32_e32 v10, vcc, v6, v0
	v_mad_i64_i32 v[8:9], s[16:17], v8, 36, s[10:11]
	v_addc_co_u32_e32 v11, vcc, 0, v7, vcc
	v_add_co_u32_e32 v12, vcc, v8, v0
	v_addc_co_u32_e32 v13, vcc, 0, v9, vcc
	global_load_dword v20, v[6:7], off
	global_load_dwordx2 v[14:15], v[10:11], off offset:4
	global_load_dwordx2 v[16:17], v[12:13], off offset:4
	;; [unrolled: 1-line block ×3, first 2 shown]
	global_load_dword v21, v[8:9], off
	v_mov_b32_e32 v6, 0
	v_add_u32_e32 v4, 32, v4
	v_cmp_le_u32_e32 vcc, s6, v4
	s_or_b64 s[4:5], vcc, s[4:5]
	s_waitcnt vmcnt(3)
	v_and_b32_e32 v8, 0xf0f0f0f, v14
	v_lshrrev_b32_e32 v9, 4, v14
	v_and_b32_e32 v9, 0xf0f0f0f, v9
	s_waitcnt vmcnt(2)
	v_dot4c_i32_i8_e32 v6, v8, v16
	v_and_b32_e32 v10, 0xf0f0f0f, v15
	v_lshrrev_b32_e32 v11, 4, v15
	s_waitcnt vmcnt(1)
	v_dot4c_i32_i8_e32 v6, v9, v18
	v_and_b32_e32 v8, 0xf0f0f0f, v11
	v_dot4c_i32_i8_e32 v6, v10, v17
	s_waitcnt vmcnt(0)
	v_pk_mul_f16 v7, v20, v21
	v_dot4c_i32_i8_e32 v6, v8, v19
	v_cvt_f32_f16_e32 v12, v7
	s_nop 1
	v_cvt_f32_i32_e32 v6, v6
	v_mul_f32_e32 v6, v6, v12
	v_fma_mix_f32 v6, v7, s14, v6 op_sel:[1,0,0] op_sel_hi:[1,0,0]
	v_add_f32_e32 v3, v3, v6
	s_andn2_b64 exec, exec, s[4:5]
	s_cbranch_execnz .LBB59_3
; %bb.4:
	s_or_b64 exec, exec, s[4:5]
.LBB59_5:
	s_or_b64 exec, exec, s[12:13]
	v_mbcnt_lo_u32_b32 v0, -1, 0
	v_mbcnt_hi_u32_b32 v4, -1, v0
	v_and_b32_e32 v0, 64, v4
	v_add_u32_e32 v5, 64, v0
	v_xor_b32_e32 v0, 32, v4
	v_cmp_lt_i32_e32 vcc, v0, v5
	v_cndmask_b32_e32 v0, v4, v0, vcc
	v_lshlrev_b32_e32 v0, 2, v0
	ds_bpermute_b32 v0, v0, v3
	v_xor_b32_e32 v6, 16, v4
	v_cmp_lt_i32_e32 vcc, v6, v5
	s_waitcnt lgkmcnt(0)
	v_add_f32_e32 v0, v3, v0
	v_cndmask_b32_e32 v3, v4, v6, vcc
	v_lshlrev_b32_e32 v3, 2, v3
	ds_bpermute_b32 v3, v3, v0
	v_xor_b32_e32 v6, 8, v4
	v_cmp_lt_i32_e32 vcc, v6, v5
	s_waitcnt lgkmcnt(0)
	v_add_f32_e32 v0, v0, v3
	;; [unrolled: 7-line block ×5, first 2 shown]
	v_cndmask_b32_e32 v3, v4, v6, vcc
	v_lshlrev_b32_e32 v3, 2, v3
	ds_bpermute_b32 v3, v3, v0
	v_cmp_eq_u32_e32 vcc, 0, v2
	s_and_b64 exec, exec, vcc
	s_cbranch_execz .LBB59_7
; %bb.6:
	s_mul_i32 s7, s7, s1
	s_waitcnt lgkmcnt(0)
	v_add_f32_e32 v2, v0, v3
	v_add_u32_e32 v0, s7, v1
	v_mov_b32_e32 v1, 0
	v_lshlrev_b64 v[0:1], 2, v[0:1]
	v_mov_b32_e32 v3, s3
	v_add_co_u32_e32 v0, vcc, s2, v0
	v_addc_co_u32_e32 v1, vcc, v3, v1, vcc
	global_store_dword v[0:1], v2, off
.LBB59_7:
	s_endpgm
	.section	.rodata,"a",@progbits
	.p2align	6, 0x0
	.amdhsa_kernel _ZL13mul_mat_vec_qIfLi32ELi4E10block_q4_1Li2EXadL_ZL17vec_dot_q4_1_q8_1PKvPK10block_q8_1RKiEEEvS2_S2_PT_iii
		.amdhsa_group_segment_fixed_size 0
		.amdhsa_private_segment_fixed_size 0
		.amdhsa_kernarg_size 296
		.amdhsa_user_sgpr_count 6
		.amdhsa_user_sgpr_private_segment_buffer 1
		.amdhsa_user_sgpr_dispatch_ptr 0
		.amdhsa_user_sgpr_queue_ptr 0
		.amdhsa_user_sgpr_kernarg_segment_ptr 1
		.amdhsa_user_sgpr_dispatch_id 0
		.amdhsa_user_sgpr_flat_scratch_init 0
		.amdhsa_user_sgpr_kernarg_preload_length 0
		.amdhsa_user_sgpr_kernarg_preload_offset 0
		.amdhsa_user_sgpr_private_segment_size 0
		.amdhsa_uses_dynamic_stack 0
		.amdhsa_system_sgpr_private_segment_wavefront_offset 0
		.amdhsa_system_sgpr_workgroup_id_x 1
		.amdhsa_system_sgpr_workgroup_id_y 1
		.amdhsa_system_sgpr_workgroup_id_z 0
		.amdhsa_system_sgpr_workgroup_info 0
		.amdhsa_system_vgpr_workitem_id 1
		.amdhsa_next_free_vgpr 22
		.amdhsa_next_free_sgpr 18
		.amdhsa_accum_offset 24
		.amdhsa_reserve_vcc 1
		.amdhsa_reserve_flat_scratch 0
		.amdhsa_float_round_mode_32 0
		.amdhsa_float_round_mode_16_64 0
		.amdhsa_float_denorm_mode_32 3
		.amdhsa_float_denorm_mode_16_64 3
		.amdhsa_dx10_clamp 1
		.amdhsa_ieee_mode 1
		.amdhsa_fp16_overflow 0
		.amdhsa_tg_split 0
		.amdhsa_exception_fp_ieee_invalid_op 0
		.amdhsa_exception_fp_denorm_src 0
		.amdhsa_exception_fp_ieee_div_zero 0
		.amdhsa_exception_fp_ieee_overflow 0
		.amdhsa_exception_fp_ieee_underflow 0
		.amdhsa_exception_fp_ieee_inexact 0
		.amdhsa_exception_int_div_zero 0
	.end_amdhsa_kernel
	.section	.text._ZL13mul_mat_vec_qIfLi32ELi4E10block_q4_1Li2EXadL_ZL17vec_dot_q4_1_q8_1PKvPK10block_q8_1RKiEEEvS2_S2_PT_iii,"axG",@progbits,_ZL13mul_mat_vec_qIfLi32ELi4E10block_q4_1Li2EXadL_ZL17vec_dot_q4_1_q8_1PKvPK10block_q8_1RKiEEEvS2_S2_PT_iii,comdat
.Lfunc_end59:
	.size	_ZL13mul_mat_vec_qIfLi32ELi4E10block_q4_1Li2EXadL_ZL17vec_dot_q4_1_q8_1PKvPK10block_q8_1RKiEEEvS2_S2_PT_iii, .Lfunc_end59-_ZL13mul_mat_vec_qIfLi32ELi4E10block_q4_1Li2EXadL_ZL17vec_dot_q4_1_q8_1PKvPK10block_q8_1RKiEEEvS2_S2_PT_iii
                                        ; -- End function
	.section	.AMDGPU.csdata,"",@progbits
; Kernel info:
; codeLenInByte = 676
; NumSgprs: 22
; NumVgprs: 22
; NumAgprs: 0
; TotalNumVgprs: 22
; ScratchSize: 0
; MemoryBound: 0
; FloatMode: 240
; IeeeMode: 1
; LDSByteSize: 0 bytes/workgroup (compile time only)
; SGPRBlocks: 2
; VGPRBlocks: 2
; NumSGPRsForWavesPerEU: 22
; NumVGPRsForWavesPerEU: 22
; AccumOffset: 24
; Occupancy: 8
; WaveLimiterHint : 0
; COMPUTE_PGM_RSRC2:SCRATCH_EN: 0
; COMPUTE_PGM_RSRC2:USER_SGPR: 6
; COMPUTE_PGM_RSRC2:TRAP_HANDLER: 0
; COMPUTE_PGM_RSRC2:TGID_X_EN: 1
; COMPUTE_PGM_RSRC2:TGID_Y_EN: 1
; COMPUTE_PGM_RSRC2:TGID_Z_EN: 0
; COMPUTE_PGM_RSRC2:TIDIG_COMP_CNT: 1
; COMPUTE_PGM_RSRC3_GFX90A:ACCUM_OFFSET: 5
; COMPUTE_PGM_RSRC3_GFX90A:TG_SPLIT: 0
	.section	.text._ZL13mul_mat_vec_qIfLi32ELi4E10block_q5_0Li2EXadL_ZL17vec_dot_q5_0_q8_1PKvPK10block_q8_1RKiEEEvS2_S2_PT_iii,"axG",@progbits,_ZL13mul_mat_vec_qIfLi32ELi4E10block_q5_0Li2EXadL_ZL17vec_dot_q5_0_q8_1PKvPK10block_q8_1RKiEEEvS2_S2_PT_iii,comdat
	.globl	_ZL13mul_mat_vec_qIfLi32ELi4E10block_q5_0Li2EXadL_ZL17vec_dot_q5_0_q8_1PKvPK10block_q8_1RKiEEEvS2_S2_PT_iii ; -- Begin function _ZL13mul_mat_vec_qIfLi32ELi4E10block_q5_0Li2EXadL_ZL17vec_dot_q5_0_q8_1PKvPK10block_q8_1RKiEEEvS2_S2_PT_iii
	.p2align	8
	.type	_ZL13mul_mat_vec_qIfLi32ELi4E10block_q5_0Li2EXadL_ZL17vec_dot_q5_0_q8_1PKvPK10block_q8_1RKiEEEvS2_S2_PT_iii,@function
_ZL13mul_mat_vec_qIfLi32ELi4E10block_q5_0Li2EXadL_ZL17vec_dot_q5_0_q8_1PKvPK10block_q8_1RKiEEEvS2_S2_PT_iii: ; @_ZL13mul_mat_vec_qIfLi32ELi4E10block_q5_0Li2EXadL_ZL17vec_dot_q5_0_q8_1PKvPK10block_q8_1RKiEEEvS2_S2_PT_iii
; %bb.0:
	s_load_dword s8, s[4:5], 0x34
	s_load_dwordx4 s[0:3], s[4:5], 0x18
	v_bfe_u32 v1, v0, 10, 10
	s_waitcnt lgkmcnt(0)
	s_lshr_b32 s3, s8, 16
	s_mul_i32 s6, s6, s3
	v_add_u32_e32 v1, s6, v1
	s_cmp_lt_u32 s7, s2
	v_cmp_gt_u32_e32 vcc, s1, v1
	s_cselect_b64 s[2:3], -1, 0
	s_and_b64 s[2:3], s[2:3], vcc
	s_and_saveexec_b64 s[8:9], s[2:3]
	s_cbranch_execz .LBB60_7
; %bb.1:
	s_load_dwordx2 s[2:3], s[4:5], 0x10
	s_ashr_i32 s6, s0, 31
	s_lshr_b32 s6, s6, 27
	s_add_i32 s6, s0, s6
	v_and_b32_e32 v4, 0x3ff, v0
	s_ashr_i32 s6, s6, 5
	v_lshrrev_b32_e32 v6, 1, v4
	v_cmp_gt_u32_e32 vcc, s6, v6
	v_mov_b32_e32 v5, 0
	s_and_saveexec_b64 s[12:13], vcc
	s_cbranch_execz .LBB60_5
; %bb.2:
	s_addk_i32 s0, 0x1ff
	s_load_dwordx4 s[8:11], s[4:5], 0x0
	s_ashr_i32 s4, s0, 31
	s_lshr_b32 s4, s4, 23
	s_add_i32 s0, s0, s4
	s_ashr_i32 s0, s0, 9
	v_lshlrev_b32_e32 v0, 3, v4
	s_mul_i32 s0, s7, s0
	v_and_b32_e32 v0, 8, v0
	v_mul_lo_u32 v7, v1, s6
	s_lshl_b32 s0, s0, 4
	v_mov_b32_e32 v5, 0
	v_or_b32_e32 v8, 4, v0
	s_mov_b64 s[4:5], 0
	s_mov_b32 s14, 0x1000706
	v_mov_b32_e32 v3, 0x41000000
.LBB60_3:                               ; =>This Inner Loop Header: Depth=1
	v_add_u32_e32 v2, v7, v6
	v_add_u32_e32 v9, s0, v6
	s_waitcnt lgkmcnt(0)
	v_mad_i64_i32 v[10:11], s[16:17], v2, 22, s[8:9]
	v_mad_i64_i32 v[12:13], s[16:17], v9, 36, s[10:11]
	global_load_dword v9, v[10:11], off
	global_load_ushort v2, v[10:11], off offset:4
	v_add_co_u32_e32 v10, vcc, v10, v0
	v_addc_co_u32_e32 v11, vcc, 0, v11, vcc
	v_add_co_u32_e32 v14, vcc, v12, v0
	v_addc_co_u32_e32 v15, vcc, 0, v13, vcc
	global_load_dwordx2 v[16:17], v[14:15], off offset:4
	global_load_dwordx2 v[18:19], v[14:15], off offset:20
	global_load_dword v20, v[10:11], off offset:6
	global_load_dword v21, v[10:11], off offset:10
	global_load_dword v22, v[12:13], off
	v_mov_b32_e32 v12, 0
	v_add_u32_e32 v6, 32, v6
	v_cmp_le_u32_e32 vcc, s6, v6
	s_or_b64 s[4:5], vcc, s[4:5]
	s_waitcnt vmcnt(5)
	v_perm_b32 v2, v9, v2, s14
	v_ashrrev_i32_e32 v13, v0, v2
	v_lshlrev_b32_e32 v23, 11, v13
	v_ashrrev_i32_e32 v2, v8, v2
	v_lshlrev_b32_e32 v24, 18, v13
	v_lshlrev_b32_e32 v25, 25, v13
	v_lshrrev_b32_e32 v26, 12, v13
	s_waitcnt vmcnt(2)
	v_and_b32_e32 v14, 0xf0f0f0f, v20
	v_lshrrev_b32_e32 v27, 5, v13
	s_waitcnt vmcnt(0)
	v_cvt_f32_f16_e32 v10, v22
	v_cvt_f32_f16_sdwa v11, v22 dst_sel:DWORD dst_unused:UNUSED_PAD src0_sel:WORD_1
	v_lshlrev_b32_e32 v22, 4, v13
	v_lshlrev_b32_e32 v28, 2, v13
	v_and_b32_e32 v22, 16, v22
	v_and_b32_e32 v23, 0x1000, v23
	v_lshrrev_b32_e32 v15, 4, v20
	v_lshlrev_b32_e32 v13, 9, v13
	v_lshlrev_b32_e32 v29, 4, v2
	;; [unrolled: 1-line block ×4, first 2 shown]
	v_and_b32_e32 v24, 0x100000, v24
	v_and_b32_e32 v25, 0x10000000, v25
	;; [unrolled: 1-line block ×5, first 2 shown]
	v_or3_b32 v14, v22, v14, v23
	v_and_b32_e32 v15, 0xf0f0f0f, v15
	v_lshlrev_b32_e32 v32, 25, v2
	v_lshrrev_b32_e32 v33, 12, v2
	v_lshrrev_b32_e32 v34, 5, v2
	v_lshlrev_b32_e32 v35, 2, v2
	v_and_b32_e32 v13, 0x10000000, v13
	v_and_b32_e32 v29, 16, v29
	;; [unrolled: 1-line block ×4, first 2 shown]
	v_or3_b32 v22, v27, v26, v28
	v_or3_b32 v14, v14, v24, v25
	v_and_b32_e32 v20, 0xf0f0f0f, v21
	v_lshrrev_b32_e32 v21, 4, v21
	v_lshlrev_b32_e32 v2, 9, v2
	v_and_b32_e32 v32, 0x10000000, v32
	v_and_b32_e32 v33, 16, v33
	;; [unrolled: 1-line block ×4, first 2 shown]
	v_or3_b32 v23, v30, v29, v31
	v_or3_b32 v13, v22, v13, v15
	v_dot4c_i32_i8_e32 v12, v14, v16
	v_and_b32_e32 v21, 0xf0f0f0f, v21
	v_and_b32_e32 v2, 0x10000000, v2
	v_or3_b32 v26, v34, v33, v35
	v_or3_b32 v15, v23, v32, v20
	v_dot4c_i32_i8_e32 v12, v13, v18
	v_or3_b32 v2, v26, v2, v21
	v_dot4c_i32_i8_e32 v12, v15, v17
	v_dot4c_i32_i8_e32 v12, v2, v19
	s_nop 2
	v_cvt_f32_i32_e32 v2, v12
	v_pk_mul_f32 v[10:11], v[2:3], v[10:11]
	v_sub_f32_e32 v2, v10, v11
	v_fma_mix_f32 v5, v2, v9, v5 op_sel_hi:[0,1,0]
	s_andn2_b64 exec, exec, s[4:5]
	s_cbranch_execnz .LBB60_3
; %bb.4:
	s_or_b64 exec, exec, s[4:5]
.LBB60_5:
	s_or_b64 exec, exec, s[12:13]
	v_mbcnt_lo_u32_b32 v0, -1, 0
	v_mbcnt_hi_u32_b32 v2, -1, v0
	v_and_b32_e32 v0, 64, v2
	v_add_u32_e32 v3, 64, v0
	v_xor_b32_e32 v0, 32, v2
	v_cmp_lt_i32_e32 vcc, v0, v3
	v_cndmask_b32_e32 v0, v2, v0, vcc
	v_lshlrev_b32_e32 v0, 2, v0
	ds_bpermute_b32 v0, v0, v5
	v_xor_b32_e32 v6, 16, v2
	v_cmp_lt_i32_e32 vcc, v6, v3
	s_waitcnt lgkmcnt(0)
	v_add_f32_e32 v0, v5, v0
	v_cndmask_b32_e32 v5, v2, v6, vcc
	v_lshlrev_b32_e32 v5, 2, v5
	ds_bpermute_b32 v5, v5, v0
	v_xor_b32_e32 v6, 8, v2
	v_cmp_lt_i32_e32 vcc, v6, v3
	s_waitcnt lgkmcnt(0)
	v_add_f32_e32 v0, v0, v5
	;; [unrolled: 7-line block ×4, first 2 shown]
	v_cndmask_b32_e32 v5, v2, v6, vcc
	v_lshlrev_b32_e32 v5, 2, v5
	ds_bpermute_b32 v5, v5, v0
	v_xor_b32_e32 v6, 1, v2
	v_cmp_lt_i32_e32 vcc, v6, v3
	v_cndmask_b32_e32 v2, v2, v6, vcc
	v_lshlrev_b32_e32 v2, 2, v2
	s_waitcnt lgkmcnt(0)
	v_add_f32_e32 v0, v0, v5
	ds_bpermute_b32 v2, v2, v0
	v_cmp_eq_u32_e32 vcc, 0, v4
	s_and_b64 exec, exec, vcc
	s_cbranch_execz .LBB60_7
; %bb.6:
	s_mul_i32 s7, s7, s1
	s_waitcnt lgkmcnt(0)
	v_add_f32_e32 v2, v0, v2
	v_add_u32_e32 v0, s7, v1
	v_mov_b32_e32 v1, 0
	v_lshlrev_b64 v[0:1], 2, v[0:1]
	v_mov_b32_e32 v3, s3
	v_add_co_u32_e32 v0, vcc, s2, v0
	v_addc_co_u32_e32 v1, vcc, v3, v1, vcc
	global_store_dword v[0:1], v2, off
.LBB60_7:
	s_endpgm
	.section	.rodata,"a",@progbits
	.p2align	6, 0x0
	.amdhsa_kernel _ZL13mul_mat_vec_qIfLi32ELi4E10block_q5_0Li2EXadL_ZL17vec_dot_q5_0_q8_1PKvPK10block_q8_1RKiEEEvS2_S2_PT_iii
		.amdhsa_group_segment_fixed_size 0
		.amdhsa_private_segment_fixed_size 0
		.amdhsa_kernarg_size 296
		.amdhsa_user_sgpr_count 6
		.amdhsa_user_sgpr_private_segment_buffer 1
		.amdhsa_user_sgpr_dispatch_ptr 0
		.amdhsa_user_sgpr_queue_ptr 0
		.amdhsa_user_sgpr_kernarg_segment_ptr 1
		.amdhsa_user_sgpr_dispatch_id 0
		.amdhsa_user_sgpr_flat_scratch_init 0
		.amdhsa_user_sgpr_kernarg_preload_length 0
		.amdhsa_user_sgpr_kernarg_preload_offset 0
		.amdhsa_user_sgpr_private_segment_size 0
		.amdhsa_uses_dynamic_stack 0
		.amdhsa_system_sgpr_private_segment_wavefront_offset 0
		.amdhsa_system_sgpr_workgroup_id_x 1
		.amdhsa_system_sgpr_workgroup_id_y 1
		.amdhsa_system_sgpr_workgroup_id_z 0
		.amdhsa_system_sgpr_workgroup_info 0
		.amdhsa_system_vgpr_workitem_id 1
		.amdhsa_next_free_vgpr 36
		.amdhsa_next_free_sgpr 18
		.amdhsa_accum_offset 36
		.amdhsa_reserve_vcc 1
		.amdhsa_reserve_flat_scratch 0
		.amdhsa_float_round_mode_32 0
		.amdhsa_float_round_mode_16_64 0
		.amdhsa_float_denorm_mode_32 3
		.amdhsa_float_denorm_mode_16_64 3
		.amdhsa_dx10_clamp 1
		.amdhsa_ieee_mode 1
		.amdhsa_fp16_overflow 0
		.amdhsa_tg_split 0
		.amdhsa_exception_fp_ieee_invalid_op 0
		.amdhsa_exception_fp_denorm_src 0
		.amdhsa_exception_fp_ieee_div_zero 0
		.amdhsa_exception_fp_ieee_overflow 0
		.amdhsa_exception_fp_ieee_underflow 0
		.amdhsa_exception_fp_ieee_inexact 0
		.amdhsa_exception_int_div_zero 0
	.end_amdhsa_kernel
	.section	.text._ZL13mul_mat_vec_qIfLi32ELi4E10block_q5_0Li2EXadL_ZL17vec_dot_q5_0_q8_1PKvPK10block_q8_1RKiEEEvS2_S2_PT_iii,"axG",@progbits,_ZL13mul_mat_vec_qIfLi32ELi4E10block_q5_0Li2EXadL_ZL17vec_dot_q5_0_q8_1PKvPK10block_q8_1RKiEEEvS2_S2_PT_iii,comdat
.Lfunc_end60:
	.size	_ZL13mul_mat_vec_qIfLi32ELi4E10block_q5_0Li2EXadL_ZL17vec_dot_q5_0_q8_1PKvPK10block_q8_1RKiEEEvS2_S2_PT_iii, .Lfunc_end60-_ZL13mul_mat_vec_qIfLi32ELi4E10block_q5_0Li2EXadL_ZL17vec_dot_q5_0_q8_1PKvPK10block_q8_1RKiEEEvS2_S2_PT_iii
                                        ; -- End function
	.section	.AMDGPU.csdata,"",@progbits
; Kernel info:
; codeLenInByte = 964
; NumSgprs: 22
; NumVgprs: 36
; NumAgprs: 0
; TotalNumVgprs: 36
; ScratchSize: 0
; MemoryBound: 0
; FloatMode: 240
; IeeeMode: 1
; LDSByteSize: 0 bytes/workgroup (compile time only)
; SGPRBlocks: 2
; VGPRBlocks: 4
; NumSGPRsForWavesPerEU: 22
; NumVGPRsForWavesPerEU: 36
; AccumOffset: 36
; Occupancy: 8
; WaveLimiterHint : 0
; COMPUTE_PGM_RSRC2:SCRATCH_EN: 0
; COMPUTE_PGM_RSRC2:USER_SGPR: 6
; COMPUTE_PGM_RSRC2:TRAP_HANDLER: 0
; COMPUTE_PGM_RSRC2:TGID_X_EN: 1
; COMPUTE_PGM_RSRC2:TGID_Y_EN: 1
; COMPUTE_PGM_RSRC2:TGID_Z_EN: 0
; COMPUTE_PGM_RSRC2:TIDIG_COMP_CNT: 1
; COMPUTE_PGM_RSRC3_GFX90A:ACCUM_OFFSET: 8
; COMPUTE_PGM_RSRC3_GFX90A:TG_SPLIT: 0
	.section	.text._ZL13mul_mat_vec_qIfLi32ELi4E10block_q5_1Li2EXadL_ZL17vec_dot_q5_1_q8_1PKvPK10block_q8_1RKiEEEvS2_S2_PT_iii,"axG",@progbits,_ZL13mul_mat_vec_qIfLi32ELi4E10block_q5_1Li2EXadL_ZL17vec_dot_q5_1_q8_1PKvPK10block_q8_1RKiEEEvS2_S2_PT_iii,comdat
	.globl	_ZL13mul_mat_vec_qIfLi32ELi4E10block_q5_1Li2EXadL_ZL17vec_dot_q5_1_q8_1PKvPK10block_q8_1RKiEEEvS2_S2_PT_iii ; -- Begin function _ZL13mul_mat_vec_qIfLi32ELi4E10block_q5_1Li2EXadL_ZL17vec_dot_q5_1_q8_1PKvPK10block_q8_1RKiEEEvS2_S2_PT_iii
	.p2align	8
	.type	_ZL13mul_mat_vec_qIfLi32ELi4E10block_q5_1Li2EXadL_ZL17vec_dot_q5_1_q8_1PKvPK10block_q8_1RKiEEEvS2_S2_PT_iii,@function
_ZL13mul_mat_vec_qIfLi32ELi4E10block_q5_1Li2EXadL_ZL17vec_dot_q5_1_q8_1PKvPK10block_q8_1RKiEEEvS2_S2_PT_iii: ; @_ZL13mul_mat_vec_qIfLi32ELi4E10block_q5_1Li2EXadL_ZL17vec_dot_q5_1_q8_1PKvPK10block_q8_1RKiEEEvS2_S2_PT_iii
; %bb.0:
	s_load_dword s8, s[4:5], 0x34
	s_load_dwordx4 s[0:3], s[4:5], 0x18
	v_bfe_u32 v1, v0, 10, 10
	s_waitcnt lgkmcnt(0)
	s_lshr_b32 s3, s8, 16
	s_mul_i32 s6, s6, s3
	v_add_u32_e32 v1, s6, v1
	s_cmp_lt_u32 s7, s2
	v_cmp_gt_u32_e32 vcc, s1, v1
	s_cselect_b64 s[2:3], -1, 0
	s_and_b64 s[2:3], s[2:3], vcc
	s_and_saveexec_b64 s[8:9], s[2:3]
	s_cbranch_execz .LBB61_7
; %bb.1:
	s_load_dwordx2 s[2:3], s[4:5], 0x10
	s_ashr_i32 s6, s0, 31
	s_lshr_b32 s6, s6, 27
	s_add_i32 s6, s0, s6
	v_and_b32_e32 v2, 0x3ff, v0
	s_ashr_i32 s6, s6, 5
	v_lshrrev_b32_e32 v4, 1, v2
	v_cmp_gt_u32_e32 vcc, s6, v4
	v_mov_b32_e32 v3, 0
	s_and_saveexec_b64 s[12:13], vcc
	s_cbranch_execz .LBB61_5
; %bb.2:
	s_addk_i32 s0, 0x1ff
	s_load_dwordx4 s[8:11], s[4:5], 0x0
	s_ashr_i32 s4, s0, 31
	s_lshr_b32 s4, s4, 23
	s_add_i32 s0, s0, s4
	s_ashr_i32 s0, s0, 9
	v_lshlrev_b32_e32 v0, 3, v2
	s_mul_i32 s0, s7, s0
	v_and_b32_e32 v0, 8, v0
	v_mul_lo_u32 v5, v1, s6
	s_lshl_b32 s0, s0, 4
	v_mov_b32_e32 v3, 0
	v_or_b32_e32 v6, 4, v0
	s_mov_b64 s[4:5], 0
	s_mov_b32 s14, 0.5
.LBB61_3:                               ; =>This Inner Loop Header: Depth=1
	v_add_u32_e32 v7, v5, v4
	s_waitcnt lgkmcnt(0)
	v_mad_i64_i32 v[8:9], s[16:17], v7, 24, s[8:9]
	v_add_u32_e32 v10, s0, v4
	global_load_dwordx2 v[12:13], v[8:9], off
	v_add_co_u32_e32 v8, vcc, v8, v0
	v_mad_i64_i32 v[10:11], s[16:17], v10, 36, s[10:11]
	v_addc_co_u32_e32 v9, vcc, 0, v9, vcc
	v_add_co_u32_e32 v14, vcc, v10, v0
	v_addc_co_u32_e32 v15, vcc, 0, v11, vcc
	global_load_dwordx2 v[16:17], v[8:9], off offset:8
	global_load_dwordx2 v[18:19], v[14:15], off offset:4
	;; [unrolled: 1-line block ×3, first 2 shown]
	global_load_dword v7, v[10:11], off
	v_mov_b32_e32 v8, 0
	v_add_u32_e32 v4, 32, v4
	v_cmp_le_u32_e32 vcc, s6, v4
	s_or_b64 s[4:5], vcc, s[4:5]
	s_waitcnt vmcnt(4)
	v_ashrrev_i32_e32 v9, v0, v13
	v_ashrrev_i32_e32 v10, v6, v13
	v_lshlrev_b32_e32 v13, 11, v9
	v_lshlrev_b32_e32 v14, 18, v9
	;; [unrolled: 1-line block ×3, first 2 shown]
	v_lshrrev_b32_e32 v22, 12, v9
	v_lshrrev_b32_e32 v23, 5, v9
	v_lshlrev_b32_e32 v24, 2, v9
	s_waitcnt vmcnt(3)
	v_and_b32_e32 v11, 0xf0f0f0f, v16
	v_and_b32_e32 v13, 0x1000, v13
	v_lshrrev_b32_e32 v16, 4, v16
	s_waitcnt vmcnt(0)
	v_pk_mul_f16 v7, v12, v7
	v_lshlrev_b32_e32 v12, 4, v9
	v_and_b32_e32 v12, 16, v12
	v_lshlrev_b32_e32 v9, 9, v9
	v_lshlrev_b32_e32 v26, 4, v10
	;; [unrolled: 1-line block ×4, first 2 shown]
	v_and_b32_e32 v14, 0x100000, v14
	v_and_b32_e32 v15, 0x10000000, v15
	;; [unrolled: 1-line block ×5, first 2 shown]
	v_or3_b32 v11, v12, v11, v13
	v_lshlrev_b32_e32 v29, 25, v10
	v_lshrrev_b32_e32 v30, 12, v10
	v_lshrrev_b32_e32 v31, 5, v10
	v_lshlrev_b32_e32 v32, 2, v10
	v_and_b32_e32 v16, 0xf0f0f0f, v16
	v_and_b32_e32 v9, 0x10000000, v9
	;; [unrolled: 1-line block ×5, first 2 shown]
	v_or3_b32 v12, v23, v22, v24
	v_or3_b32 v11, v11, v14, v15
	v_and_b32_e32 v25, 0xf0f0f0f, v17
	v_lshrrev_b32_e32 v17, 4, v17
	v_lshlrev_b32_e32 v10, 9, v10
	v_and_b32_e32 v29, 0x10000000, v29
	v_and_b32_e32 v30, 16, v30
	;; [unrolled: 1-line block ×4, first 2 shown]
	v_or3_b32 v13, v27, v26, v28
	v_or3_b32 v9, v12, v9, v16
	v_dot4c_i32_i8_e32 v8, v11, v18
	v_and_b32_e32 v17, 0xf0f0f0f, v17
	v_and_b32_e32 v10, 0x10000000, v10
	v_or3_b32 v22, v31, v30, v32
	v_or3_b32 v12, v13, v29, v25
	v_dot4c_i32_i8_e32 v8, v9, v20
	v_or3_b32 v10, v22, v10, v17
	v_dot4c_i32_i8_e32 v8, v12, v19
	v_dot4c_i32_i8_e32 v8, v10, v21
	v_cvt_f32_f16_e32 v33, v7
	s_nop 1
	v_cvt_f32_i32_e32 v8, v8
	v_mul_f32_e32 v8, v33, v8
	v_fma_mix_f32 v7, v7, s14, v8 op_sel:[1,0,0] op_sel_hi:[1,0,0]
	v_add_f32_e32 v3, v3, v7
	s_andn2_b64 exec, exec, s[4:5]
	s_cbranch_execnz .LBB61_3
; %bb.4:
	s_or_b64 exec, exec, s[4:5]
.LBB61_5:
	s_or_b64 exec, exec, s[12:13]
	v_mbcnt_lo_u32_b32 v0, -1, 0
	v_mbcnt_hi_u32_b32 v4, -1, v0
	v_and_b32_e32 v0, 64, v4
	v_add_u32_e32 v5, 64, v0
	v_xor_b32_e32 v0, 32, v4
	v_cmp_lt_i32_e32 vcc, v0, v5
	v_cndmask_b32_e32 v0, v4, v0, vcc
	v_lshlrev_b32_e32 v0, 2, v0
	ds_bpermute_b32 v0, v0, v3
	v_xor_b32_e32 v6, 16, v4
	v_cmp_lt_i32_e32 vcc, v6, v5
	s_waitcnt lgkmcnt(0)
	v_add_f32_e32 v0, v3, v0
	v_cndmask_b32_e32 v3, v4, v6, vcc
	v_lshlrev_b32_e32 v3, 2, v3
	ds_bpermute_b32 v3, v3, v0
	v_xor_b32_e32 v6, 8, v4
	v_cmp_lt_i32_e32 vcc, v6, v5
	s_waitcnt lgkmcnt(0)
	v_add_f32_e32 v0, v0, v3
	;; [unrolled: 7-line block ×5, first 2 shown]
	v_cndmask_b32_e32 v3, v4, v6, vcc
	v_lshlrev_b32_e32 v3, 2, v3
	ds_bpermute_b32 v3, v3, v0
	v_cmp_eq_u32_e32 vcc, 0, v2
	s_and_b64 exec, exec, vcc
	s_cbranch_execz .LBB61_7
; %bb.6:
	s_mul_i32 s7, s7, s1
	s_waitcnt lgkmcnt(0)
	v_add_f32_e32 v2, v0, v3
	v_add_u32_e32 v0, s7, v1
	v_mov_b32_e32 v1, 0
	v_lshlrev_b64 v[0:1], 2, v[0:1]
	v_mov_b32_e32 v3, s3
	v_add_co_u32_e32 v0, vcc, s2, v0
	v_addc_co_u32_e32 v1, vcc, v3, v1, vcc
	global_store_dword v[0:1], v2, off
.LBB61_7:
	s_endpgm
	.section	.rodata,"a",@progbits
	.p2align	6, 0x0
	.amdhsa_kernel _ZL13mul_mat_vec_qIfLi32ELi4E10block_q5_1Li2EXadL_ZL17vec_dot_q5_1_q8_1PKvPK10block_q8_1RKiEEEvS2_S2_PT_iii
		.amdhsa_group_segment_fixed_size 0
		.amdhsa_private_segment_fixed_size 0
		.amdhsa_kernarg_size 296
		.amdhsa_user_sgpr_count 6
		.amdhsa_user_sgpr_private_segment_buffer 1
		.amdhsa_user_sgpr_dispatch_ptr 0
		.amdhsa_user_sgpr_queue_ptr 0
		.amdhsa_user_sgpr_kernarg_segment_ptr 1
		.amdhsa_user_sgpr_dispatch_id 0
		.amdhsa_user_sgpr_flat_scratch_init 0
		.amdhsa_user_sgpr_kernarg_preload_length 0
		.amdhsa_user_sgpr_kernarg_preload_offset 0
		.amdhsa_user_sgpr_private_segment_size 0
		.amdhsa_uses_dynamic_stack 0
		.amdhsa_system_sgpr_private_segment_wavefront_offset 0
		.amdhsa_system_sgpr_workgroup_id_x 1
		.amdhsa_system_sgpr_workgroup_id_y 1
		.amdhsa_system_sgpr_workgroup_id_z 0
		.amdhsa_system_sgpr_workgroup_info 0
		.amdhsa_system_vgpr_workitem_id 1
		.amdhsa_next_free_vgpr 34
		.amdhsa_next_free_sgpr 18
		.amdhsa_accum_offset 36
		.amdhsa_reserve_vcc 1
		.amdhsa_reserve_flat_scratch 0
		.amdhsa_float_round_mode_32 0
		.amdhsa_float_round_mode_16_64 0
		.amdhsa_float_denorm_mode_32 3
		.amdhsa_float_denorm_mode_16_64 3
		.amdhsa_dx10_clamp 1
		.amdhsa_ieee_mode 1
		.amdhsa_fp16_overflow 0
		.amdhsa_tg_split 0
		.amdhsa_exception_fp_ieee_invalid_op 0
		.amdhsa_exception_fp_denorm_src 0
		.amdhsa_exception_fp_ieee_div_zero 0
		.amdhsa_exception_fp_ieee_overflow 0
		.amdhsa_exception_fp_ieee_underflow 0
		.amdhsa_exception_fp_ieee_inexact 0
		.amdhsa_exception_int_div_zero 0
	.end_amdhsa_kernel
	.section	.text._ZL13mul_mat_vec_qIfLi32ELi4E10block_q5_1Li2EXadL_ZL17vec_dot_q5_1_q8_1PKvPK10block_q8_1RKiEEEvS2_S2_PT_iii,"axG",@progbits,_ZL13mul_mat_vec_qIfLi32ELi4E10block_q5_1Li2EXadL_ZL17vec_dot_q5_1_q8_1PKvPK10block_q8_1RKiEEEvS2_S2_PT_iii,comdat
.Lfunc_end61:
	.size	_ZL13mul_mat_vec_qIfLi32ELi4E10block_q5_1Li2EXadL_ZL17vec_dot_q5_1_q8_1PKvPK10block_q8_1RKiEEEvS2_S2_PT_iii, .Lfunc_end61-_ZL13mul_mat_vec_qIfLi32ELi4E10block_q5_1Li2EXadL_ZL17vec_dot_q5_1_q8_1PKvPK10block_q8_1RKiEEEvS2_S2_PT_iii
                                        ; -- End function
	.section	.AMDGPU.csdata,"",@progbits
; Kernel info:
; codeLenInByte = 924
; NumSgprs: 22
; NumVgprs: 34
; NumAgprs: 0
; TotalNumVgprs: 34
; ScratchSize: 0
; MemoryBound: 0
; FloatMode: 240
; IeeeMode: 1
; LDSByteSize: 0 bytes/workgroup (compile time only)
; SGPRBlocks: 2
; VGPRBlocks: 4
; NumSGPRsForWavesPerEU: 22
; NumVGPRsForWavesPerEU: 34
; AccumOffset: 36
; Occupancy: 8
; WaveLimiterHint : 0
; COMPUTE_PGM_RSRC2:SCRATCH_EN: 0
; COMPUTE_PGM_RSRC2:USER_SGPR: 6
; COMPUTE_PGM_RSRC2:TRAP_HANDLER: 0
; COMPUTE_PGM_RSRC2:TGID_X_EN: 1
; COMPUTE_PGM_RSRC2:TGID_Y_EN: 1
; COMPUTE_PGM_RSRC2:TGID_Z_EN: 0
; COMPUTE_PGM_RSRC2:TIDIG_COMP_CNT: 1
; COMPUTE_PGM_RSRC3_GFX90A:ACCUM_OFFSET: 8
; COMPUTE_PGM_RSRC3_GFX90A:TG_SPLIT: 0
	.section	.text._ZL13mul_mat_vec_qIfLi32ELi8E10block_q8_0Li2EXadL_ZL17vec_dot_q8_0_q8_1PKvPK10block_q8_1RKiEEEvS2_S2_PT_iii,"axG",@progbits,_ZL13mul_mat_vec_qIfLi32ELi8E10block_q8_0Li2EXadL_ZL17vec_dot_q8_0_q8_1PKvPK10block_q8_1RKiEEEvS2_S2_PT_iii,comdat
	.globl	_ZL13mul_mat_vec_qIfLi32ELi8E10block_q8_0Li2EXadL_ZL17vec_dot_q8_0_q8_1PKvPK10block_q8_1RKiEEEvS2_S2_PT_iii ; -- Begin function _ZL13mul_mat_vec_qIfLi32ELi8E10block_q8_0Li2EXadL_ZL17vec_dot_q8_0_q8_1PKvPK10block_q8_1RKiEEEvS2_S2_PT_iii
	.p2align	8
	.type	_ZL13mul_mat_vec_qIfLi32ELi8E10block_q8_0Li2EXadL_ZL17vec_dot_q8_0_q8_1PKvPK10block_q8_1RKiEEEvS2_S2_PT_iii,@function
_ZL13mul_mat_vec_qIfLi32ELi8E10block_q8_0Li2EXadL_ZL17vec_dot_q8_0_q8_1PKvPK10block_q8_1RKiEEEvS2_S2_PT_iii: ; @_ZL13mul_mat_vec_qIfLi32ELi8E10block_q8_0Li2EXadL_ZL17vec_dot_q8_0_q8_1PKvPK10block_q8_1RKiEEEvS2_S2_PT_iii
; %bb.0:
	s_load_dword s8, s[4:5], 0x34
	s_load_dwordx4 s[0:3], s[4:5], 0x18
	v_bfe_u32 v1, v0, 10, 10
	s_waitcnt lgkmcnt(0)
	s_lshr_b32 s3, s8, 16
	s_mul_i32 s6, s6, s3
	v_add_u32_e32 v1, s6, v1
	s_cmp_lt_u32 s7, s2
	v_cmp_gt_u32_e32 vcc, s1, v1
	s_cselect_b64 s[2:3], -1, 0
	s_and_b64 s[2:3], s[2:3], vcc
	s_and_saveexec_b64 s[8:9], s[2:3]
	s_cbranch_execz .LBB62_7
; %bb.1:
	s_load_dwordx2 s[2:3], s[4:5], 0x10
	s_ashr_i32 s6, s0, 31
	s_lshr_b32 s6, s6, 27
	s_add_i32 s6, s0, s6
	v_and_b32_e32 v2, 0x3ff, v0
	s_ashr_i32 s6, s6, 5
	v_lshrrev_b32_e32 v4, 2, v2
	v_cmp_gt_u32_e32 vcc, s6, v4
	v_mov_b32_e32 v3, 0
	s_and_saveexec_b64 s[12:13], vcc
	s_cbranch_execz .LBB62_5
; %bb.2:
	s_addk_i32 s0, 0x1ff
	s_load_dwordx4 s[8:11], s[4:5], 0x0
	s_ashr_i32 s4, s0, 31
	s_lshr_b32 s4, s4, 23
	s_add_i32 s0, s0, s4
	s_ashr_i32 s0, s0, 9
	s_mul_i32 s0, s7, s0
	v_lshlrev_b32_e32 v0, 3, v2
	v_mul_lo_u32 v5, v1, s6
	s_lshl_b32 s0, s0, 4
	v_and_b32_e32 v0, 24, v0
	v_mov_b32_e32 v3, 0
	s_mov_b64 s[4:5], 0
.LBB62_3:                               ; =>This Inner Loop Header: Depth=1
	v_add_u32_e32 v6, v5, v4
	s_waitcnt lgkmcnt(0)
	v_mad_i64_i32 v[6:7], s[14:15], v6, 34, s[8:9]
	v_add_u32_e32 v8, s0, v4
	v_add_co_u32_e32 v10, vcc, v6, v0
	v_mad_i64_i32 v[8:9], s[14:15], v8, 36, s[10:11]
	v_addc_co_u32_e32 v11, vcc, 0, v7, vcc
	v_add_co_u32_e32 v12, vcc, v8, v0
	v_addc_co_u32_e32 v13, vcc, 0, v9, vcc
	global_load_ushort v18, v[6:7], off
	global_load_dwordx2 v[14:15], v[10:11], off offset:2
	global_load_dwordx2 v[16:17], v[12:13], off offset:4
	global_load_dword v19, v[8:9], off
	v_mov_b32_e32 v6, 0
	v_add_u32_e32 v4, 16, v4
	v_cmp_le_u32_e32 vcc, s6, v4
	s_or_b64 s[4:5], vcc, s[4:5]
	s_waitcnt vmcnt(3)
	v_cvt_f32_f16_e32 v7, v18
	s_waitcnt vmcnt(1)
	v_dot4c_i32_i8_e32 v6, v14, v16
	s_waitcnt vmcnt(0)
	v_cvt_f32_f16_e32 v8, v19
	v_dot4c_i32_i8_e32 v6, v15, v17
	v_mul_f32_e32 v7, v7, v8
	s_nop 1
	v_cvt_f32_i32_e32 v6, v6
	v_fmac_f32_e32 v3, v7, v6
	s_andn2_b64 exec, exec, s[4:5]
	s_cbranch_execnz .LBB62_3
; %bb.4:
	s_or_b64 exec, exec, s[4:5]
.LBB62_5:
	s_or_b64 exec, exec, s[12:13]
	v_mbcnt_lo_u32_b32 v0, -1, 0
	v_mbcnt_hi_u32_b32 v4, -1, v0
	v_and_b32_e32 v0, 64, v4
	v_add_u32_e32 v5, 64, v0
	v_xor_b32_e32 v0, 32, v4
	v_cmp_lt_i32_e32 vcc, v0, v5
	v_cndmask_b32_e32 v0, v4, v0, vcc
	v_lshlrev_b32_e32 v0, 2, v0
	ds_bpermute_b32 v0, v0, v3
	v_xor_b32_e32 v6, 16, v4
	v_cmp_lt_i32_e32 vcc, v6, v5
	s_waitcnt lgkmcnt(0)
	v_add_f32_e32 v0, v3, v0
	v_cndmask_b32_e32 v3, v4, v6, vcc
	v_lshlrev_b32_e32 v3, 2, v3
	ds_bpermute_b32 v3, v3, v0
	v_xor_b32_e32 v6, 8, v4
	v_cmp_lt_i32_e32 vcc, v6, v5
	s_waitcnt lgkmcnt(0)
	v_add_f32_e32 v0, v0, v3
	;; [unrolled: 7-line block ×5, first 2 shown]
	v_cndmask_b32_e32 v3, v4, v6, vcc
	v_lshlrev_b32_e32 v3, 2, v3
	ds_bpermute_b32 v3, v3, v0
	v_cmp_eq_u32_e32 vcc, 0, v2
	s_and_b64 exec, exec, vcc
	s_cbranch_execz .LBB62_7
; %bb.6:
	s_mul_i32 s7, s7, s1
	s_waitcnt lgkmcnt(0)
	v_add_f32_e32 v2, v0, v3
	v_add_u32_e32 v0, s7, v1
	v_mov_b32_e32 v1, 0
	v_lshlrev_b64 v[0:1], 2, v[0:1]
	v_mov_b32_e32 v3, s3
	v_add_co_u32_e32 v0, vcc, s2, v0
	v_addc_co_u32_e32 v1, vcc, v3, v1, vcc
	global_store_dword v[0:1], v2, off
.LBB62_7:
	s_endpgm
	.section	.rodata,"a",@progbits
	.p2align	6, 0x0
	.amdhsa_kernel _ZL13mul_mat_vec_qIfLi32ELi8E10block_q8_0Li2EXadL_ZL17vec_dot_q8_0_q8_1PKvPK10block_q8_1RKiEEEvS2_S2_PT_iii
		.amdhsa_group_segment_fixed_size 0
		.amdhsa_private_segment_fixed_size 0
		.amdhsa_kernarg_size 296
		.amdhsa_user_sgpr_count 6
		.amdhsa_user_sgpr_private_segment_buffer 1
		.amdhsa_user_sgpr_dispatch_ptr 0
		.amdhsa_user_sgpr_queue_ptr 0
		.amdhsa_user_sgpr_kernarg_segment_ptr 1
		.amdhsa_user_sgpr_dispatch_id 0
		.amdhsa_user_sgpr_flat_scratch_init 0
		.amdhsa_user_sgpr_kernarg_preload_length 0
		.amdhsa_user_sgpr_kernarg_preload_offset 0
		.amdhsa_user_sgpr_private_segment_size 0
		.amdhsa_uses_dynamic_stack 0
		.amdhsa_system_sgpr_private_segment_wavefront_offset 0
		.amdhsa_system_sgpr_workgroup_id_x 1
		.amdhsa_system_sgpr_workgroup_id_y 1
		.amdhsa_system_sgpr_workgroup_id_z 0
		.amdhsa_system_sgpr_workgroup_info 0
		.amdhsa_system_vgpr_workitem_id 1
		.amdhsa_next_free_vgpr 20
		.amdhsa_next_free_sgpr 16
		.amdhsa_accum_offset 20
		.amdhsa_reserve_vcc 1
		.amdhsa_reserve_flat_scratch 0
		.amdhsa_float_round_mode_32 0
		.amdhsa_float_round_mode_16_64 0
		.amdhsa_float_denorm_mode_32 3
		.amdhsa_float_denorm_mode_16_64 3
		.amdhsa_dx10_clamp 1
		.amdhsa_ieee_mode 1
		.amdhsa_fp16_overflow 0
		.amdhsa_tg_split 0
		.amdhsa_exception_fp_ieee_invalid_op 0
		.amdhsa_exception_fp_denorm_src 0
		.amdhsa_exception_fp_ieee_div_zero 0
		.amdhsa_exception_fp_ieee_overflow 0
		.amdhsa_exception_fp_ieee_underflow 0
		.amdhsa_exception_fp_ieee_inexact 0
		.amdhsa_exception_int_div_zero 0
	.end_amdhsa_kernel
	.section	.text._ZL13mul_mat_vec_qIfLi32ELi8E10block_q8_0Li2EXadL_ZL17vec_dot_q8_0_q8_1PKvPK10block_q8_1RKiEEEvS2_S2_PT_iii,"axG",@progbits,_ZL13mul_mat_vec_qIfLi32ELi8E10block_q8_0Li2EXadL_ZL17vec_dot_q8_0_q8_1PKvPK10block_q8_1RKiEEEvS2_S2_PT_iii,comdat
.Lfunc_end62:
	.size	_ZL13mul_mat_vec_qIfLi32ELi8E10block_q8_0Li2EXadL_ZL17vec_dot_q8_0_q8_1PKvPK10block_q8_1RKiEEEvS2_S2_PT_iii, .Lfunc_end62-_ZL13mul_mat_vec_qIfLi32ELi8E10block_q8_0Li2EXadL_ZL17vec_dot_q8_0_q8_1PKvPK10block_q8_1RKiEEEvS2_S2_PT_iii
                                        ; -- End function
	.section	.AMDGPU.csdata,"",@progbits
; Kernel info:
; codeLenInByte = 600
; NumSgprs: 20
; NumVgprs: 20
; NumAgprs: 0
; TotalNumVgprs: 20
; ScratchSize: 0
; MemoryBound: 0
; FloatMode: 240
; IeeeMode: 1
; LDSByteSize: 0 bytes/workgroup (compile time only)
; SGPRBlocks: 2
; VGPRBlocks: 2
; NumSGPRsForWavesPerEU: 20
; NumVGPRsForWavesPerEU: 20
; AccumOffset: 20
; Occupancy: 8
; WaveLimiterHint : 0
; COMPUTE_PGM_RSRC2:SCRATCH_EN: 0
; COMPUTE_PGM_RSRC2:USER_SGPR: 6
; COMPUTE_PGM_RSRC2:TRAP_HANDLER: 0
; COMPUTE_PGM_RSRC2:TGID_X_EN: 1
; COMPUTE_PGM_RSRC2:TGID_Y_EN: 1
; COMPUTE_PGM_RSRC2:TGID_Z_EN: 0
; COMPUTE_PGM_RSRC2:TIDIG_COMP_CNT: 1
; COMPUTE_PGM_RSRC3_GFX90A:ACCUM_OFFSET: 4
; COMPUTE_PGM_RSRC3_GFX90A:TG_SPLIT: 0
	.section	.text._ZL13mul_mat_vec_qIfLi256ELi16E10block_q2_KLi1EXadL_ZL17vec_dot_q2_K_q8_1PKvPK10block_q8_1RKiEEEvS2_S2_PT_iii,"axG",@progbits,_ZL13mul_mat_vec_qIfLi256ELi16E10block_q2_KLi1EXadL_ZL17vec_dot_q2_K_q8_1PKvPK10block_q8_1RKiEEEvS2_S2_PT_iii,comdat
	.globl	_ZL13mul_mat_vec_qIfLi256ELi16E10block_q2_KLi1EXadL_ZL17vec_dot_q2_K_q8_1PKvPK10block_q8_1RKiEEEvS2_S2_PT_iii ; -- Begin function _ZL13mul_mat_vec_qIfLi256ELi16E10block_q2_KLi1EXadL_ZL17vec_dot_q2_K_q8_1PKvPK10block_q8_1RKiEEEvS2_S2_PT_iii
	.p2align	8
	.type	_ZL13mul_mat_vec_qIfLi256ELi16E10block_q2_KLi1EXadL_ZL17vec_dot_q2_K_q8_1PKvPK10block_q8_1RKiEEEvS2_S2_PT_iii,@function
_ZL13mul_mat_vec_qIfLi256ELi16E10block_q2_KLi1EXadL_ZL17vec_dot_q2_K_q8_1PKvPK10block_q8_1RKiEEEvS2_S2_PT_iii: ; @_ZL13mul_mat_vec_qIfLi256ELi16E10block_q2_KLi1EXadL_ZL17vec_dot_q2_K_q8_1PKvPK10block_q8_1RKiEEEvS2_S2_PT_iii
; %bb.0:
	s_load_dword s8, s[4:5], 0x34
	s_load_dwordx4 s[0:3], s[4:5], 0x18
	v_bfe_u32 v1, v0, 10, 10
	s_waitcnt lgkmcnt(0)
	s_lshr_b32 s3, s8, 16
	s_mul_i32 s6, s6, s3
	v_add_u32_e32 v10, s6, v1
	s_cmp_lt_u32 s7, s2
	v_cmp_gt_u32_e32 vcc, s1, v10
	s_cselect_b64 s[2:3], -1, 0
	s_and_b64 s[2:3], s[2:3], vcc
	s_and_saveexec_b64 s[8:9], s[2:3]
	s_cbranch_execz .LBB63_7
; %bb.1:
	s_load_dwordx2 s[2:3], s[4:5], 0x10
	s_ashr_i32 s6, s0, 31
	s_lshr_b32 s6, s6, 24
	s_add_i32 s6, s0, s6
	v_and_b32_e32 v11, 0x3ff, v0
	s_ashr_i32 s6, s6, 8
	v_lshrrev_b32_e32 v12, 4, v11
	v_cmp_gt_u32_e32 vcc, s6, v12
	v_mov_b32_e32 v1, 0
	s_and_saveexec_b64 s[8:9], vcc
	s_cbranch_execz .LBB63_5
; %bb.2:
	v_and_b32_e32 v3, 15, v11
	s_load_dwordx4 s[12:15], s[4:5], 0x0
	s_addk_i32 s0, 0x1ff
	v_cmp_lt_u32_e32 vcc, 7, v3
	s_ashr_i32 s4, s0, 31
	v_cndmask_b32_e64 v0, 0, 1, vcc
	s_lshr_b32 s4, s4, 23
	v_lshlrev_b32_e32 v6, 2, v0
	v_add_u32_e32 v0, -8, v3
	v_cmp_gt_u32_e32 vcc, 8, v3
	s_add_i32 s0, s0, s4
	v_cndmask_b32_e32 v0, v0, v3, vcc
	s_ashr_i32 s0, s0, 9
	v_lshlrev_b32_e32 v2, 2, v3
	v_mov_b32_e32 v1, 0
	v_sub_u32_e32 v3, v3, v0
	v_cmp_lt_u32_e32 vcc, 3, v0
	s_mul_i32 s0, s7, s0
	v_lshlrev_b64 v[4:5], 2, v[0:1]
	v_addc_co_u32_e32 v0, vcc, 0, v3, vcc
	s_waitcnt lgkmcnt(0)
	v_mad_u64_u32 v[6:7], s[4:5], v6, 36, s[14:15]
	v_lshlrev_b32_e32 v8, 3, v12
	v_mul_lo_u32 v13, v10, s6
	v_ashrrev_i32_e32 v3, 31, v0
	v_lshl_add_u32 v14, s0, 4, v8
	s_mov_b64 s[4:5], 0
	s_movk_i32 s0, 0x54
	v_pk_mov_b32 v[8:9], s[12:13], s[12:13] op_sel:[0,1]
	s_movk_i32 s10, 0x48
	s_movk_i32 s11, 0x6c
	s_mov_b32 s12, 0x1010101
.LBB63_3:                               ; =>This Inner Loop Header: Depth=1
	v_mad_i64_i32 v[16:17], s[14:15], v14, 36, v[6:7]
	v_add_co_u32_e32 v20, vcc, v16, v4
	v_add_u32_e32 v15, v13, v12
	v_addc_co_u32_e32 v21, vcc, v17, v5, vcc
	v_mad_i64_i32 v[18:19], s[14:15], v15, s0, v[8:9]
	v_add_co_u32_e32 v15, vcc, 36, v16
	v_addc_co_u32_e32 v25, vcc, 0, v17, vcc
	v_add_co_u32_e32 v26, vcc, s10, v16
	v_addc_co_u32_e32 v27, vcc, 0, v17, vcc
	;; [unrolled: 2-line block ×6, first 2 shown]
	v_add_co_u32_e32 v28, vcc, v28, v4
	global_load_dword v32, v[16:17], off
	global_load_dword v33, v[16:17], off offset:36
	global_load_dword v34, v[16:17], off offset:72
	v_addc_co_u32_e32 v29, vcc, v29, v5, vcc
	v_add_co_u32_e32 v30, vcc, v18, v0
	v_addc_co_u32_e32 v31, vcc, v19, v3, vcc
	global_load_dword v15, v[20:21], off offset:4
	global_load_dword v35, v[24:25], off offset:4
	;; [unrolled: 1-line block ×6, first 2 shown]
	global_load_ubyte v40, v[30:31], off
	global_load_ubyte v41, v[30:31], off offset:2
	global_load_ubyte v42, v[30:31], off offset:4
	;; [unrolled: 1-line block ×3, first 2 shown]
	global_load_dword v44, v[18:19], off offset:80
	v_mov_b32_e32 v17, 0
	v_mov_b32_e32 v19, 0
	v_mov_b32_e32 v21, 0
	v_mov_b32_e32 v26, 0
	v_mov_b32_e32 v27, 0
	v_mov_b32_e32 v23, 0
	v_mov_b32_e32 v28, 0
	v_mov_b32_e32 v30, 0
	v_add_u32_e32 v12, 4, v12
	v_cmp_le_u32_e32 vcc, s6, v12
	v_add_u32_e32 v14, 32, v14
	s_or_b64 s[4:5], vcc, s[4:5]
	s_waitcnt vmcnt(13)
	v_cvt_f32_f16_e32 v16, v32
	s_waitcnt vmcnt(12)
	v_cvt_f32_f16_e32 v18, v33
	;; [unrolled: 2-line block ×4, first 2 shown]
	s_waitcnt vmcnt(5)
	v_and_b32_e32 v29, 0x3030303, v39
	s_waitcnt vmcnt(4)
	v_and_b32_e32 v31, 15, v40
	v_lshrrev_b32_e32 v32, 4, v40
	v_lshrrev_b32_e32 v33, 2, v39
	s_waitcnt vmcnt(3)
	v_lshrrev_b32_e32 v38, 4, v41
	v_lshrrev_b32_e32 v40, 4, v39
	;; [unrolled: 1-line block ×3, first 2 shown]
	v_and_b32_e32 v34, 15, v41
	s_waitcnt vmcnt(2)
	v_and_b32_e32 v41, 15, v42
	v_lshrrev_b32_e32 v42, 4, v42
	v_dot4c_i32_i8_e32 v17, v29, v15
	v_mul_lo_u32 v29, v32, s12
	v_and_b32_e32 v32, 0x3030303, v33
	v_mul_lo_u32 v33, v38, s12
	v_and_b32_e32 v38, 0x3030303, v40
	v_and_b32_e32 v39, 0x3030303, v39
	s_waitcnt vmcnt(1)
	v_and_b32_e32 v45, 15, v43
	v_lshrrev_b32_e32 v43, 4, v43
	v_mul_lo_u32 v40, v42, s12
	v_mul_lo_u32 v17, v31, v17
	v_dot4c_i32_i8_e32 v19, v29, v15
	v_dot4c_i32_i8_e32 v21, v32, v35
	;; [unrolled: 1-line block ×4, first 2 shown]
	v_mul_lo_u32 v42, v43, s12
	v_dot4c_i32_i8_e32 v23, v33, v35
	v_dot4c_i32_i8_e32 v28, v40, v36
	v_mul_lo_u32 v15, v34, v21
	v_mul_lo_u32 v21, v41, v26
	;; [unrolled: 1-line block ×3, first 2 shown]
	v_cvt_f32_i32_e32 v27, v19
	v_cvt_f32_i32_e32 v26, v17
	v_dot4c_i32_i8_e32 v30, v42, v37
	v_cvt_f32_i32_e32 v29, v23
	v_cvt_f32_i32_e32 v31, v28
	;; [unrolled: 1-line block ×6, first 2 shown]
	s_waitcnt vmcnt(0)
	v_cvt_f32_f16_e32 v24, v44
	v_cvt_f32_f16_sdwa v25, v44 dst_sel:DWORD dst_unused:UNUSED_PAD src0_sel:WORD_1
	v_pk_fma_f32 v[16:17], v[16:17], v[26:27], 0 op_sel_hi:[0,1,0]
	v_pk_fma_f32 v[16:17], v[18:19], v[28:29], v[16:17] op_sel_hi:[0,1,1]
	;; [unrolled: 1-line block ×4, first 2 shown]
	v_pk_mul_f32 v[16:17], v[16:17], v[24:25]
	v_sub_f32_e32 v15, v16, v17
	v_add_f32_e32 v1, v1, v15
	s_andn2_b64 exec, exec, s[4:5]
	s_cbranch_execnz .LBB63_3
; %bb.4:
	s_or_b64 exec, exec, s[4:5]
.LBB63_5:
	s_or_b64 exec, exec, s[8:9]
	v_mbcnt_lo_u32_b32 v0, -1, 0
	v_mbcnt_hi_u32_b32 v2, -1, v0
	v_and_b32_e32 v0, 64, v2
	v_add_u32_e32 v3, 64, v0
	v_xor_b32_e32 v0, 32, v2
	v_cmp_lt_i32_e32 vcc, v0, v3
	v_cndmask_b32_e32 v0, v2, v0, vcc
	v_lshlrev_b32_e32 v0, 2, v0
	ds_bpermute_b32 v0, v0, v1
	v_xor_b32_e32 v4, 16, v2
	v_cmp_lt_i32_e32 vcc, v4, v3
	s_waitcnt lgkmcnt(0)
	v_add_f32_e32 v0, v1, v0
	v_cndmask_b32_e32 v1, v2, v4, vcc
	v_lshlrev_b32_e32 v1, 2, v1
	ds_bpermute_b32 v1, v1, v0
	v_xor_b32_e32 v4, 8, v2
	v_cmp_lt_i32_e32 vcc, v4, v3
	s_waitcnt lgkmcnt(0)
	v_add_f32_e32 v0, v0, v1
	;; [unrolled: 7-line block ×5, first 2 shown]
	v_cndmask_b32_e32 v1, v2, v4, vcc
	v_lshlrev_b32_e32 v1, 2, v1
	ds_bpermute_b32 v1, v1, v0
	v_cmp_eq_u32_e32 vcc, 0, v11
	s_and_b64 exec, exec, vcc
	s_cbranch_execz .LBB63_7
; %bb.6:
	s_mul_i32 s7, s7, s1
	s_waitcnt lgkmcnt(0)
	v_add_f32_e32 v2, v0, v1
	v_add_u32_e32 v0, s7, v10
	v_mov_b32_e32 v1, 0
	v_lshlrev_b64 v[0:1], 2, v[0:1]
	v_mov_b32_e32 v3, s3
	v_add_co_u32_e32 v0, vcc, s2, v0
	v_addc_co_u32_e32 v1, vcc, v3, v1, vcc
	global_store_dword v[0:1], v2, off
.LBB63_7:
	s_endpgm
	.section	.rodata,"a",@progbits
	.p2align	6, 0x0
	.amdhsa_kernel _ZL13mul_mat_vec_qIfLi256ELi16E10block_q2_KLi1EXadL_ZL17vec_dot_q2_K_q8_1PKvPK10block_q8_1RKiEEEvS2_S2_PT_iii
		.amdhsa_group_segment_fixed_size 0
		.amdhsa_private_segment_fixed_size 0
		.amdhsa_kernarg_size 296
		.amdhsa_user_sgpr_count 6
		.amdhsa_user_sgpr_private_segment_buffer 1
		.amdhsa_user_sgpr_dispatch_ptr 0
		.amdhsa_user_sgpr_queue_ptr 0
		.amdhsa_user_sgpr_kernarg_segment_ptr 1
		.amdhsa_user_sgpr_dispatch_id 0
		.amdhsa_user_sgpr_flat_scratch_init 0
		.amdhsa_user_sgpr_kernarg_preload_length 0
		.amdhsa_user_sgpr_kernarg_preload_offset 0
		.amdhsa_user_sgpr_private_segment_size 0
		.amdhsa_uses_dynamic_stack 0
		.amdhsa_system_sgpr_private_segment_wavefront_offset 0
		.amdhsa_system_sgpr_workgroup_id_x 1
		.amdhsa_system_sgpr_workgroup_id_y 1
		.amdhsa_system_sgpr_workgroup_id_z 0
		.amdhsa_system_sgpr_workgroup_info 0
		.amdhsa_system_vgpr_workitem_id 1
		.amdhsa_next_free_vgpr 46
		.amdhsa_next_free_sgpr 16
		.amdhsa_accum_offset 48
		.amdhsa_reserve_vcc 1
		.amdhsa_reserve_flat_scratch 0
		.amdhsa_float_round_mode_32 0
		.amdhsa_float_round_mode_16_64 0
		.amdhsa_float_denorm_mode_32 3
		.amdhsa_float_denorm_mode_16_64 3
		.amdhsa_dx10_clamp 1
		.amdhsa_ieee_mode 1
		.amdhsa_fp16_overflow 0
		.amdhsa_tg_split 0
		.amdhsa_exception_fp_ieee_invalid_op 0
		.amdhsa_exception_fp_denorm_src 0
		.amdhsa_exception_fp_ieee_div_zero 0
		.amdhsa_exception_fp_ieee_overflow 0
		.amdhsa_exception_fp_ieee_underflow 0
		.amdhsa_exception_fp_ieee_inexact 0
		.amdhsa_exception_int_div_zero 0
	.end_amdhsa_kernel
	.section	.text._ZL13mul_mat_vec_qIfLi256ELi16E10block_q2_KLi1EXadL_ZL17vec_dot_q2_K_q8_1PKvPK10block_q8_1RKiEEEvS2_S2_PT_iii,"axG",@progbits,_ZL13mul_mat_vec_qIfLi256ELi16E10block_q2_KLi1EXadL_ZL17vec_dot_q2_K_q8_1PKvPK10block_q8_1RKiEEEvS2_S2_PT_iii,comdat
.Lfunc_end63:
	.size	_ZL13mul_mat_vec_qIfLi256ELi16E10block_q2_KLi1EXadL_ZL17vec_dot_q2_K_q8_1PKvPK10block_q8_1RKiEEEvS2_S2_PT_iii, .Lfunc_end63-_ZL13mul_mat_vec_qIfLi256ELi16E10block_q2_KLi1EXadL_ZL17vec_dot_q2_K_q8_1PKvPK10block_q8_1RKiEEEvS2_S2_PT_iii
                                        ; -- End function
	.section	.AMDGPU.csdata,"",@progbits
; Kernel info:
; codeLenInByte = 1136
; NumSgprs: 20
; NumVgprs: 46
; NumAgprs: 0
; TotalNumVgprs: 46
; ScratchSize: 0
; MemoryBound: 0
; FloatMode: 240
; IeeeMode: 1
; LDSByteSize: 0 bytes/workgroup (compile time only)
; SGPRBlocks: 2
; VGPRBlocks: 5
; NumSGPRsForWavesPerEU: 20
; NumVGPRsForWavesPerEU: 46
; AccumOffset: 48
; Occupancy: 8
; WaveLimiterHint : 0
; COMPUTE_PGM_RSRC2:SCRATCH_EN: 0
; COMPUTE_PGM_RSRC2:USER_SGPR: 6
; COMPUTE_PGM_RSRC2:TRAP_HANDLER: 0
; COMPUTE_PGM_RSRC2:TGID_X_EN: 1
; COMPUTE_PGM_RSRC2:TGID_Y_EN: 1
; COMPUTE_PGM_RSRC2:TGID_Z_EN: 0
; COMPUTE_PGM_RSRC2:TIDIG_COMP_CNT: 1
; COMPUTE_PGM_RSRC3_GFX90A:ACCUM_OFFSET: 11
; COMPUTE_PGM_RSRC3_GFX90A:TG_SPLIT: 0
	.section	.text._ZL13mul_mat_vec_qIfLi256ELi16E10block_q3_KLi1EXadL_ZL17vec_dot_q3_K_q8_1PKvPK10block_q8_1RKiEEEvS2_S2_PT_iii,"axG",@progbits,_ZL13mul_mat_vec_qIfLi256ELi16E10block_q3_KLi1EXadL_ZL17vec_dot_q3_K_q8_1PKvPK10block_q8_1RKiEEEvS2_S2_PT_iii,comdat
	.globl	_ZL13mul_mat_vec_qIfLi256ELi16E10block_q3_KLi1EXadL_ZL17vec_dot_q3_K_q8_1PKvPK10block_q8_1RKiEEEvS2_S2_PT_iii ; -- Begin function _ZL13mul_mat_vec_qIfLi256ELi16E10block_q3_KLi1EXadL_ZL17vec_dot_q3_K_q8_1PKvPK10block_q8_1RKiEEEvS2_S2_PT_iii
	.p2align	8
	.type	_ZL13mul_mat_vec_qIfLi256ELi16E10block_q3_KLi1EXadL_ZL17vec_dot_q3_K_q8_1PKvPK10block_q8_1RKiEEEvS2_S2_PT_iii,@function
_ZL13mul_mat_vec_qIfLi256ELi16E10block_q3_KLi1EXadL_ZL17vec_dot_q3_K_q8_1PKvPK10block_q8_1RKiEEEvS2_S2_PT_iii: ; @_ZL13mul_mat_vec_qIfLi256ELi16E10block_q3_KLi1EXadL_ZL17vec_dot_q3_K_q8_1PKvPK10block_q8_1RKiEEEvS2_S2_PT_iii
; %bb.0:
	s_load_dword s0, s[4:5], 0x34
	s_load_dwordx4 s[8:11], s[4:5], 0x18
	v_bfe_u32 v1, v0, 10, 10
	s_waitcnt lgkmcnt(0)
	s_lshr_b32 s0, s0, 16
	s_mul_i32 s6, s6, s0
	v_add_u32_e32 v26, s6, v1
	s_cmp_lt_u32 s7, s10
	v_cmp_gt_u32_e32 vcc, s9, v26
	s_cselect_b64 s[0:1], -1, 0
	s_and_b64 s[0:1], s[0:1], vcc
	s_and_saveexec_b64 s[2:3], s[0:1]
	s_cbranch_execz .LBB64_7
; %bb.1:
	s_load_dwordx2 s[2:3], s[4:5], 0x10
	s_ashr_i32 s0, s8, 31
	s_lshr_b32 s0, s0, 24
	s_add_i32 s0, s8, s0
	v_and_b32_e32 v27, 0x3ff, v0
	s_ashr_i32 s6, s0, 8
	v_lshrrev_b32_e32 v28, 4, v27
	v_cmp_gt_u32_e32 vcc, s6, v28
	v_mov_b32_e32 v1, 0
	s_and_saveexec_b64 s[10:11], vcc
	s_cbranch_execz .LBB64_5
; %bb.2:
	v_and_b32_e32 v3, 15, v27
	v_cmp_lt_u32_e32 vcc, 7, v3
	v_cndmask_b32_e64 v0, 0, 1, vcc
	v_lshlrev_b32_e32 v30, 2, v0
	v_add_u32_e32 v0, -8, v3
	v_cmp_gt_u32_e32 vcc, 8, v3
	v_cndmask_b32_e32 v0, v0, v3, vcc
	v_lshlrev_b32_e32 v2, 2, v3
	v_sub_u32_e32 v3, v3, v0
	v_cmp_lt_u32_e32 vcc, 3, v0
	v_addc_co_u32_e32 v16, vcc, 0, v3, vcc
	v_mov_b32_e32 v17, 7
	v_add_u16_e32 v10, 2, v16
	v_mov_b32_e32 v18, 5
	v_mov_b32_e32 v21, 6
	v_lshrrev_b16_sdwa v11, v17, sext(v10) dst_sel:DWORD dst_unused:UNUSED_PAD src0_sel:DWORD src1_sel:BYTE_0
	v_lshrrev_b16_sdwa v8, v18, v11 dst_sel:DWORD dst_unused:UNUSED_PAD src0_sel:DWORD src1_sel:BYTE_0
	v_lshrrev_b16_sdwa v11, v21, v11 dst_sel:DWORD dst_unused:UNUSED_PAD src0_sel:DWORD src1_sel:BYTE_0
	v_mov_b32_e32 v20, 2
	v_add_u16_e32 v11, v10, v11
	v_add_u16_e32 v14, 4, v16
	v_mov_b32_e32 v22, 1
	v_ashrrev_i16_sdwa v12, v20, sext(v11) dst_sel:DWORD dst_unused:UNUSED_PAD src0_sel:DWORD src1_sel:BYTE_0
	v_lshrrev_b16_sdwa v15, v17, sext(v14) dst_sel:DWORD dst_unused:UNUSED_PAD src0_sel:DWORD src1_sel:BYTE_0
	v_lshlrev_b32_sdwa v34, v22, sext(v12) dst_sel:DWORD dst_unused:UNUSED_PAD src0_sel:DWORD src1_sel:WORD_0
	v_lshrrev_b16_sdwa v12, v18, v15 dst_sel:DWORD dst_unused:UNUSED_PAD src0_sel:DWORD src1_sel:BYTE_0
	v_lshrrev_b16_sdwa v15, v21, v15 dst_sel:DWORD dst_unused:UNUSED_PAD src0_sel:DWORD src1_sel:BYTE_0
	v_mov_b32_e32 v1, 0
	v_lshrrev_b16_sdwa v6, v17, sext(v16) dst_sel:DWORD dst_unused:UNUSED_PAD src0_sel:DWORD src1_sel:BYTE_0
	v_add_u16_e32 v15, v14, v15
	v_lshlrev_b64 v[4:5], 2, v[0:1]
	v_lshrrev_b16_sdwa v0, v18, v6 dst_sel:DWORD dst_unused:UNUSED_PAD src0_sel:DWORD src1_sel:BYTE_0
	v_lshrrev_b16_sdwa v6, v21, v6 dst_sel:DWORD dst_unused:UNUSED_PAD src0_sel:DWORD src1_sel:BYTE_0
	v_lshrrev_b16_sdwa v23, v20, sext(v15) dst_sel:DWORD dst_unused:UNUSED_PAD src0_sel:DWORD src1_sel:BYTE_0
	v_add_u16_e32 v0, v16, v0
	v_mov_b32_e32 v19, 3
	v_add_u16_e32 v6, v16, v6
	v_lshlrev_b32_sdwa v36, v22, v23 dst_sel:DWORD dst_unused:UNUSED_PAD src0_sel:DWORD src1_sel:BYTE_0
	v_add_u16_e32 v23, 6, v16
	s_add_i32 s0, s8, 0x1ff
	v_lshrrev_b16_sdwa v3, v19, sext(v0) dst_sel:DWORD dst_unused:UNUSED_PAD src0_sel:DWORD src1_sel:BYTE_0
	v_and_b32_e32 v0, 0xf8, v0
	v_ashrrev_i16_sdwa v7, v20, sext(v6) dst_sel:DWORD dst_unused:UNUSED_PAD src0_sel:DWORD src1_sel:BYTE_0
	v_and_b32_e32 v6, 0xfc, v6
	v_lshrrev_b16_sdwa v24, v17, sext(v23) dst_sel:DWORD dst_unused:UNUSED_PAD src0_sel:DWORD src1_sel:BYTE_0
	s_load_dwordx4 s[12:15], s[4:5], 0x0
	s_ashr_i32 s1, s0, 31
	v_sub_u16_e32 v0, v16, v0
	v_sub_u16_e32 v6, v16, v6
	v_lshrrev_b16_sdwa v16, v18, v24 dst_sel:DWORD dst_unused:UNUSED_PAD src0_sel:DWORD src1_sel:BYTE_0
	v_lshrrev_b16_sdwa v18, v21, v24 dst_sel:DWORD dst_unused:UNUSED_PAD src0_sel:DWORD src1_sel:BYTE_0
	s_lshr_b32 s1, s1, 23
	v_add_u16_e32 v8, v10, v8
	v_add_u16_e32 v12, v14, v12
	;; [unrolled: 1-line block ×4, first 2 shown]
	s_add_i32 s0, s0, s1
	v_lshrrev_b16_sdwa v9, v19, sext(v8) dst_sel:DWORD dst_unused:UNUSED_PAD src0_sel:DWORD src1_sel:BYTE_0
	v_and_b32_e32 v8, 0xf8, v8
	v_and_b32_e32 v11, 0xfc, v11
	v_lshrrev_b16_sdwa v13, v19, sext(v12) dst_sel:DWORD dst_unused:UNUSED_PAD src0_sel:DWORD src1_sel:BYTE_0
	v_and_b32_e32 v12, 0xf8, v12
	v_and_b32_e32 v15, 0xfc, v15
	v_lshrrev_b16_sdwa v17, v19, sext(v16) dst_sel:DWORD dst_unused:UNUSED_PAD src0_sel:DWORD src1_sel:BYTE_0
	v_and_b32_e32 v16, 0xf8, v16
	v_lshrrev_b16_sdwa v19, v20, sext(v18) dst_sel:DWORD dst_unused:UNUSED_PAD src0_sel:DWORD src1_sel:BYTE_0
	v_and_b32_e32 v18, 0xfc, v18
	s_ashr_i32 s0, s0, 9
	v_sub_u16_e32 v8, v10, v8
	v_sub_u16_e32 v10, v10, v11
	;; [unrolled: 1-line block ×6, first 2 shown]
	s_mul_i32 s4, s7, s0
	v_bfe_i32 v0, v0, 0, 8
	v_lshlrev_b32_sdwa v32, v22, sext(v7) dst_sel:DWORD dst_unused:UNUSED_PAD src0_sel:DWORD src1_sel:WORD_0
	v_bfe_i32 v6, v6, 0, 8
	v_bfe_i32 v8, v8, 0, 8
	;; [unrolled: 1-line block ×6, first 2 shown]
	v_lshlrev_b32_sdwa v38, v22, v19 dst_sel:DWORD dst_unused:UNUSED_PAD src0_sel:DWORD src1_sel:BYTE_0
	v_bfe_i32 v18, v18, 0, 8
	v_lshlrev_b32_e32 v22, 3, v28
	v_mul_lo_u32 v29, v26, s6
	v_lshlrev_b32_sdwa v31, v20, v3 dst_sel:DWORD dst_unused:UNUSED_PAD src0_sel:DWORD src1_sel:BYTE_0
	v_ashrrev_i32_e32 v3, 31, v0
	v_ashrrev_i32_e32 v7, 31, v6
	v_lshlrev_b32_sdwa v33, v20, v9 dst_sel:DWORD dst_unused:UNUSED_PAD src0_sel:DWORD src1_sel:BYTE_0
	v_ashrrev_i32_e32 v9, 31, v8
	v_ashrrev_i32_e32 v11, 31, v10
	;; [unrolled: 3-line block ×4, first 2 shown]
	s_waitcnt lgkmcnt(0)
	v_mad_u64_u32 v[20:21], s[0:1], v30, 36, s[14:15]
	v_lshl_add_u32 v39, s4, 4, v22
	s_mov_b64 s[4:5], 0
	s_movk_i32 s8, 0x6e
	s_movk_i32 s14, 0x48
	;; [unrolled: 1-line block ×3, first 2 shown]
.LBB64_3:                               ; =>This Inner Loop Header: Depth=1
	v_add_u32_e32 v40, v29, v28
	v_pk_mov_b32 v[24:25], s[12:13], s[12:13] op_sel:[0,1]
	v_mad_i64_i32 v[22:23], s[0:1], v39, 36, v[20:21]
	v_mad_i64_i32 v[24:25], s[0:1], v40, s8, v[24:25]
	v_add_co_u32_e32 v40, vcc, s14, v22
	v_addc_co_u32_e32 v41, vcc, 0, v23, vcc
	v_add_co_u32_e32 v42, vcc, s15, v22
	v_addc_co_u32_e32 v43, vcc, 0, v23, vcc
	v_add_co_u32_e32 v42, vcc, v42, v4
	v_addc_co_u32_e32 v43, vcc, v43, v5, vcc
	v_add_co_u32_e32 v44, vcc, v24, v4
	v_addc_co_u32_e32 v45, vcc, v25, v5, vcc
	global_load_dword v46, v[44:45], off
	v_add_co_u32_e32 v44, vcc, v24, v2
	v_add_co_u32_e64 v40, s[0:1], v40, v4
	v_addc_co_u32_e32 v45, vcc, 0, v25, vcc
	v_addc_co_u32_e64 v41, s[0:1], v41, v5, s[0:1]
	global_load_dword v47, v[44:45], off offset:32
	global_load_dword v48, v[40:41], off offset:4
	;; [unrolled: 1-line block ×3, first 2 shown]
	v_mov_b32_e32 v56, 0
	v_mov_b32_e32 v57, 0
	;; [unrolled: 1-line block ×4, first 2 shown]
	v_add_u32_e32 v28, 4, v28
	v_add_u32_e32 v39, 32, v39
	global_load_dword v58, v[22:23], off offset:108
	s_waitcnt vmcnt(4)
	v_ashrrev_i32_e32 v40, v30, v46
	v_not_b32_e32 v42, v40
	v_and_b32_e32 v43, 0x4040404, v42
	s_waitcnt vmcnt(3)
	v_lshrrev_b32_e32 v40, 4, v47
	v_and_b32_e32 v41, 0x3030303, v40
	v_bfe_u32 v40, v40, 24, 2
	v_sub_u16_sdwa v40, v40, v43 dst_sel:BYTE_1 dst_unused:UNUSED_PAD src0_sel:DWORD src1_sel:BYTE_3
	v_sub_u16_e32 v44, v41, v43
	v_sub_u16_sdwa v45, v41, v43 dst_sel:BYTE_1 dst_unused:UNUSED_PAD src0_sel:BYTE_1 src1_sel:BYTE_1
	v_sub_u16_sdwa v41, v41, v43 dst_sel:DWORD dst_unused:UNUSED_PAD src0_sel:WORD_1 src1_sel:WORD_1
	v_or_b32_sdwa v43, v44, v45 dst_sel:DWORD dst_unused:UNUSED_PAD src0_sel:BYTE_0 src1_sel:DWORD
	v_or_b32_sdwa v40, v41, v40 dst_sel:WORD_1 dst_unused:UNUSED_PAD src0_sel:BYTE_0 src1_sel:DWORD
	v_or_b32_sdwa v40, v43, v40 dst_sel:DWORD dst_unused:UNUSED_PAD src0_sel:WORD_0 src1_sel:DWORD
	s_waitcnt vmcnt(2)
	v_dot4c_i32_i8_e32 v56, v40, v48
	v_add_co_u32_e32 v40, vcc, v22, v4
	v_addc_co_u32_e32 v41, vcc, v23, v5, vcc
	global_load_dword v43, v[40:41], off offset:4
	v_add_co_u32_e32 v40, vcc, 36, v22
	v_addc_co_u32_e32 v41, vcc, 0, v23, vcc
	v_add_co_u32_e32 v40, vcc, v40, v4
	v_addc_co_u32_e32 v41, vcc, v41, v5, vcc
	global_load_dword v40, v[40:41], off offset:4
	v_lshlrev_b32_e32 v41, 2, v42
	v_and_b32_e32 v41, 0x4040404, v41
	v_bfe_u32 v44, v47, 24, 2
	v_and_b32_e32 v45, 0x3030303, v47
	v_sub_u16_sdwa v44, v44, v41 dst_sel:BYTE_1 dst_unused:UNUSED_PAD src0_sel:DWORD src1_sel:BYTE_3
	v_sub_u16_e32 v46, v45, v41
	v_sub_u16_sdwa v48, v45, v41 dst_sel:BYTE_1 dst_unused:UNUSED_PAD src0_sel:BYTE_1 src1_sel:BYTE_1
	v_sub_u16_sdwa v41, v45, v41 dst_sel:DWORD dst_unused:UNUSED_PAD src0_sel:WORD_1 src1_sel:WORD_1
	v_or_b32_sdwa v45, v46, v48 dst_sel:DWORD dst_unused:UNUSED_PAD src0_sel:BYTE_0 src1_sel:DWORD
	v_or_b32_sdwa v41, v41, v44 dst_sel:WORD_1 dst_unused:UNUSED_PAD src0_sel:BYTE_0 src1_sel:DWORD
	v_or_b32_sdwa v41, v45, v41 dst_sel:DWORD dst_unused:UNUSED_PAD src0_sel:WORD_0 src1_sel:DWORD
	v_lshlrev_b32_e32 v44, 1, v42
	v_and_b32_e32 v44, 0x4040404, v44
	v_lshrrev_b32_e32 v42, 1, v42
	v_and_b32_e32 v42, 0x4040404, v42
	s_waitcnt vmcnt(1)
	v_dot4c_i32_i8_e32 v57, v41, v43
	v_lshrrev_b32_e32 v41, 2, v47
	v_and_b32_e32 v43, 0x3030303, v41
	v_bfe_u32 v41, v41, 24, 2
	v_sub_u16_sdwa v41, v41, v44 dst_sel:BYTE_1 dst_unused:UNUSED_PAD src0_sel:DWORD src1_sel:BYTE_3
	v_sub_u16_e32 v45, v43, v44
	v_sub_u16_sdwa v46, v43, v44 dst_sel:BYTE_1 dst_unused:UNUSED_PAD src0_sel:BYTE_1 src1_sel:BYTE_1
	v_sub_u16_sdwa v43, v43, v44 dst_sel:DWORD dst_unused:UNUSED_PAD src0_sel:WORD_1 src1_sel:WORD_1
	v_or_b32_sdwa v44, v45, v46 dst_sel:DWORD dst_unused:UNUSED_PAD src0_sel:BYTE_0 src1_sel:DWORD
	v_or_b32_sdwa v41, v43, v41 dst_sel:WORD_1 dst_unused:UNUSED_PAD src0_sel:BYTE_0 src1_sel:DWORD
	v_or_b32_sdwa v41, v44, v41 dst_sel:DWORD dst_unused:UNUSED_PAD src0_sel:WORD_0 src1_sel:DWORD
	s_waitcnt vmcnt(0)
	v_dot4c_i32_i8_e32 v59, v41, v40
	v_lshrrev_b32_e32 v40, 6, v47
	v_lshrrev_b32_e32 v41, 30, v47
	v_and_b32_e32 v40, 0x3030303, v40
	v_sub_u16_sdwa v41, v41, v42 dst_sel:BYTE_1 dst_unused:UNUSED_PAD src0_sel:DWORD src1_sel:BYTE_3
	v_sub_u16_e32 v43, v40, v42
	v_sub_u16_sdwa v44, v40, v42 dst_sel:BYTE_1 dst_unused:UNUSED_PAD src0_sel:BYTE_1 src1_sel:BYTE_1
	v_sub_u16_sdwa v40, v40, v42 dst_sel:DWORD dst_unused:UNUSED_PAD src0_sel:WORD_1 src1_sel:WORD_1
	v_or_b32_sdwa v42, v43, v44 dst_sel:DWORD dst_unused:UNUSED_PAD src0_sel:BYTE_0 src1_sel:DWORD
	v_or_b32_sdwa v40, v40, v41 dst_sel:WORD_1 dst_unused:UNUSED_PAD src0_sel:BYTE_0 src1_sel:DWORD
	v_or_b32_sdwa v40, v42, v40 dst_sel:DWORD dst_unused:UNUSED_PAD src0_sel:WORD_0 src1_sel:DWORD
	v_dot4c_i32_i8_e32 v60, v40, v49
	v_add_co_u32_e32 v40, vcc, v24, v0
	v_addc_co_u32_e32 v41, vcc, v25, v3, vcc
	v_add_co_u32_e32 v42, vcc, v24, v6
	v_addc_co_u32_e32 v43, vcc, v25, v7, vcc
	;; [unrolled: 2-line block ×8, first 2 shown]
	global_load_ushort v61, v[24:25], off offset:108
	global_load_ubyte v62, v[40:41], off offset:96
	global_load_ubyte v63, v[42:43], off offset:104
                                        ; kill: killed $vgpr40 killed $vgpr41
                                        ; kill: killed $vgpr24 killed $vgpr25
                                        ; kill: killed $vgpr42 killed $vgpr43
	s_nop 0
	global_load_ubyte v24, v[44:45], off offset:96
	global_load_ubyte v25, v[46:47], off offset:104
	;; [unrolled: 1-line block ×6, first 2 shown]
                                        ; kill: killed $vgpr44 killed $vgpr45
                                        ; kill: killed $vgpr48 killed $vgpr49
                                        ; kill: killed $vgpr46 killed $vgpr47
                                        ; kill: killed $vgpr50 killed $vgpr51
                                        ; kill: killed $vgpr52 killed $vgpr53
                                        ; kill: killed $vgpr54 killed $vgpr55
	global_load_dword v44, v[22:23], off
	global_load_dword v45, v[22:23], off offset:36
	global_load_dword v46, v[22:23], off offset:72
	v_cmp_le_u32_e32 vcc, s6, v28
	s_or_b64 s[4:5], vcc, s[4:5]
	s_waitcnt vmcnt(10)
	v_bfe_u32 v22, v62, v31, 4
	s_waitcnt vmcnt(9)
	v_lshrrev_b32_e32 v23, v32, v63
	v_lshlrev_b32_e32 v23, 4, v23
	v_and_or_b32 v22, v23, 48, v22
	v_subrev_u32_e32 v22, 32, v22
	s_waitcnt vmcnt(8)
	v_bfe_u32 v23, v24, v33, 4
	s_waitcnt vmcnt(7)
	v_lshrrev_b32_e32 v24, v34, v25
	v_lshlrev_b32_e32 v24, 4, v24
	s_waitcnt vmcnt(5)
	v_lshrrev_b32_e32 v25, v36, v41
	v_and_or_b32 v23, v24, 48, v23
	v_bfe_u32 v24, v40, v35, 4
	v_lshlrev_b32_e32 v25, 4, v25
	s_waitcnt vmcnt(3)
	v_lshrrev_b32_e32 v40, v38, v43
	v_and_or_b32 v24, v25, 48, v24
	v_bfe_u32 v25, v42, v37, 4
	v_lshlrev_b32_e32 v40, 4, v40
	v_mul_lo_u32 v22, v22, v57
	v_subrev_u32_e32 v23, 32, v23
	v_and_or_b32 v25, v40, 48, v25
	v_subrev_u32_e32 v24, 32, v24
	v_mul_lo_u32 v23, v23, v59
	v_cvt_f32_i32_e32 v22, v22
	v_mul_lo_u32 v24, v24, v56
	v_subrev_u32_e32 v25, 32, v25
	v_cvt_f32_i32_e32 v23, v23
	v_mul_lo_u32 v25, v25, v60
	v_cvt_f32_i32_e32 v24, v24
	v_cvt_f32_i32_e32 v25, v25
	s_waitcnt vmcnt(2)
	v_fma_mix_f32 v22, v44, v22, 0 op_sel_hi:[1,0,0]
	s_waitcnt vmcnt(1)
	v_fma_mix_f32 v22, v45, v23, v22 op_sel_hi:[1,0,0]
	;; [unrolled: 2-line block ×3, first 2 shown]
	v_fma_mix_f32 v22, v58, v25, v22 op_sel_hi:[1,0,0]
	v_fma_mix_f32 v1, v22, v61, v1 op_sel_hi:[0,1,0]
	s_andn2_b64 exec, exec, s[4:5]
	s_cbranch_execnz .LBB64_3
; %bb.4:
	s_or_b64 exec, exec, s[4:5]
.LBB64_5:
	s_or_b64 exec, exec, s[10:11]
	v_mbcnt_lo_u32_b32 v0, -1, 0
	v_mbcnt_hi_u32_b32 v2, -1, v0
	v_and_b32_e32 v0, 64, v2
	v_add_u32_e32 v3, 64, v0
	v_xor_b32_e32 v0, 32, v2
	v_cmp_lt_i32_e32 vcc, v0, v3
	v_cndmask_b32_e32 v0, v2, v0, vcc
	v_lshlrev_b32_e32 v0, 2, v0
	ds_bpermute_b32 v0, v0, v1
	v_xor_b32_e32 v4, 16, v2
	v_cmp_lt_i32_e32 vcc, v4, v3
	s_waitcnt lgkmcnt(0)
	v_add_f32_e32 v0, v1, v0
	v_cndmask_b32_e32 v1, v2, v4, vcc
	v_lshlrev_b32_e32 v1, 2, v1
	ds_bpermute_b32 v1, v1, v0
	v_xor_b32_e32 v4, 8, v2
	v_cmp_lt_i32_e32 vcc, v4, v3
	s_waitcnt lgkmcnt(0)
	v_add_f32_e32 v0, v0, v1
	;; [unrolled: 7-line block ×5, first 2 shown]
	v_cndmask_b32_e32 v1, v2, v4, vcc
	v_lshlrev_b32_e32 v1, 2, v1
	ds_bpermute_b32 v1, v1, v0
	v_cmp_eq_u32_e32 vcc, 0, v27
	s_and_b64 exec, exec, vcc
	s_cbranch_execz .LBB64_7
; %bb.6:
	s_mul_i32 s7, s7, s9
	s_waitcnt lgkmcnt(0)
	v_add_f32_e32 v2, v0, v1
	v_add_u32_e32 v0, s7, v26
	v_mov_b32_e32 v1, 0
	v_lshlrev_b64 v[0:1], 2, v[0:1]
	v_mov_b32_e32 v3, s3
	v_add_co_u32_e32 v0, vcc, s2, v0
	v_addc_co_u32_e32 v1, vcc, v3, v1, vcc
	global_store_dword v[0:1], v2, off
.LBB64_7:
	s_endpgm
	.section	.rodata,"a",@progbits
	.p2align	6, 0x0
	.amdhsa_kernel _ZL13mul_mat_vec_qIfLi256ELi16E10block_q3_KLi1EXadL_ZL17vec_dot_q3_K_q8_1PKvPK10block_q8_1RKiEEEvS2_S2_PT_iii
		.amdhsa_group_segment_fixed_size 0
		.amdhsa_private_segment_fixed_size 0
		.amdhsa_kernarg_size 296
		.amdhsa_user_sgpr_count 6
		.amdhsa_user_sgpr_private_segment_buffer 1
		.amdhsa_user_sgpr_dispatch_ptr 0
		.amdhsa_user_sgpr_queue_ptr 0
		.amdhsa_user_sgpr_kernarg_segment_ptr 1
		.amdhsa_user_sgpr_dispatch_id 0
		.amdhsa_user_sgpr_flat_scratch_init 0
		.amdhsa_user_sgpr_kernarg_preload_length 0
		.amdhsa_user_sgpr_kernarg_preload_offset 0
		.amdhsa_user_sgpr_private_segment_size 0
		.amdhsa_uses_dynamic_stack 0
		.amdhsa_system_sgpr_private_segment_wavefront_offset 0
		.amdhsa_system_sgpr_workgroup_id_x 1
		.amdhsa_system_sgpr_workgroup_id_y 1
		.amdhsa_system_sgpr_workgroup_id_z 0
		.amdhsa_system_sgpr_workgroup_info 0
		.amdhsa_system_vgpr_workitem_id 1
		.amdhsa_next_free_vgpr 64
		.amdhsa_next_free_sgpr 16
		.amdhsa_accum_offset 64
		.amdhsa_reserve_vcc 1
		.amdhsa_reserve_flat_scratch 0
		.amdhsa_float_round_mode_32 0
		.amdhsa_float_round_mode_16_64 0
		.amdhsa_float_denorm_mode_32 3
		.amdhsa_float_denorm_mode_16_64 3
		.amdhsa_dx10_clamp 1
		.amdhsa_ieee_mode 1
		.amdhsa_fp16_overflow 0
		.amdhsa_tg_split 0
		.amdhsa_exception_fp_ieee_invalid_op 0
		.amdhsa_exception_fp_denorm_src 0
		.amdhsa_exception_fp_ieee_div_zero 0
		.amdhsa_exception_fp_ieee_overflow 0
		.amdhsa_exception_fp_ieee_underflow 0
		.amdhsa_exception_fp_ieee_inexact 0
		.amdhsa_exception_int_div_zero 0
	.end_amdhsa_kernel
	.section	.text._ZL13mul_mat_vec_qIfLi256ELi16E10block_q3_KLi1EXadL_ZL17vec_dot_q3_K_q8_1PKvPK10block_q8_1RKiEEEvS2_S2_PT_iii,"axG",@progbits,_ZL13mul_mat_vec_qIfLi256ELi16E10block_q3_KLi1EXadL_ZL17vec_dot_q3_K_q8_1PKvPK10block_q8_1RKiEEEvS2_S2_PT_iii,comdat
.Lfunc_end64:
	.size	_ZL13mul_mat_vec_qIfLi256ELi16E10block_q3_KLi1EXadL_ZL17vec_dot_q3_K_q8_1PKvPK10block_q8_1RKiEEEvS2_S2_PT_iii, .Lfunc_end64-_ZL13mul_mat_vec_qIfLi256ELi16E10block_q3_KLi1EXadL_ZL17vec_dot_q3_K_q8_1PKvPK10block_q8_1RKiEEEvS2_S2_PT_iii
                                        ; -- End function
	.section	.AMDGPU.csdata,"",@progbits
; Kernel info:
; codeLenInByte = 1996
; NumSgprs: 20
; NumVgprs: 64
; NumAgprs: 0
; TotalNumVgprs: 64
; ScratchSize: 0
; MemoryBound: 0
; FloatMode: 240
; IeeeMode: 1
; LDSByteSize: 0 bytes/workgroup (compile time only)
; SGPRBlocks: 2
; VGPRBlocks: 7
; NumSGPRsForWavesPerEU: 20
; NumVGPRsForWavesPerEU: 64
; AccumOffset: 64
; Occupancy: 8
; WaveLimiterHint : 0
; COMPUTE_PGM_RSRC2:SCRATCH_EN: 0
; COMPUTE_PGM_RSRC2:USER_SGPR: 6
; COMPUTE_PGM_RSRC2:TRAP_HANDLER: 0
; COMPUTE_PGM_RSRC2:TGID_X_EN: 1
; COMPUTE_PGM_RSRC2:TGID_Y_EN: 1
; COMPUTE_PGM_RSRC2:TGID_Z_EN: 0
; COMPUTE_PGM_RSRC2:TIDIG_COMP_CNT: 1
; COMPUTE_PGM_RSRC3_GFX90A:ACCUM_OFFSET: 15
; COMPUTE_PGM_RSRC3_GFX90A:TG_SPLIT: 0
	.section	.text._ZL13mul_mat_vec_qIfLi256ELi32E10block_q4_KLi2EXadL_ZL17vec_dot_q4_K_q8_1PKvPK10block_q8_1RKiEEEvS2_S2_PT_iii,"axG",@progbits,_ZL13mul_mat_vec_qIfLi256ELi32E10block_q4_KLi2EXadL_ZL17vec_dot_q4_K_q8_1PKvPK10block_q8_1RKiEEEvS2_S2_PT_iii,comdat
	.globl	_ZL13mul_mat_vec_qIfLi256ELi32E10block_q4_KLi2EXadL_ZL17vec_dot_q4_K_q8_1PKvPK10block_q8_1RKiEEEvS2_S2_PT_iii ; -- Begin function _ZL13mul_mat_vec_qIfLi256ELi32E10block_q4_KLi2EXadL_ZL17vec_dot_q4_K_q8_1PKvPK10block_q8_1RKiEEEvS2_S2_PT_iii
	.p2align	8
	.type	_ZL13mul_mat_vec_qIfLi256ELi32E10block_q4_KLi2EXadL_ZL17vec_dot_q4_K_q8_1PKvPK10block_q8_1RKiEEEvS2_S2_PT_iii,@function
_ZL13mul_mat_vec_qIfLi256ELi32E10block_q4_KLi2EXadL_ZL17vec_dot_q4_K_q8_1PKvPK10block_q8_1RKiEEEvS2_S2_PT_iii: ; @_ZL13mul_mat_vec_qIfLi256ELi32E10block_q4_KLi2EXadL_ZL17vec_dot_q4_K_q8_1PKvPK10block_q8_1RKiEEEvS2_S2_PT_iii
; %bb.0:
	s_load_dword s0, s[4:5], 0x34
	s_load_dwordx4 s[8:11], s[4:5], 0x18
	v_bfe_u32 v1, v0, 10, 10
	s_waitcnt lgkmcnt(0)
	s_lshr_b32 s0, s0, 16
	s_mul_i32 s6, s6, s0
	v_add_u32_e32 v1, s6, v1
	s_cmp_lt_u32 s7, s10
	v_cmp_gt_u32_e32 vcc, s9, v1
	s_cselect_b64 s[0:1], -1, 0
	s_and_b64 s[0:1], s[0:1], vcc
	s_and_saveexec_b64 s[2:3], s[0:1]
	s_cbranch_execz .LBB65_11
; %bb.1:
	s_load_dwordx2 s[2:3], s[4:5], 0x10
	s_ashr_i32 s0, s8, 31
	s_lshr_b32 s0, s0, 24
	s_add_i32 s0, s8, s0
	v_and_b32_e32 v3, 0x3ff, v0
	s_ashr_i32 s6, s0, 8
	v_lshrrev_b32_e32 v13, 4, v3
	v_cmp_gt_u32_e32 vcc, s6, v13
	v_mov_b32_e32 v12, 0
	s_and_saveexec_b64 s[10:11], vcc
	s_cbranch_execz .LBB65_9
; %bb.2:
	s_add_i32 s0, s8, 0x1ff
	s_load_dwordx4 s[12:15], s[4:5], 0x0
	s_ashr_i32 s1, s0, 31
	s_lshr_b32 s1, s1, 23
	s_add_i32 s0, s0, s1
	v_lshlrev_b32_e32 v0, 1, v3
	s_ashr_i32 s0, s0, 9
	v_and_b32_e32 v4, 30, v0
	v_bfe_u32 v8, v0, 3, 2
	s_mul_i32 s4, s7, s0
	v_and_b32_e32 v10, 3, v3
	v_cmp_lt_u32_e32 vcc, 15, v4
	v_lshlrev_b32_e32 v4, 1, v8
	v_lshlrev_b32_e32 v6, 3, v13
	v_mul_lo_u32 v14, v1, s6
	v_lshlrev_b32_e32 v0, 5, v8
	v_mov_b32_e32 v12, 0
	v_lshlrev_b32_e32 v2, 2, v10
	s_waitcnt lgkmcnt(0)
	v_mad_u64_u32 v[4:5], s[0:1], v4, 36, s[14:15]
	v_lshl_add_u32 v15, s4, 4, v6
	s_mov_b64 s[4:5], 0
	s_movk_i32 s8, 0x90
	v_pk_mov_b32 v[6:7], s[12:13], s[12:13] op_sel:[0,1]
	v_lshlrev_b32_e32 v16, 1, v8
	s_mov_b32 s12, 0x5040100
	s_mov_b32 s13, 0x30303030
	v_lshlrev_b32_e32 v17, 2, v10
	s_branch .LBB65_4
.LBB65_3:                               ;   in Loop: Header=BB65_4 Depth=1
	s_or_b64 exec, exec, s[0:1]
	v_mad_i64_i32 v[10:11], s[0:1], v15, 36, v[4:5]
	v_add_co_u32_e64 v22, s[0:1], v10, v17
	global_load_dword v21, v[10:11], off
	v_addc_co_u32_e64 v23, s[0:1], 0, v11, s[0:1]
	global_load_dword v24, v[8:9], off
	global_load_dword v25, v[22:23], off offset:20
	global_load_dword v26, v[22:23], off offset:40
	;; [unrolled: 1-line block ×5, first 2 shown]
	s_waitcnt vmcnt(8)
	v_and_b32_e32 v11, 0xf0f0f0f, v19
	v_mov_b32_e32 v23, 0
	v_mov_b32_e32 v30, 0
	v_lshrrev_b32_e32 v10, 4, v19
	v_pk_lshrrev_b16 v8, 8, v20 op_sel_hi:[0,1]
	s_waitcnt vmcnt(7)
	v_and_b32_e32 v22, 0xf0f0f0f, v18
	v_and_b32_e32 v9, 0xff00ff, v20
	v_lshrrev_b32_e32 v18, 4, v18
	v_mov_b32_e32 v19, 0
	v_mov_b32_e32 v20, 0
	v_and_b32_e32 v31, 0xf0f0f0f, v10
	v_and_b32_e32 v32, 0xf0f0f0f, v18
	v_lshrrev_b32_e32 v34, 16, v9
	v_and_b32_e32 v35, 0xff, v9
	v_lshrrev_b32_e32 v33, 16, v8
	v_and_b32_e32 v8, 0xff, v8
	v_add_u32_e32 v13, 4, v13
	v_cmp_le_u32_e64 s[0:1], s6, v13
	s_or_b64 s[4:5], s[0:1], s[4:5]
	v_add_u32_e32 v15, 32, v15
	s_waitcnt vmcnt(5)
	v_cvt_f32_f16_sdwa v9, v24 dst_sel:DWORD dst_unused:UNUSED_PAD src0_sel:WORD_1
	s_waitcnt vmcnt(3)
	v_dot4c_i32_i8_e32 v19, v31, v26
	v_dot4c_i32_i8_e32 v20, 0x1010101, v26
	v_cvt_f32_f16_e32 v10, v21
	s_waitcnt vmcnt(0)
	v_dot4c_i32_i8_e32 v23, v11, v29
	v_dot4c_i32_i8_e32 v30, 0x1010101, v29
	;; [unrolled: 1-line block ×6, first 2 shown]
	v_mul_lo_u32 v11, v23, v35
	v_mul_lo_u32 v21, v30, v34
	;; [unrolled: 1-line block ×4, first 2 shown]
	v_cvt_f32_i32_e32 v21, v21
	v_cvt_f32_i32_e32 v20, v11
	v_cvt_f32_f16_e32 v18, v28
	v_cvt_f32_i32_e32 v23, v19
	v_cvt_f32_i32_e32 v22, v8
	v_cvt_f32_f16_e32 v8, v24
	v_pk_fma_f32 v[10:11], v[10:11], v[20:21], 0 op_sel_hi:[0,1,0]
	v_pk_fma_f32 v[10:11], v[18:19], v[22:23], v[10:11] op_sel_hi:[0,1,1]
	v_pk_mul_f32 v[8:9], v[10:11], v[8:9]
	v_sub_f32_e32 v8, v8, v9
	v_add_f32_e32 v12, v12, v8
	s_andn2_b64 exec, exec, s[4:5]
	s_cbranch_execz .LBB65_8
.LBB65_4:                               ; =>This Inner Loop Header: Depth=1
	v_add_u32_e32 v8, v14, v13
	v_mad_i64_i32 v[8:9], s[0:1], v8, s8, v[6:7]
	v_add_co_u32_e64 v10, s[0:1], v8, v0
	v_addc_co_u32_e64 v11, s[0:1], 0, v9, s[0:1]
	v_add_co_u32_e64 v10, s[0:1], v10, v2
	v_addc_co_u32_e64 v11, s[0:1], 0, v11, s[0:1]
	global_load_dword v19, v[10:11], off offset:16
	global_load_dword v18, v[10:11], off offset:32
	v_add_co_u32_e64 v10, s[0:1], v8, v16
	v_addc_co_u32_e64 v11, s[0:1], 0, v9, s[0:1]
                                        ; implicit-def: $vgpr20
	s_and_saveexec_b64 s[0:1], vcc
	s_xor_b64 s[0:1], exec, s[0:1]
	s_cbranch_execz .LBB65_6
; %bb.5:                                ;   in Loop: Header=BB65_4 Depth=1
	global_load_ushort v20, v[10:11], off
	global_load_ushort v21, v[10:11], off offset:8
	global_load_ushort v22, v[10:11], off offset:4
	s_waitcnt vmcnt(1)
	v_lshrrev_b16_e32 v10, 4, v21
	s_waitcnt vmcnt(0)
	v_perm_b32 v11, v22, v20, s12
	v_perm_b32 v10, v10, v21, s12
	v_and_b32_e32 v10, 0xf0f0f0f, v10
	v_pk_lshrrev_b16 v11, 2, v11 op_sel_hi:[0,1]
	v_and_or_b32 v20, v11, s13, v10
                                        ; implicit-def: $vgpr10_vgpr11
.LBB65_6:                               ;   in Loop: Header=BB65_4 Depth=1
	s_andn2_saveexec_b64 s[0:1], s[0:1]
	s_cbranch_execz .LBB65_3
; %bb.7:                                ;   in Loop: Header=BB65_4 Depth=1
	global_load_ushort v20, v[10:11], off offset:4
	global_load_ushort v21, v[10:11], off offset:8
	s_waitcnt vmcnt(0)
	v_perm_b32 v10, v21, v20, s12
	v_and_b32_e32 v20, 0x3f3f3f3f, v10
	s_branch .LBB65_3
.LBB65_8:
	s_or_b64 exec, exec, s[4:5]
.LBB65_9:
	s_or_b64 exec, exec, s[10:11]
	v_mbcnt_lo_u32_b32 v0, -1, 0
	v_mbcnt_hi_u32_b32 v2, -1, v0
	v_and_b32_e32 v0, 64, v2
	v_add_u32_e32 v4, 64, v0
	v_xor_b32_e32 v0, 32, v2
	v_cmp_lt_i32_e32 vcc, v0, v4
	v_cndmask_b32_e32 v0, v2, v0, vcc
	v_lshlrev_b32_e32 v0, 2, v0
	ds_bpermute_b32 v0, v0, v12
	v_xor_b32_e32 v5, 16, v2
	v_cmp_lt_i32_e32 vcc, v5, v4
	v_cndmask_b32_e32 v5, v2, v5, vcc
	v_lshlrev_b32_e32 v5, 2, v5
	s_waitcnt lgkmcnt(0)
	v_add_f32_e32 v0, v12, v0
	ds_bpermute_b32 v5, v5, v0
	v_xor_b32_e32 v6, 8, v2
	v_cmp_lt_i32_e32 vcc, v6, v4
	s_waitcnt lgkmcnt(0)
	v_add_f32_e32 v0, v0, v5
	v_cndmask_b32_e32 v5, v2, v6, vcc
	v_lshlrev_b32_e32 v5, 2, v5
	ds_bpermute_b32 v5, v5, v0
	v_xor_b32_e32 v6, 4, v2
	v_cmp_lt_i32_e32 vcc, v6, v4
	s_waitcnt lgkmcnt(0)
	v_add_f32_e32 v0, v0, v5
	v_cndmask_b32_e32 v5, v2, v6, vcc
	v_lshlrev_b32_e32 v5, 2, v5
	;; [unrolled: 7-line block ×3, first 2 shown]
	ds_bpermute_b32 v5, v5, v0
	v_xor_b32_e32 v6, 1, v2
	v_cmp_lt_i32_e32 vcc, v6, v4
	v_cndmask_b32_e32 v2, v2, v6, vcc
	v_lshlrev_b32_e32 v2, 2, v2
	s_waitcnt lgkmcnt(0)
	v_add_f32_e32 v0, v0, v5
	ds_bpermute_b32 v2, v2, v0
	v_cmp_eq_u32_e32 vcc, 0, v3
	s_and_b64 exec, exec, vcc
	s_cbranch_execz .LBB65_11
; %bb.10:
	s_mul_i32 s7, s7, s9
	s_waitcnt lgkmcnt(0)
	v_add_f32_e32 v2, v0, v2
	v_add_u32_e32 v0, s7, v1
	v_mov_b32_e32 v1, 0
	v_lshlrev_b64 v[0:1], 2, v[0:1]
	v_mov_b32_e32 v3, s3
	v_add_co_u32_e32 v0, vcc, s2, v0
	v_addc_co_u32_e32 v1, vcc, v3, v1, vcc
	global_store_dword v[0:1], v2, off
.LBB65_11:
	s_endpgm
	.section	.rodata,"a",@progbits
	.p2align	6, 0x0
	.amdhsa_kernel _ZL13mul_mat_vec_qIfLi256ELi32E10block_q4_KLi2EXadL_ZL17vec_dot_q4_K_q8_1PKvPK10block_q8_1RKiEEEvS2_S2_PT_iii
		.amdhsa_group_segment_fixed_size 0
		.amdhsa_private_segment_fixed_size 0
		.amdhsa_kernarg_size 296
		.amdhsa_user_sgpr_count 6
		.amdhsa_user_sgpr_private_segment_buffer 1
		.amdhsa_user_sgpr_dispatch_ptr 0
		.amdhsa_user_sgpr_queue_ptr 0
		.amdhsa_user_sgpr_kernarg_segment_ptr 1
		.amdhsa_user_sgpr_dispatch_id 0
		.amdhsa_user_sgpr_flat_scratch_init 0
		.amdhsa_user_sgpr_kernarg_preload_length 0
		.amdhsa_user_sgpr_kernarg_preload_offset 0
		.amdhsa_user_sgpr_private_segment_size 0
		.amdhsa_uses_dynamic_stack 0
		.amdhsa_system_sgpr_private_segment_wavefront_offset 0
		.amdhsa_system_sgpr_workgroup_id_x 1
		.amdhsa_system_sgpr_workgroup_id_y 1
		.amdhsa_system_sgpr_workgroup_id_z 0
		.amdhsa_system_sgpr_workgroup_info 0
		.amdhsa_system_vgpr_workitem_id 1
		.amdhsa_next_free_vgpr 36
		.amdhsa_next_free_sgpr 16
		.amdhsa_accum_offset 36
		.amdhsa_reserve_vcc 1
		.amdhsa_reserve_flat_scratch 0
		.amdhsa_float_round_mode_32 0
		.amdhsa_float_round_mode_16_64 0
		.amdhsa_float_denorm_mode_32 3
		.amdhsa_float_denorm_mode_16_64 3
		.amdhsa_dx10_clamp 1
		.amdhsa_ieee_mode 1
		.amdhsa_fp16_overflow 0
		.amdhsa_tg_split 0
		.amdhsa_exception_fp_ieee_invalid_op 0
		.amdhsa_exception_fp_denorm_src 0
		.amdhsa_exception_fp_ieee_div_zero 0
		.amdhsa_exception_fp_ieee_overflow 0
		.amdhsa_exception_fp_ieee_underflow 0
		.amdhsa_exception_fp_ieee_inexact 0
		.amdhsa_exception_int_div_zero 0
	.end_amdhsa_kernel
	.section	.text._ZL13mul_mat_vec_qIfLi256ELi32E10block_q4_KLi2EXadL_ZL17vec_dot_q4_K_q8_1PKvPK10block_q8_1RKiEEEvS2_S2_PT_iii,"axG",@progbits,_ZL13mul_mat_vec_qIfLi256ELi32E10block_q4_KLi2EXadL_ZL17vec_dot_q4_K_q8_1PKvPK10block_q8_1RKiEEEvS2_S2_PT_iii,comdat
.Lfunc_end65:
	.size	_ZL13mul_mat_vec_qIfLi256ELi32E10block_q4_KLi2EXadL_ZL17vec_dot_q4_K_q8_1PKvPK10block_q8_1RKiEEEvS2_S2_PT_iii, .Lfunc_end65-_ZL13mul_mat_vec_qIfLi256ELi32E10block_q4_KLi2EXadL_ZL17vec_dot_q4_K_q8_1PKvPK10block_q8_1RKiEEEvS2_S2_PT_iii
                                        ; -- End function
	.section	.AMDGPU.csdata,"",@progbits
; Kernel info:
; codeLenInByte = 1136
; NumSgprs: 20
; NumVgprs: 36
; NumAgprs: 0
; TotalNumVgprs: 36
; ScratchSize: 0
; MemoryBound: 0
; FloatMode: 240
; IeeeMode: 1
; LDSByteSize: 0 bytes/workgroup (compile time only)
; SGPRBlocks: 2
; VGPRBlocks: 4
; NumSGPRsForWavesPerEU: 20
; NumVGPRsForWavesPerEU: 36
; AccumOffset: 36
; Occupancy: 8
; WaveLimiterHint : 0
; COMPUTE_PGM_RSRC2:SCRATCH_EN: 0
; COMPUTE_PGM_RSRC2:USER_SGPR: 6
; COMPUTE_PGM_RSRC2:TRAP_HANDLER: 0
; COMPUTE_PGM_RSRC2:TGID_X_EN: 1
; COMPUTE_PGM_RSRC2:TGID_Y_EN: 1
; COMPUTE_PGM_RSRC2:TGID_Z_EN: 0
; COMPUTE_PGM_RSRC2:TIDIG_COMP_CNT: 1
; COMPUTE_PGM_RSRC3_GFX90A:ACCUM_OFFSET: 8
; COMPUTE_PGM_RSRC3_GFX90A:TG_SPLIT: 0
	.section	.text._ZL13mul_mat_vec_qIfLi256ELi32E10block_q5_KLi2EXadL_ZL17vec_dot_q5_K_q8_1PKvPK10block_q8_1RKiEEEvS2_S2_PT_iii,"axG",@progbits,_ZL13mul_mat_vec_qIfLi256ELi32E10block_q5_KLi2EXadL_ZL17vec_dot_q5_K_q8_1PKvPK10block_q8_1RKiEEEvS2_S2_PT_iii,comdat
	.globl	_ZL13mul_mat_vec_qIfLi256ELi32E10block_q5_KLi2EXadL_ZL17vec_dot_q5_K_q8_1PKvPK10block_q8_1RKiEEEvS2_S2_PT_iii ; -- Begin function _ZL13mul_mat_vec_qIfLi256ELi32E10block_q5_KLi2EXadL_ZL17vec_dot_q5_K_q8_1PKvPK10block_q8_1RKiEEEvS2_S2_PT_iii
	.p2align	8
	.type	_ZL13mul_mat_vec_qIfLi256ELi32E10block_q5_KLi2EXadL_ZL17vec_dot_q5_K_q8_1PKvPK10block_q8_1RKiEEEvS2_S2_PT_iii,@function
_ZL13mul_mat_vec_qIfLi256ELi32E10block_q5_KLi2EXadL_ZL17vec_dot_q5_K_q8_1PKvPK10block_q8_1RKiEEEvS2_S2_PT_iii: ; @_ZL13mul_mat_vec_qIfLi256ELi32E10block_q5_KLi2EXadL_ZL17vec_dot_q5_K_q8_1PKvPK10block_q8_1RKiEEEvS2_S2_PT_iii
; %bb.0:
	s_load_dword s0, s[4:5], 0x34
	s_load_dwordx4 s[8:11], s[4:5], 0x18
	v_bfe_u32 v1, v0, 10, 10
	s_waitcnt lgkmcnt(0)
	s_lshr_b32 s0, s0, 16
	s_mul_i32 s6, s6, s0
	v_add_u32_e32 v1, s6, v1
	s_cmp_lt_u32 s7, s10
	v_cmp_gt_u32_e32 vcc, s9, v1
	s_cselect_b64 s[0:1], -1, 0
	s_and_b64 s[0:1], s[0:1], vcc
	s_and_saveexec_b64 s[2:3], s[0:1]
	s_cbranch_execz .LBB66_11
; %bb.1:
	s_load_dwordx2 s[2:3], s[4:5], 0x10
	s_ashr_i32 s0, s8, 31
	s_lshr_b32 s0, s0, 24
	s_add_i32 s0, s8, s0
	v_and_b32_e32 v3, 0x3ff, v0
	s_ashr_i32 s6, s0, 8
	v_lshrrev_b32_e32 v13, 4, v3
	v_cmp_gt_u32_e32 vcc, s6, v13
	v_mov_b32_e32 v12, 0
	s_and_saveexec_b64 s[10:11], vcc
	s_cbranch_execz .LBB66_9
; %bb.2:
	s_add_i32 s0, s8, 0x1ff
	s_load_dwordx4 s[12:15], s[4:5], 0x0
	s_ashr_i32 s1, s0, 31
	s_lshr_b32 s1, s1, 23
	s_add_i32 s0, s0, s1
	v_lshlrev_b32_e32 v0, 1, v3
	s_ashr_i32 s0, s0, 9
	v_bfe_u32 v8, v0, 3, 2
	s_mul_i32 s4, s7, s0
	v_and_b32_e32 v4, 30, v0
	v_and_b32_e32 v10, 3, v3
	v_lshlrev_b32_e32 v15, 1, v8
	v_lshlrev_b32_e32 v6, 3, v13
	v_mul_lo_u32 v14, v1, s6
	v_lshlrev_b32_e32 v0, 5, v8
	v_mov_b32_e32 v12, 0
	v_lshlrev_b32_e32 v2, 2, v10
	v_cmp_lt_u32_e32 vcc, 15, v4
	s_waitcnt lgkmcnt(0)
	v_mad_u64_u32 v[4:5], s[0:1], v15, 36, s[14:15]
	v_lshl_add_u32 v16, s4, 4, v6
	s_mov_b64 s[4:5], 0
	s_movk_i32 s8, 0xb0
	v_pk_mov_b32 v[6:7], s[12:13], s[12:13] op_sel:[0,1]
	v_lshlrev_b32_e32 v17, 1, v8
	s_mov_b32 s12, 0x5040100
	s_mov_b32 s13, 0x30303030
	v_lshlrev_b32_e32 v18, 2, v10
	s_mov_b32 s14, 0x10101010
	s_branch .LBB66_4
.LBB66_3:                               ;   in Loop: Header=BB66_4 Depth=1
	s_or_b64 exec, exec, s[0:1]
	v_mad_i64_i32 v[10:11], s[0:1], v16, 36, v[4:5]
	v_add_co_u32_e64 v24, s[0:1], v10, v18
	global_load_dword v26, v[10:11], off
	v_addc_co_u32_e64 v25, s[0:1], 0, v11, s[0:1]
	global_load_dword v27, v[8:9], off
	global_load_dword v28, v[24:25], off offset:20
	global_load_dword v29, v[24:25], off offset:40
	;; [unrolled: 1-line block ×5, first 2 shown]
	s_waitcnt vmcnt(7)
	v_ashrrev_i32_e32 v9, v15, v22
	v_ashrrev_i32_e32 v10, v15, v21
	v_and_b32_e32 v21, 0xf0f0f0f, v19
	v_lshrrev_b32_e32 v19, 4, v19
	v_lshlrev_b32_e32 v35, 4, v9
	v_and_b32_e32 v11, 0xf0f0f0f, v20
	v_mov_b32_e32 v22, 0
	v_mov_b32_e32 v24, 0
	v_lshrrev_b32_e32 v20, 4, v20
	v_lshlrev_b32_e32 v34, 4, v10
	v_and_b32_e32 v19, 0xf0f0f0f, v19
	v_lshlrev_b32_e32 v9, 3, v9
	v_and_or_b32 v21, v35, s14, v21
	v_pk_lshrrev_b16 v8, 8, v23 op_sel_hi:[0,1]
	v_and_b32_e32 v23, 0xff00ff, v23
	v_mov_b32_e32 v25, 0
	v_mov_b32_e32 v33, 0
	v_and_b32_e32 v20, 0xf0f0f0f, v20
	v_lshlrev_b32_e32 v10, 3, v10
	v_and_or_b32 v11, v34, s14, v11
	v_and_or_b32 v19, v9, s14, v19
	v_lshrrev_b32_e32 v37, 16, v23
	v_and_b32_e32 v23, 0xff, v23
	v_and_or_b32 v34, v10, s14, v20
	v_lshrrev_b32_e32 v36, 16, v8
	v_and_b32_e32 v8, 0xff, v8
	v_add_u32_e32 v13, 4, v13
	v_cmp_le_u32_e64 s[0:1], s6, v13
	s_or_b64 s[4:5], s[0:1], s[4:5]
	v_add_u32_e32 v16, 32, v16
	s_waitcnt vmcnt(5)
	v_cvt_f32_f16_sdwa v9, v27 dst_sel:DWORD dst_unused:UNUSED_PAD src0_sel:WORD_1
	s_waitcnt vmcnt(4)
	v_dot4c_i32_i8_e32 v22, v21, v28
	v_dot4c_i32_i8_e32 v24, 0x1010101, v28
	s_waitcnt vmcnt(2)
	v_dot4c_i32_i8_e32 v25, v19, v30
	v_dot4c_i32_i8_e32 v33, 0x1010101, v30
	;; [unrolled: 3-line block ×3, first 2 shown]
	v_dot4c_i32_i8_e32 v25, v34, v29
	v_dot4c_i32_i8_e32 v33, 0x1010101, v29
	v_mul_lo_u32 v11, v22, v23
	v_mul_lo_u32 v19, v24, v37
	v_cvt_f32_f16_e32 v10, v26
	v_mul_lo_u32 v8, v25, v8
	v_mul_lo_u32 v21, v33, v36
	v_cvt_f32_i32_e32 v23, v19
	v_cvt_f32_i32_e32 v22, v11
	v_cvt_f32_f16_e32 v20, v31
	v_cvt_f32_i32_e32 v25, v21
	v_cvt_f32_i32_e32 v24, v8
	v_cvt_f32_f16_e32 v8, v27
	v_pk_fma_f32 v[10:11], v[10:11], v[22:23], 0 op_sel_hi:[0,1,0]
	v_pk_fma_f32 v[10:11], v[20:21], v[24:25], v[10:11] op_sel_hi:[0,1,1]
	v_pk_mul_f32 v[8:9], v[10:11], v[8:9]
	v_sub_f32_e32 v8, v8, v9
	v_add_f32_e32 v12, v12, v8
	s_andn2_b64 exec, exec, s[4:5]
	s_cbranch_execz .LBB66_8
.LBB66_4:                               ; =>This Inner Loop Header: Depth=1
	v_add_u32_e32 v8, v14, v13
	v_mad_i64_i32 v[8:9], s[0:1], v8, s8, v[6:7]
	v_add_co_u32_e64 v10, s[0:1], v8, v2
	v_addc_co_u32_e64 v11, s[0:1], 0, v9, s[0:1]
	v_add_co_u32_e64 v24, s[0:1], v10, v0
	v_addc_co_u32_e64 v25, s[0:1], 0, v11, s[0:1]
	global_load_dword v19, v[24:25], off offset:64
	global_load_dword v21, v[10:11], off offset:16
	;; [unrolled: 1-line block ×4, first 2 shown]
	v_add_co_u32_e64 v10, s[0:1], v8, v17
	v_addc_co_u32_e64 v11, s[0:1], 0, v9, s[0:1]
                                        ; implicit-def: $vgpr23
	s_and_saveexec_b64 s[0:1], vcc
	s_xor_b64 s[0:1], exec, s[0:1]
	s_cbranch_execz .LBB66_6
; %bb.5:                                ;   in Loop: Header=BB66_4 Depth=1
	global_load_ushort v23, v[10:11], off
	global_load_ushort v24, v[10:11], off offset:8
	global_load_ushort v25, v[10:11], off offset:4
	s_waitcnt vmcnt(1)
	v_lshrrev_b16_e32 v10, 4, v24
	s_waitcnt vmcnt(0)
	v_perm_b32 v11, v25, v23, s12
	v_perm_b32 v10, v10, v24, s12
	v_and_b32_e32 v10, 0xf0f0f0f, v10
	v_pk_lshrrev_b16 v11, 2, v11 op_sel_hi:[0,1]
	v_and_or_b32 v23, v11, s13, v10
                                        ; implicit-def: $vgpr10_vgpr11
.LBB66_6:                               ;   in Loop: Header=BB66_4 Depth=1
	s_andn2_saveexec_b64 s[0:1], s[0:1]
	s_cbranch_execz .LBB66_3
; %bb.7:                                ;   in Loop: Header=BB66_4 Depth=1
	global_load_ushort v23, v[10:11], off offset:4
	global_load_ushort v24, v[10:11], off offset:8
	s_waitcnt vmcnt(0)
	v_perm_b32 v10, v24, v23, s12
	v_and_b32_e32 v23, 0x3f3f3f3f, v10
	s_branch .LBB66_3
.LBB66_8:
	s_or_b64 exec, exec, s[4:5]
.LBB66_9:
	s_or_b64 exec, exec, s[10:11]
	v_mbcnt_lo_u32_b32 v0, -1, 0
	v_mbcnt_hi_u32_b32 v2, -1, v0
	v_and_b32_e32 v0, 64, v2
	v_add_u32_e32 v4, 64, v0
	v_xor_b32_e32 v0, 32, v2
	v_cmp_lt_i32_e32 vcc, v0, v4
	v_cndmask_b32_e32 v0, v2, v0, vcc
	v_lshlrev_b32_e32 v0, 2, v0
	ds_bpermute_b32 v0, v0, v12
	v_xor_b32_e32 v5, 16, v2
	v_cmp_lt_i32_e32 vcc, v5, v4
	v_cndmask_b32_e32 v5, v2, v5, vcc
	v_lshlrev_b32_e32 v5, 2, v5
	s_waitcnt lgkmcnt(0)
	v_add_f32_e32 v0, v12, v0
	ds_bpermute_b32 v5, v5, v0
	v_xor_b32_e32 v6, 8, v2
	v_cmp_lt_i32_e32 vcc, v6, v4
	s_waitcnt lgkmcnt(0)
	v_add_f32_e32 v0, v0, v5
	v_cndmask_b32_e32 v5, v2, v6, vcc
	v_lshlrev_b32_e32 v5, 2, v5
	ds_bpermute_b32 v5, v5, v0
	v_xor_b32_e32 v6, 4, v2
	v_cmp_lt_i32_e32 vcc, v6, v4
	s_waitcnt lgkmcnt(0)
	v_add_f32_e32 v0, v0, v5
	v_cndmask_b32_e32 v5, v2, v6, vcc
	v_lshlrev_b32_e32 v5, 2, v5
	;; [unrolled: 7-line block ×3, first 2 shown]
	ds_bpermute_b32 v5, v5, v0
	v_xor_b32_e32 v6, 1, v2
	v_cmp_lt_i32_e32 vcc, v6, v4
	v_cndmask_b32_e32 v2, v2, v6, vcc
	v_lshlrev_b32_e32 v2, 2, v2
	s_waitcnt lgkmcnt(0)
	v_add_f32_e32 v0, v0, v5
	ds_bpermute_b32 v2, v2, v0
	v_cmp_eq_u32_e32 vcc, 0, v3
	s_and_b64 exec, exec, vcc
	s_cbranch_execz .LBB66_11
; %bb.10:
	s_mul_i32 s7, s7, s9
	s_waitcnt lgkmcnt(0)
	v_add_f32_e32 v2, v0, v2
	v_add_u32_e32 v0, s7, v1
	v_mov_b32_e32 v1, 0
	v_lshlrev_b64 v[0:1], 2, v[0:1]
	v_mov_b32_e32 v3, s3
	v_add_co_u32_e32 v0, vcc, s2, v0
	v_addc_co_u32_e32 v1, vcc, v3, v1, vcc
	global_store_dword v[0:1], v2, off
.LBB66_11:
	s_endpgm
	.section	.rodata,"a",@progbits
	.p2align	6, 0x0
	.amdhsa_kernel _ZL13mul_mat_vec_qIfLi256ELi32E10block_q5_KLi2EXadL_ZL17vec_dot_q5_K_q8_1PKvPK10block_q8_1RKiEEEvS2_S2_PT_iii
		.amdhsa_group_segment_fixed_size 0
		.amdhsa_private_segment_fixed_size 0
		.amdhsa_kernarg_size 296
		.amdhsa_user_sgpr_count 6
		.amdhsa_user_sgpr_private_segment_buffer 1
		.amdhsa_user_sgpr_dispatch_ptr 0
		.amdhsa_user_sgpr_queue_ptr 0
		.amdhsa_user_sgpr_kernarg_segment_ptr 1
		.amdhsa_user_sgpr_dispatch_id 0
		.amdhsa_user_sgpr_flat_scratch_init 0
		.amdhsa_user_sgpr_kernarg_preload_length 0
		.amdhsa_user_sgpr_kernarg_preload_offset 0
		.amdhsa_user_sgpr_private_segment_size 0
		.amdhsa_uses_dynamic_stack 0
		.amdhsa_system_sgpr_private_segment_wavefront_offset 0
		.amdhsa_system_sgpr_workgroup_id_x 1
		.amdhsa_system_sgpr_workgroup_id_y 1
		.amdhsa_system_sgpr_workgroup_id_z 0
		.amdhsa_system_sgpr_workgroup_info 0
		.amdhsa_system_vgpr_workitem_id 1
		.amdhsa_next_free_vgpr 38
		.amdhsa_next_free_sgpr 16
		.amdhsa_accum_offset 40
		.amdhsa_reserve_vcc 1
		.amdhsa_reserve_flat_scratch 0
		.amdhsa_float_round_mode_32 0
		.amdhsa_float_round_mode_16_64 0
		.amdhsa_float_denorm_mode_32 3
		.amdhsa_float_denorm_mode_16_64 3
		.amdhsa_dx10_clamp 1
		.amdhsa_ieee_mode 1
		.amdhsa_fp16_overflow 0
		.amdhsa_tg_split 0
		.amdhsa_exception_fp_ieee_invalid_op 0
		.amdhsa_exception_fp_denorm_src 0
		.amdhsa_exception_fp_ieee_div_zero 0
		.amdhsa_exception_fp_ieee_overflow 0
		.amdhsa_exception_fp_ieee_underflow 0
		.amdhsa_exception_fp_ieee_inexact 0
		.amdhsa_exception_int_div_zero 0
	.end_amdhsa_kernel
	.section	.text._ZL13mul_mat_vec_qIfLi256ELi32E10block_q5_KLi2EXadL_ZL17vec_dot_q5_K_q8_1PKvPK10block_q8_1RKiEEEvS2_S2_PT_iii,"axG",@progbits,_ZL13mul_mat_vec_qIfLi256ELi32E10block_q5_KLi2EXadL_ZL17vec_dot_q5_K_q8_1PKvPK10block_q8_1RKiEEEvS2_S2_PT_iii,comdat
.Lfunc_end66:
	.size	_ZL13mul_mat_vec_qIfLi256ELi32E10block_q5_KLi2EXadL_ZL17vec_dot_q5_K_q8_1PKvPK10block_q8_1RKiEEEvS2_S2_PT_iii, .Lfunc_end66-_ZL13mul_mat_vec_qIfLi256ELi32E10block_q5_KLi2EXadL_ZL17vec_dot_q5_K_q8_1PKvPK10block_q8_1RKiEEEvS2_S2_PT_iii
                                        ; -- End function
	.section	.AMDGPU.csdata,"",@progbits
; Kernel info:
; codeLenInByte = 1216
; NumSgprs: 20
; NumVgprs: 38
; NumAgprs: 0
; TotalNumVgprs: 38
; ScratchSize: 0
; MemoryBound: 0
; FloatMode: 240
; IeeeMode: 1
; LDSByteSize: 0 bytes/workgroup (compile time only)
; SGPRBlocks: 2
; VGPRBlocks: 4
; NumSGPRsForWavesPerEU: 20
; NumVGPRsForWavesPerEU: 38
; AccumOffset: 40
; Occupancy: 8
; WaveLimiterHint : 0
; COMPUTE_PGM_RSRC2:SCRATCH_EN: 0
; COMPUTE_PGM_RSRC2:USER_SGPR: 6
; COMPUTE_PGM_RSRC2:TRAP_HANDLER: 0
; COMPUTE_PGM_RSRC2:TGID_X_EN: 1
; COMPUTE_PGM_RSRC2:TGID_Y_EN: 1
; COMPUTE_PGM_RSRC2:TGID_Z_EN: 0
; COMPUTE_PGM_RSRC2:TIDIG_COMP_CNT: 1
; COMPUTE_PGM_RSRC3_GFX90A:ACCUM_OFFSET: 9
; COMPUTE_PGM_RSRC3_GFX90A:TG_SPLIT: 0
	.section	.text._ZL13mul_mat_vec_qIfLi256ELi32E10block_q6_KLi1EXadL_ZL17vec_dot_q6_K_q8_1PKvPK10block_q8_1RKiEEEvS2_S2_PT_iii,"axG",@progbits,_ZL13mul_mat_vec_qIfLi256ELi32E10block_q6_KLi1EXadL_ZL17vec_dot_q6_K_q8_1PKvPK10block_q8_1RKiEEEvS2_S2_PT_iii,comdat
	.globl	_ZL13mul_mat_vec_qIfLi256ELi32E10block_q6_KLi1EXadL_ZL17vec_dot_q6_K_q8_1PKvPK10block_q8_1RKiEEEvS2_S2_PT_iii ; -- Begin function _ZL13mul_mat_vec_qIfLi256ELi32E10block_q6_KLi1EXadL_ZL17vec_dot_q6_K_q8_1PKvPK10block_q8_1RKiEEEvS2_S2_PT_iii
	.p2align	8
	.type	_ZL13mul_mat_vec_qIfLi256ELi32E10block_q6_KLi1EXadL_ZL17vec_dot_q6_K_q8_1PKvPK10block_q8_1RKiEEEvS2_S2_PT_iii,@function
_ZL13mul_mat_vec_qIfLi256ELi32E10block_q6_KLi1EXadL_ZL17vec_dot_q6_K_q8_1PKvPK10block_q8_1RKiEEEvS2_S2_PT_iii: ; @_ZL13mul_mat_vec_qIfLi256ELi32E10block_q6_KLi1EXadL_ZL17vec_dot_q6_K_q8_1PKvPK10block_q8_1RKiEEEvS2_S2_PT_iii
; %bb.0:
	s_load_dword s8, s[4:5], 0x34
	s_load_dwordx4 s[0:3], s[4:5], 0x18
	v_bfe_u32 v1, v0, 10, 10
	s_waitcnt lgkmcnt(0)
	s_lshr_b32 s3, s8, 16
	s_mul_i32 s6, s6, s3
	v_add_u32_e32 v1, s6, v1
	s_cmp_lt_u32 s7, s2
	v_cmp_gt_u32_e32 vcc, s1, v1
	s_cselect_b64 s[2:3], -1, 0
	s_and_b64 s[2:3], s[2:3], vcc
	s_and_saveexec_b64 s[8:9], s[2:3]
	s_cbranch_execz .LBB67_7
; %bb.1:
	s_load_dwordx2 s[2:3], s[4:5], 0x10
	s_ashr_i32 s6, s0, 31
	s_lshr_b32 s6, s6, 24
	s_add_i32 s6, s0, s6
	v_and_b32_e32 v3, 0x3ff, v0
	s_ashr_i32 s6, s6, 8
	v_lshrrev_b32_e32 v5, 5, v3
	v_cmp_gt_u32_e32 vcc, s6, v5
	v_mov_b32_e32 v9, 0
	s_and_saveexec_b64 s[8:9], vcc
	s_cbranch_execz .LBB67_5
; %bb.2:
	v_and_b32_e32 v0, 31, v3
	v_add_u32_e32 v2, 0xf0, v0
	v_cmp_gt_u32_e32 vcc, 16, v0
	v_cndmask_b32_e32 v8, v2, v0, vcc
	s_load_dwordx4 s[12:15], s[4:5], 0x0
	s_addk_i32 s0, 0x1ff
	v_and_b32_e32 v2, 0xf8, v8
	s_ashr_i32 s4, s0, 31
	v_cmp_ne_u32_e32 vcc, 0, v2
	s_lshr_b32 s4, s4, 23
	v_cndmask_b32_e64 v10, 0, 1, vcc
	v_cmp_lt_u32_e32 vcc, 15, v0
	s_add_i32 s0, s0, s4
	v_cndmask_b32_e64 v2, 0, 1, vcc
	s_ashr_i32 s0, s0, 9
	v_lshl_or_b32 v6, v2, 2, v10
	v_lshlrev_b32_e32 v11, 3, v2
	v_and_b32_e32 v4, 7, v3
	s_mul_i32 s0, s7, s0
	v_or_b32_e32 v2, v11, v4
	s_waitcnt lgkmcnt(0)
	v_mad_u64_u32 v[6:7], s[4:5], v6, 36, s[14:15]
	v_lshlrev_b32_e32 v13, 1, v10
	v_bfe_u32 v8, v8, 2, 6
	v_lshlrev_b32_e32 v10, 3, v5
	v_mul_lo_u32 v12, v1, s6
	v_lshlrev_b32_e32 v0, 2, v0
	v_mov_b32_e32 v9, 0
	v_lshlrev_b32_e32 v2, 2, v2
	v_lshlrev_b32_e32 v4, 2, v4
	v_add_u32_e32 v8, v8, v11
	v_lshl_add_u32 v14, s0, 4, v10
	s_mov_b64 s[4:5], 0
	s_movk_i32 s0, 0xd2
	v_pk_mov_b32 v[10:11], s[12:13], s[12:13] op_sel:[0,1]
	s_mov_b32 s10, 0xf0f0f0f
	s_mov_b32 s11, 0x30303030
	s_movk_i32 s12, 0x3f00
	s_movk_i32 s13, 0xe000
	v_mov_b32_e32 v15, 8
.LBB67_3:                               ; =>This Inner Loop Header: Depth=1
	v_mad_i64_i32 v[16:17], s[14:15], v14, 36, v[6:7]
	v_add_u32_e32 v18, v12, v5
	v_add_co_u32_e32 v20, vcc, v16, v4
	v_mad_i64_i32 v[18:19], s[14:15], v18, s0, v[10:11]
	v_addc_co_u32_e32 v21, vcc, 0, v17, vcc
	v_add_co_u32_e32 v22, vcc, v18, v0
	v_addc_co_u32_e32 v23, vcc, 0, v19, vcc
	v_add_co_u32_e32 v24, vcc, v18, v2
	v_addc_co_u32_e32 v25, vcc, 0, v19, vcc
	global_load_dword v26, v[24:25], off offset:128
	global_load_dword v27, v[22:23], off
	global_load_dword v28, v[20:21], off offset:4
	global_load_dword v29, v[20:21], off offset:76
	v_add_co_u32_e32 v20, vcc, v18, v8
	v_addc_co_u32_e32 v21, vcc, 0, v19, vcc
	global_load_sbyte v22, v[20:21], off offset:192
	global_load_sbyte v23, v[20:21], off offset:196
	global_load_dword v24, v[16:17], off
	global_load_dword v25, v[16:17], off offset:72
	global_load_ushort v30, v[18:19], off offset:208
	v_mov_b32_e32 v16, 0
	v_mov_b32_e32 v17, 0
	v_add_u32_e32 v5, 2, v5
	v_cmp_le_u32_e32 vcc, s6, v5
	v_add_u32_e32 v14, 16, v14
	s_or_b64 s[4:5], vcc, s[4:5]
	s_waitcnt vmcnt(8)
	v_ashrrev_i32_e32 v18, v13, v26
	s_waitcnt vmcnt(7)
	v_and_b32_e32 v19, 0xf0f0f0f, v27
	v_lshlrev_b32_e32 v21, 4, v18
	v_lshrrev_b32_e32 v20, 4, v27
	v_and_b32_e32 v18, 0x30303030, v18
	v_and_or_b32 v19, v21, s11, v19
	v_and_or_b32 v18, v20, s10, v18
	v_and_b32_e32 v20, 0x3f00, v19
	v_lshlrev_b16_e32 v21, 8, v19
	v_and_b32_sdwa v26, v19, s12 dst_sel:DWORD dst_unused:UNUSED_PAD src0_sel:WORD_1 src1_sel:DWORD
	v_lshlrev_b16_sdwa v19, v15, v19 dst_sel:DWORD dst_unused:UNUSED_PAD src0_sel:DWORD src1_sel:WORD_1
	v_and_b32_e32 v27, 0x3f00, v18
	v_lshlrev_b16_e32 v31, 8, v18
	v_and_b32_sdwa v32, v18, s12 dst_sel:DWORD dst_unused:UNUSED_PAD src0_sel:WORD_1 src1_sel:DWORD
	v_lshlrev_b16_sdwa v18, v15, v18 dst_sel:DWORD dst_unused:UNUSED_PAD src0_sel:DWORD src1_sel:WORD_1
	v_add_u16_e32 v21, 0xe000, v21
	v_add_u16_e32 v19, 0xe000, v19
	;; [unrolled: 1-line block ×4, first 2 shown]
	v_or_b32_sdwa v20, v20, v21 dst_sel:DWORD dst_unused:UNUSED_PAD src0_sel:DWORD src1_sel:BYTE_1
	v_or_b32_sdwa v19, v26, v19 dst_sel:DWORD dst_unused:UNUSED_PAD src0_sel:DWORD src1_sel:BYTE_1
	v_or_b32_sdwa v21, v27, v31 dst_sel:DWORD dst_unused:UNUSED_PAD src0_sel:DWORD src1_sel:BYTE_1
	v_or_b32_sdwa v18, v32, v18 dst_sel:DWORD dst_unused:UNUSED_PAD src0_sel:DWORD src1_sel:BYTE_1
	v_add_u16_e32 v20, 0xe000, v20
	v_add_u16_sdwa v19, v19, s13 dst_sel:WORD_1 dst_unused:UNUSED_PAD src0_sel:DWORD src1_sel:DWORD
	v_add_u16_e32 v21, 0xe000, v21
	v_add_u16_sdwa v18, v18, s13 dst_sel:WORD_1 dst_unused:UNUSED_PAD src0_sel:DWORD src1_sel:DWORD
	v_or_b32_e32 v19, v20, v19
	v_or_b32_e32 v18, v21, v18
	s_waitcnt vmcnt(6)
	v_dot4c_i32_i8_e32 v16, v19, v28
	s_waitcnt vmcnt(5)
	v_dot4c_i32_i8_e32 v17, v18, v29
	s_waitcnt vmcnt(4)
	v_mul_lo_u32 v16, v16, v22
	s_waitcnt vmcnt(3)
	v_mul_lo_u32 v17, v17, v23
	v_cvt_f32_i32_e32 v16, v16
	v_cvt_f32_i32_e32 v17, v17
	s_waitcnt vmcnt(2)
	v_fma_mix_f32 v16, v24, v16, 0 op_sel_hi:[1,0,0]
	s_waitcnt vmcnt(1)
	v_fma_mix_f32 v16, v25, v17, v16 op_sel_hi:[1,0,0]
	;; [unrolled: 2-line block ×3, first 2 shown]
	s_andn2_b64 exec, exec, s[4:5]
	s_cbranch_execnz .LBB67_3
; %bb.4:
	s_or_b64 exec, exec, s[4:5]
.LBB67_5:
	s_or_b64 exec, exec, s[8:9]
	v_mbcnt_lo_u32_b32 v0, -1, 0
	v_mbcnt_hi_u32_b32 v2, -1, v0
	v_and_b32_e32 v0, 64, v2
	v_add_u32_e32 v4, 64, v0
	v_xor_b32_e32 v0, 32, v2
	v_cmp_lt_i32_e32 vcc, v0, v4
	v_cndmask_b32_e32 v0, v2, v0, vcc
	v_lshlrev_b32_e32 v0, 2, v0
	ds_bpermute_b32 v0, v0, v9
	v_xor_b32_e32 v5, 16, v2
	v_cmp_lt_i32_e32 vcc, v5, v4
	v_cndmask_b32_e32 v5, v2, v5, vcc
	v_lshlrev_b32_e32 v5, 2, v5
	s_waitcnt lgkmcnt(0)
	v_add_f32_e32 v0, v9, v0
	ds_bpermute_b32 v5, v5, v0
	v_xor_b32_e32 v6, 8, v2
	v_cmp_lt_i32_e32 vcc, v6, v4
	s_waitcnt lgkmcnt(0)
	v_add_f32_e32 v0, v0, v5
	v_cndmask_b32_e32 v5, v2, v6, vcc
	v_lshlrev_b32_e32 v5, 2, v5
	ds_bpermute_b32 v5, v5, v0
	v_xor_b32_e32 v6, 4, v2
	v_cmp_lt_i32_e32 vcc, v6, v4
	s_waitcnt lgkmcnt(0)
	v_add_f32_e32 v0, v0, v5
	v_cndmask_b32_e32 v5, v2, v6, vcc
	v_lshlrev_b32_e32 v5, 2, v5
	;; [unrolled: 7-line block ×3, first 2 shown]
	ds_bpermute_b32 v5, v5, v0
	v_xor_b32_e32 v6, 1, v2
	v_cmp_lt_i32_e32 vcc, v6, v4
	v_cndmask_b32_e32 v2, v2, v6, vcc
	v_lshlrev_b32_e32 v2, 2, v2
	s_waitcnt lgkmcnt(0)
	v_add_f32_e32 v0, v0, v5
	ds_bpermute_b32 v2, v2, v0
	v_cmp_eq_u32_e32 vcc, 0, v3
	s_and_b64 exec, exec, vcc
	s_cbranch_execz .LBB67_7
; %bb.6:
	s_mul_i32 s7, s7, s1
	s_waitcnt lgkmcnt(0)
	v_add_f32_e32 v2, v0, v2
	v_add_u32_e32 v0, s7, v1
	v_mov_b32_e32 v1, 0
	v_lshlrev_b64 v[0:1], 2, v[0:1]
	v_mov_b32_e32 v3, s3
	v_add_co_u32_e32 v0, vcc, s2, v0
	v_addc_co_u32_e32 v1, vcc, v3, v1, vcc
	global_store_dword v[0:1], v2, off
.LBB67_7:
	s_endpgm
	.section	.rodata,"a",@progbits
	.p2align	6, 0x0
	.amdhsa_kernel _ZL13mul_mat_vec_qIfLi256ELi32E10block_q6_KLi1EXadL_ZL17vec_dot_q6_K_q8_1PKvPK10block_q8_1RKiEEEvS2_S2_PT_iii
		.amdhsa_group_segment_fixed_size 0
		.amdhsa_private_segment_fixed_size 0
		.amdhsa_kernarg_size 296
		.amdhsa_user_sgpr_count 6
		.amdhsa_user_sgpr_private_segment_buffer 1
		.amdhsa_user_sgpr_dispatch_ptr 0
		.amdhsa_user_sgpr_queue_ptr 0
		.amdhsa_user_sgpr_kernarg_segment_ptr 1
		.amdhsa_user_sgpr_dispatch_id 0
		.amdhsa_user_sgpr_flat_scratch_init 0
		.amdhsa_user_sgpr_kernarg_preload_length 0
		.amdhsa_user_sgpr_kernarg_preload_offset 0
		.amdhsa_user_sgpr_private_segment_size 0
		.amdhsa_uses_dynamic_stack 0
		.amdhsa_system_sgpr_private_segment_wavefront_offset 0
		.amdhsa_system_sgpr_workgroup_id_x 1
		.amdhsa_system_sgpr_workgroup_id_y 1
		.amdhsa_system_sgpr_workgroup_id_z 0
		.amdhsa_system_sgpr_workgroup_info 0
		.amdhsa_system_vgpr_workitem_id 1
		.amdhsa_next_free_vgpr 33
		.amdhsa_next_free_sgpr 16
		.amdhsa_accum_offset 36
		.amdhsa_reserve_vcc 1
		.amdhsa_reserve_flat_scratch 0
		.amdhsa_float_round_mode_32 0
		.amdhsa_float_round_mode_16_64 0
		.amdhsa_float_denorm_mode_32 3
		.amdhsa_float_denorm_mode_16_64 3
		.amdhsa_dx10_clamp 1
		.amdhsa_ieee_mode 1
		.amdhsa_fp16_overflow 0
		.amdhsa_tg_split 0
		.amdhsa_exception_fp_ieee_invalid_op 0
		.amdhsa_exception_fp_denorm_src 0
		.amdhsa_exception_fp_ieee_div_zero 0
		.amdhsa_exception_fp_ieee_overflow 0
		.amdhsa_exception_fp_ieee_underflow 0
		.amdhsa_exception_fp_ieee_inexact 0
		.amdhsa_exception_int_div_zero 0
	.end_amdhsa_kernel
	.section	.text._ZL13mul_mat_vec_qIfLi256ELi32E10block_q6_KLi1EXadL_ZL17vec_dot_q6_K_q8_1PKvPK10block_q8_1RKiEEEvS2_S2_PT_iii,"axG",@progbits,_ZL13mul_mat_vec_qIfLi256ELi32E10block_q6_KLi1EXadL_ZL17vec_dot_q6_K_q8_1PKvPK10block_q8_1RKiEEEvS2_S2_PT_iii,comdat
.Lfunc_end67:
	.size	_ZL13mul_mat_vec_qIfLi256ELi32E10block_q6_KLi1EXadL_ZL17vec_dot_q6_K_q8_1PKvPK10block_q8_1RKiEEEvS2_S2_PT_iii, .Lfunc_end67-_ZL13mul_mat_vec_qIfLi256ELi32E10block_q6_KLi1EXadL_ZL17vec_dot_q6_K_q8_1PKvPK10block_q8_1RKiEEEvS2_S2_PT_iii
                                        ; -- End function
	.section	.AMDGPU.csdata,"",@progbits
; Kernel info:
; codeLenInByte = 1060
; NumSgprs: 20
; NumVgprs: 33
; NumAgprs: 0
; TotalNumVgprs: 33
; ScratchSize: 0
; MemoryBound: 0
; FloatMode: 240
; IeeeMode: 1
; LDSByteSize: 0 bytes/workgroup (compile time only)
; SGPRBlocks: 2
; VGPRBlocks: 4
; NumSGPRsForWavesPerEU: 20
; NumVGPRsForWavesPerEU: 33
; AccumOffset: 36
; Occupancy: 8
; WaveLimiterHint : 0
; COMPUTE_PGM_RSRC2:SCRATCH_EN: 0
; COMPUTE_PGM_RSRC2:USER_SGPR: 6
; COMPUTE_PGM_RSRC2:TRAP_HANDLER: 0
; COMPUTE_PGM_RSRC2:TGID_X_EN: 1
; COMPUTE_PGM_RSRC2:TGID_Y_EN: 1
; COMPUTE_PGM_RSRC2:TGID_Z_EN: 0
; COMPUTE_PGM_RSRC2:TIDIG_COMP_CNT: 1
; COMPUTE_PGM_RSRC3_GFX90A:ACCUM_OFFSET: 8
; COMPUTE_PGM_RSRC3_GFX90A:TG_SPLIT: 0
	.section	.text._ZL13mul_mat_vec_qIfLi256ELi8E13block_iq2_xxsLi1EXadL_ZL20vec_dot_iq2_xxs_q8_1PKvPK10block_q8_1RKiEEEvS2_S2_PT_iii,"axG",@progbits,_ZL13mul_mat_vec_qIfLi256ELi8E13block_iq2_xxsLi1EXadL_ZL20vec_dot_iq2_xxs_q8_1PKvPK10block_q8_1RKiEEEvS2_S2_PT_iii,comdat
	.globl	_ZL13mul_mat_vec_qIfLi256ELi8E13block_iq2_xxsLi1EXadL_ZL20vec_dot_iq2_xxs_q8_1PKvPK10block_q8_1RKiEEEvS2_S2_PT_iii ; -- Begin function _ZL13mul_mat_vec_qIfLi256ELi8E13block_iq2_xxsLi1EXadL_ZL20vec_dot_iq2_xxs_q8_1PKvPK10block_q8_1RKiEEEvS2_S2_PT_iii
	.p2align	8
	.type	_ZL13mul_mat_vec_qIfLi256ELi8E13block_iq2_xxsLi1EXadL_ZL20vec_dot_iq2_xxs_q8_1PKvPK10block_q8_1RKiEEEvS2_S2_PT_iii,@function
_ZL13mul_mat_vec_qIfLi256ELi8E13block_iq2_xxsLi1EXadL_ZL20vec_dot_iq2_xxs_q8_1PKvPK10block_q8_1RKiEEEvS2_S2_PT_iii: ; @_ZL13mul_mat_vec_qIfLi256ELi8E13block_iq2_xxsLi1EXadL_ZL20vec_dot_iq2_xxs_q8_1PKvPK10block_q8_1RKiEEEvS2_S2_PT_iii
; %bb.0:
	s_load_dword s8, s[4:5], 0x34
	s_load_dwordx4 s[0:3], s[4:5], 0x18
	v_bfe_u32 v1, v0, 10, 10
	s_waitcnt lgkmcnt(0)
	s_lshr_b32 s3, s8, 16
	s_mul_i32 s6, s6, s3
	v_add_u32_e32 v8, s6, v1
	s_cmp_lt_u32 s7, s2
	v_cmp_gt_u32_e32 vcc, s1, v8
	s_cselect_b64 s[2:3], -1, 0
	s_and_b64 s[2:3], s[2:3], vcc
	s_and_saveexec_b64 s[8:9], s[2:3]
	s_cbranch_execz .LBB68_7
; %bb.1:
	s_load_dwordx2 s[2:3], s[4:5], 0x10
	s_ashr_i32 s6, s0, 31
	s_lshr_b32 s6, s6, 24
	s_add_i32 s6, s0, s6
	v_and_b32_e32 v9, 0x3ff, v0
	s_ashr_i32 s6, s6, 8
	v_lshrrev_b32_e32 v11, 3, v9
	v_cmp_gt_u32_e32 vcc, s6, v11
	v_mov_b32_e32 v10, 0
	s_and_saveexec_b64 s[8:9], vcc
	s_cbranch_execz .LBB68_5
; %bb.2:
	s_load_dwordx4 s[12:15], s[4:5], 0x0
	s_addk_i32 s0, 0x1ff
	s_ashr_i32 s4, s0, 31
	s_lshr_b32 s4, s4, 23
	s_add_i32 s0, s0, s4
	s_ashr_i32 s0, s0, 9
	v_and_b32_e32 v0, 7, v9
	s_mul_i32 s0, s7, s0
	v_lshlrev_b32_e32 v4, 2, v0
	s_waitcnt lgkmcnt(0)
	v_mad_u64_u32 v[0:1], s[4:5], v0, 36, s[14:15]
	v_lshlrev_b32_e32 v2, 3, v11
	v_mul_lo_u32 v12, v8, s6
	v_mov_b32_e32 v10, 0
	v_lshl_add_u32 v13, s0, 4, v2
	s_mov_b64 s[4:5], 0
	s_movk_i32 s0, 0x42
	v_pk_mov_b32 v[2:3], s[12:13], s[12:13] op_sel:[0,1]
	v_lshlrev_b32_e32 v14, 1, v4
	s_mov_b32 s14, 0xffff
	v_mov_b32_e32 v15, 3
	s_getpc_b64 s[12:13]
	s_add_u32 s12, s12, _ZL12ksigns_iq2xs@rel32@lo+4
	s_addc_u32 s13, s13, _ZL12ksigns_iq2xs@rel32@hi+12
.LBB68_3:                               ; =>This Inner Loop Header: Depth=1
	v_add_u32_e32 v4, v12, v11
	v_mad_i64_i32 v[6:7], s[10:11], v4, s0, v[2:3]
	v_add_co_u32_e32 v18, vcc, v6, v14
	v_addc_co_u32_e32 v19, vcc, 0, v7, vcc
	global_load_dword v16, v[18:19], off offset:6
	global_load_dword v24, v[18:19], off offset:2
	v_mad_i64_i32 v[4:5], s[10:11], v13, 36, v[0:1]
	s_getpc_b64 s[10:11]
	s_add_u32 s10, s10, _ZL11iq2xxs_grid@rel32@lo+4
	s_addc_u32 s11, s11, _ZL11iq2xxs_grid@rel32@hi+12
	v_add_u32_e32 v11, 8, v11
	v_add_u32_e32 v13, 64, v13
	s_waitcnt vmcnt(1)
	v_and_b32_e32 v26, 0x7f, v16
	s_waitcnt vmcnt(0)
	v_lshlrev_b32_sdwa v25, v15, v24 dst_sel:DWORD dst_unused:UNUSED_PAD src0_sel:DWORD src1_sel:BYTE_0
	global_load_sbyte v27, v26, s[12:13]
	global_load_dwordx4 v[18:21], v[4:5], off offset:4
	global_load_dwordx2 v[22:23], v25, s[10:11]
	v_and_b32_e32 v17, 0xffff0000, v16
	v_and_or_b32 v17, v16, s14, v17
	v_bfe_u32 v17, v17, 14, 7
	s_waitcnt vmcnt(2)
	v_and_b32_e32 v28, 1, v27
	v_cmp_eq_u16_e32 vcc, 0, v28
	s_waitcnt vmcnt(0)
	v_mul_i32_i24_sdwa v25, v22, sext(v18) dst_sel:DWORD dst_unused:UNUSED_PAD src0_sel:BYTE_0 src1_sel:BYTE_0
	v_sub_u32_e32 v28, 0, v25
	v_cndmask_b32_e32 v25, v28, v25, vcc
	v_mul_i32_i24_sdwa v28, v22, sext(v18) dst_sel:DWORD dst_unused:UNUSED_PAD src0_sel:BYTE_1 src1_sel:BYTE_1
	v_and_b32_e32 v29, 2, v27
	v_cmp_eq_u16_e32 vcc, 0, v29
	v_sub_u32_e32 v29, 0, v28
	v_cndmask_b32_e32 v28, v29, v28, vcc
	v_add_u32_e32 v25, v28, v25
	v_mul_i32_i24_sdwa v28, v22, sext(v18) dst_sel:DWORD dst_unused:UNUSED_PAD src0_sel:BYTE_2 src1_sel:BYTE_2
	v_and_b32_e32 v29, 4, v27
	v_cmp_eq_u16_e32 vcc, 0, v29
	v_sub_u32_e32 v29, 0, v28
	v_mul_i32_i24_sdwa v18, v22, sext(v18) dst_sel:DWORD dst_unused:UNUSED_PAD src0_sel:BYTE_3 src1_sel:BYTE_3
	v_and_b32_e32 v22, 8, v27
	v_cndmask_b32_e32 v28, v29, v28, vcc
	v_cmp_eq_u16_e32 vcc, 0, v22
	v_sub_u32_e32 v22, 0, v18
	v_cndmask_b32_e32 v18, v22, v18, vcc
	v_add3_u32 v18, v25, v28, v18
	v_mul_i32_i24_sdwa v22, v23, sext(v19) dst_sel:DWORD dst_unused:UNUSED_PAD src0_sel:BYTE_0 src1_sel:BYTE_0
	v_and_b32_e32 v25, 16, v27
	v_cmp_eq_u16_e32 vcc, 0, v25
	v_sub_u32_e32 v25, 0, v22
	v_cndmask_b32_e32 v22, v25, v22, vcc
	v_mul_i32_i24_sdwa v25, v23, sext(v19) dst_sel:DWORD dst_unused:UNUSED_PAD src0_sel:BYTE_1 src1_sel:BYTE_1
	v_and_b32_e32 v28, 32, v27
	v_cmp_eq_u16_e32 vcc, 0, v28
	v_sub_u32_e32 v28, 0, v25
	v_cndmask_b32_e32 v25, v28, v25, vcc
	v_add3_u32 v18, v18, v22, v25
	v_mul_i32_i24_sdwa v22, v23, sext(v19) dst_sel:DWORD dst_unused:UNUSED_PAD src0_sel:BYTE_2 src1_sel:BYTE_2
	v_cmp_gt_u32_e32 vcc, 64, v26
	v_sub_u32_e32 v25, 0, v22
	v_mul_i32_i24_sdwa v19, v23, sext(v19) dst_sel:DWORD dst_unused:UNUSED_PAD src0_sel:BYTE_3 src1_sel:BYTE_3
	v_cndmask_b32_e32 v22, v25, v22, vcc
	v_sub_u32_e32 v23, 0, v19
	v_cmp_gt_i16_e32 vcc, 0, v27
	v_cndmask_b32_e32 v19, v19, v23, vcc
	v_bfe_u32 v25, v16, 7, 7
	v_add3_u32 v22, v18, v22, v19
	v_lshlrev_b32_sdwa v23, v15, v24 dst_sel:DWORD dst_unused:UNUSED_PAD src0_sel:DWORD src1_sel:BYTE_1
	global_load_sbyte v26, v25, s[12:13]
	global_load_dwordx2 v[18:19], v23, s[10:11]
	s_waitcnt vmcnt(1)
	v_and_b32_e32 v27, 1, v26
	s_waitcnt vmcnt(0)
	v_mul_i32_i24_sdwa v23, v18, sext(v20) dst_sel:DWORD dst_unused:UNUSED_PAD src0_sel:BYTE_0 src1_sel:BYTE_0
	v_cmp_eq_u16_e32 vcc, 0, v27
	v_sub_u32_e32 v27, 0, v23
	v_cndmask_b32_e32 v23, v27, v23, vcc
	v_mul_i32_i24_sdwa v27, v18, sext(v20) dst_sel:DWORD dst_unused:UNUSED_PAD src0_sel:BYTE_1 src1_sel:BYTE_1
	v_and_b32_e32 v28, 2, v26
	v_cmp_eq_u16_e32 vcc, 0, v28
	v_sub_u32_e32 v28, 0, v27
	v_cndmask_b32_e32 v27, v28, v27, vcc
	v_add3_u32 v22, v22, v23, v27
	v_mul_i32_i24_sdwa v23, v18, sext(v20) dst_sel:DWORD dst_unused:UNUSED_PAD src0_sel:BYTE_2 src1_sel:BYTE_2
	v_and_b32_e32 v27, 4, v26
	v_cmp_eq_u16_e32 vcc, 0, v27
	v_sub_u32_e32 v27, 0, v23
	v_mul_i32_i24_sdwa v18, v18, sext(v20) dst_sel:DWORD dst_unused:UNUSED_PAD src0_sel:BYTE_3 src1_sel:BYTE_3
	v_and_b32_e32 v20, 8, v26
	v_cndmask_b32_e32 v23, v27, v23, vcc
	v_cmp_eq_u16_e32 vcc, 0, v20
	v_sub_u32_e32 v20, 0, v18
	v_cndmask_b32_e32 v18, v20, v18, vcc
	v_add3_u32 v18, v22, v23, v18
	v_mul_i32_i24_sdwa v20, v19, sext(v21) dst_sel:DWORD dst_unused:UNUSED_PAD src0_sel:BYTE_0 src1_sel:BYTE_0
	v_and_b32_e32 v22, 16, v26
	v_cmp_eq_u16_e32 vcc, 0, v22
	v_sub_u32_e32 v22, 0, v20
	v_cndmask_b32_e32 v20, v22, v20, vcc
	v_mul_i32_i24_sdwa v22, v19, sext(v21) dst_sel:DWORD dst_unused:UNUSED_PAD src0_sel:BYTE_1 src1_sel:BYTE_1
	v_and_b32_e32 v23, 32, v26
	v_cmp_eq_u16_e32 vcc, 0, v23
	v_sub_u32_e32 v23, 0, v22
	v_cndmask_b32_e32 v22, v23, v22, vcc
	v_add3_u32 v18, v18, v20, v22
	v_mul_i32_i24_sdwa v20, v19, sext(v21) dst_sel:DWORD dst_unused:UNUSED_PAD src0_sel:BYTE_2 src1_sel:BYTE_2
	v_cmp_gt_u32_e32 vcc, 64, v25
	v_sub_u32_e32 v22, 0, v20
	v_mul_i32_i24_sdwa v19, v19, sext(v21) dst_sel:DWORD dst_unused:UNUSED_PAD src0_sel:BYTE_3 src1_sel:BYTE_3
	v_cndmask_b32_e32 v20, v22, v20, vcc
	v_sub_u32_e32 v21, 0, v19
	v_cmp_gt_i16_e32 vcc, 0, v26
	v_cndmask_b32_e32 v19, v19, v21, vcc
	v_add3_u32 v25, v18, v20, v19
	v_lshlrev_b32_sdwa v26, v15, v24 dst_sel:DWORD dst_unused:UNUSED_PAD src0_sel:DWORD src1_sel:BYTE_2
	global_load_sbyte v27, v17, s[12:13]
	global_load_dwordx4 v[18:21], v[4:5], off offset:20
	global_load_dwordx2 v[22:23], v26, s[10:11]
	s_waitcnt vmcnt(2)
	v_and_b32_e32 v28, 1, v27
	v_cmp_eq_u16_e32 vcc, 0, v28
	s_waitcnt vmcnt(0)
	v_mul_i32_i24_sdwa v26, v22, sext(v18) dst_sel:DWORD dst_unused:UNUSED_PAD src0_sel:BYTE_0 src1_sel:BYTE_0
	v_sub_u32_e32 v28, 0, v26
	v_cndmask_b32_e32 v26, v28, v26, vcc
	v_mul_i32_i24_sdwa v28, v22, sext(v18) dst_sel:DWORD dst_unused:UNUSED_PAD src0_sel:BYTE_1 src1_sel:BYTE_1
	v_and_b32_e32 v29, 2, v27
	v_cmp_eq_u16_e32 vcc, 0, v29
	v_sub_u32_e32 v29, 0, v28
	v_cndmask_b32_e32 v28, v29, v28, vcc
	v_add3_u32 v25, v25, v26, v28
	v_mul_i32_i24_sdwa v26, v22, sext(v18) dst_sel:DWORD dst_unused:UNUSED_PAD src0_sel:BYTE_2 src1_sel:BYTE_2
	v_and_b32_e32 v28, 4, v27
	v_cmp_eq_u16_e32 vcc, 0, v28
	v_sub_u32_e32 v28, 0, v26
	v_mul_i32_i24_sdwa v18, v22, sext(v18) dst_sel:DWORD dst_unused:UNUSED_PAD src0_sel:BYTE_3 src1_sel:BYTE_3
	v_and_b32_e32 v22, 8, v27
	v_cndmask_b32_e32 v26, v28, v26, vcc
	v_cmp_eq_u16_e32 vcc, 0, v22
	v_sub_u32_e32 v22, 0, v18
	v_cndmask_b32_e32 v18, v22, v18, vcc
	v_add3_u32 v18, v25, v26, v18
	v_mul_i32_i24_sdwa v22, v23, sext(v19) dst_sel:DWORD dst_unused:UNUSED_PAD src0_sel:BYTE_0 src1_sel:BYTE_0
	v_and_b32_e32 v25, 16, v27
	v_cmp_eq_u16_e32 vcc, 0, v25
	v_sub_u32_e32 v25, 0, v22
	v_cndmask_b32_e32 v22, v25, v22, vcc
	v_mul_i32_i24_sdwa v25, v23, sext(v19) dst_sel:DWORD dst_unused:UNUSED_PAD src0_sel:BYTE_1 src1_sel:BYTE_1
	v_and_b32_e32 v26, 32, v27
	v_cmp_eq_u16_e32 vcc, 0, v26
	v_sub_u32_e32 v26, 0, v25
	v_cndmask_b32_e32 v25, v26, v25, vcc
	v_add3_u32 v18, v18, v22, v25
	v_mul_i32_i24_sdwa v22, v23, sext(v19) dst_sel:DWORD dst_unused:UNUSED_PAD src0_sel:BYTE_2 src1_sel:BYTE_2
	v_cmp_gt_u32_e32 vcc, 64, v17
	v_sub_u32_e32 v17, 0, v22
	v_mul_i32_i24_sdwa v19, v23, sext(v19) dst_sel:DWORD dst_unused:UNUSED_PAD src0_sel:BYTE_3 src1_sel:BYTE_3
	v_cndmask_b32_e32 v17, v17, v22, vcc
	v_sub_u32_e32 v22, 0, v19
	v_cmp_gt_i16_e32 vcc, 0, v27
	v_cndmask_b32_e32 v19, v19, v22, vcc
	v_bfe_u32 v23, v16, 21, 7
	v_add3_u32 v17, v18, v17, v19
	v_lshlrev_b32_sdwa v22, v15, v24 dst_sel:DWORD dst_unused:UNUSED_PAD src0_sel:DWORD src1_sel:BYTE_3
	global_load_sbyte v24, v23, s[12:13]
	global_load_dwordx2 v[18:19], v22, s[10:11]
	v_lshrrev_b32_e32 v16, 28, v16
	global_load_ushort v6, v[6:7], off
	v_cvt_f32_ubyte0_e32 v7, v16
	global_load_ushort v4, v[4:5], off
	v_add_f32_e32 v7, 0.5, v7
	s_waitcnt vmcnt(3)
	v_and_b32_e32 v25, 1, v24
	s_waitcnt vmcnt(2)
	v_mul_i32_i24_sdwa v22, v18, sext(v20) dst_sel:DWORD dst_unused:UNUSED_PAD src0_sel:BYTE_0 src1_sel:BYTE_0
	v_cmp_eq_u16_e32 vcc, 0, v25
	v_sub_u32_e32 v25, 0, v22
	v_cndmask_b32_e32 v22, v25, v22, vcc
	v_mul_i32_i24_sdwa v25, v18, sext(v20) dst_sel:DWORD dst_unused:UNUSED_PAD src0_sel:BYTE_1 src1_sel:BYTE_1
	v_and_b32_e32 v26, 2, v24
	v_cmp_eq_u16_e32 vcc, 0, v26
	v_sub_u32_e32 v26, 0, v25
	v_cndmask_b32_e32 v25, v26, v25, vcc
	v_add3_u32 v17, v17, v22, v25
	v_mul_i32_i24_sdwa v22, v18, sext(v20) dst_sel:DWORD dst_unused:UNUSED_PAD src0_sel:BYTE_2 src1_sel:BYTE_2
	v_and_b32_e32 v25, 4, v24
	v_cmp_eq_u16_e32 vcc, 0, v25
	v_sub_u32_e32 v25, 0, v22
	v_mul_i32_i24_sdwa v18, v18, sext(v20) dst_sel:DWORD dst_unused:UNUSED_PAD src0_sel:BYTE_3 src1_sel:BYTE_3
	v_and_b32_e32 v20, 8, v24
	v_cndmask_b32_e32 v22, v25, v22, vcc
	v_cmp_eq_u16_e32 vcc, 0, v20
	v_sub_u32_e32 v20, 0, v18
	v_cndmask_b32_e32 v18, v20, v18, vcc
	v_add3_u32 v17, v17, v22, v18
	v_mul_i32_i24_sdwa v18, v19, sext(v21) dst_sel:DWORD dst_unused:UNUSED_PAD src0_sel:BYTE_0 src1_sel:BYTE_0
	v_and_b32_e32 v20, 16, v24
	v_cmp_eq_u16_e32 vcc, 0, v20
	v_sub_u32_e32 v20, 0, v18
	v_cndmask_b32_e32 v18, v20, v18, vcc
	v_mul_i32_i24_sdwa v20, v19, sext(v21) dst_sel:DWORD dst_unused:UNUSED_PAD src0_sel:BYTE_1 src1_sel:BYTE_1
	v_and_b32_e32 v22, 32, v24
	v_cmp_eq_u16_e32 vcc, 0, v22
	v_sub_u32_e32 v22, 0, v20
	v_cndmask_b32_e32 v20, v22, v20, vcc
	v_add3_u32 v17, v17, v18, v20
	v_mul_i32_i24_sdwa v18, v19, sext(v21) dst_sel:DWORD dst_unused:UNUSED_PAD src0_sel:BYTE_2 src1_sel:BYTE_2
	v_cmp_gt_u32_e32 vcc, 64, v23
	v_sub_u32_e32 v20, 0, v18
	v_mul_i32_i24_sdwa v19, v19, sext(v21) dst_sel:DWORD dst_unused:UNUSED_PAD src0_sel:BYTE_3 src1_sel:BYTE_3
	v_cndmask_b32_e32 v18, v20, v18, vcc
	v_sub_u32_e32 v20, 0, v19
	v_cmp_gt_i16_e32 vcc, 0, v24
	s_waitcnt vmcnt(1)
	v_cvt_f32_f16_e32 v6, v6
	v_cndmask_b32_e32 v19, v19, v20, vcc
	s_waitcnt vmcnt(0)
	v_cvt_f32_f16_e32 v4, v4
	v_add3_u32 v17, v17, v18, v19
	v_cvt_f32_i32_e32 v5, v17
	v_mul_f32_e32 v6, v7, v6
	v_mul_f32_e32 v4, v6, v4
	;; [unrolled: 1-line block ×3, first 2 shown]
	v_cmp_le_u32_e32 vcc, s6, v11
	v_fmac_f32_e32 v10, v4, v5
	s_or_b64 s[4:5], vcc, s[4:5]
	s_andn2_b64 exec, exec, s[4:5]
	s_cbranch_execnz .LBB68_3
; %bb.4:
	s_or_b64 exec, exec, s[4:5]
.LBB68_5:
	s_or_b64 exec, exec, s[8:9]
	v_mbcnt_lo_u32_b32 v0, -1, 0
	v_mbcnt_hi_u32_b32 v1, -1, v0
	v_and_b32_e32 v0, 64, v1
	v_add_u32_e32 v2, 64, v0
	v_xor_b32_e32 v0, 32, v1
	v_cmp_lt_i32_e32 vcc, v0, v2
	v_cndmask_b32_e32 v0, v1, v0, vcc
	v_lshlrev_b32_e32 v0, 2, v0
	ds_bpermute_b32 v0, v0, v10
	v_xor_b32_e32 v3, 16, v1
	v_cmp_lt_i32_e32 vcc, v3, v2
	v_cndmask_b32_e32 v3, v1, v3, vcc
	v_lshlrev_b32_e32 v3, 2, v3
	s_waitcnt lgkmcnt(0)
	v_add_f32_e32 v0, v10, v0
	ds_bpermute_b32 v3, v3, v0
	v_xor_b32_e32 v4, 8, v1
	v_cmp_lt_i32_e32 vcc, v4, v2
	s_waitcnt lgkmcnt(0)
	v_add_f32_e32 v0, v0, v3
	v_cndmask_b32_e32 v3, v1, v4, vcc
	v_lshlrev_b32_e32 v3, 2, v3
	ds_bpermute_b32 v3, v3, v0
	v_xor_b32_e32 v4, 4, v1
	v_cmp_lt_i32_e32 vcc, v4, v2
	s_waitcnt lgkmcnt(0)
	v_add_f32_e32 v0, v0, v3
	v_cndmask_b32_e32 v3, v1, v4, vcc
	v_lshlrev_b32_e32 v3, 2, v3
	;; [unrolled: 7-line block ×3, first 2 shown]
	ds_bpermute_b32 v3, v3, v0
	v_xor_b32_e32 v4, 1, v1
	v_cmp_lt_i32_e32 vcc, v4, v2
	v_cndmask_b32_e32 v1, v1, v4, vcc
	v_lshlrev_b32_e32 v1, 2, v1
	s_waitcnt lgkmcnt(0)
	v_add_f32_e32 v0, v0, v3
	ds_bpermute_b32 v1, v1, v0
	v_cmp_eq_u32_e32 vcc, 0, v9
	s_and_b64 exec, exec, vcc
	s_cbranch_execz .LBB68_7
; %bb.6:
	s_mul_i32 s7, s7, s1
	s_waitcnt lgkmcnt(0)
	v_add_f32_e32 v2, v0, v1
	v_add_u32_e32 v0, s7, v8
	v_mov_b32_e32 v1, 0
	v_lshlrev_b64 v[0:1], 2, v[0:1]
	v_mov_b32_e32 v3, s3
	v_add_co_u32_e32 v0, vcc, s2, v0
	v_addc_co_u32_e32 v1, vcc, v3, v1, vcc
	global_store_dword v[0:1], v2, off
.LBB68_7:
	s_endpgm
	.section	.rodata,"a",@progbits
	.p2align	6, 0x0
	.amdhsa_kernel _ZL13mul_mat_vec_qIfLi256ELi8E13block_iq2_xxsLi1EXadL_ZL20vec_dot_iq2_xxs_q8_1PKvPK10block_q8_1RKiEEEvS2_S2_PT_iii
		.amdhsa_group_segment_fixed_size 0
		.amdhsa_private_segment_fixed_size 0
		.amdhsa_kernarg_size 296
		.amdhsa_user_sgpr_count 6
		.amdhsa_user_sgpr_private_segment_buffer 1
		.amdhsa_user_sgpr_dispatch_ptr 0
		.amdhsa_user_sgpr_queue_ptr 0
		.amdhsa_user_sgpr_kernarg_segment_ptr 1
		.amdhsa_user_sgpr_dispatch_id 0
		.amdhsa_user_sgpr_flat_scratch_init 0
		.amdhsa_user_sgpr_kernarg_preload_length 0
		.amdhsa_user_sgpr_kernarg_preload_offset 0
		.amdhsa_user_sgpr_private_segment_size 0
		.amdhsa_uses_dynamic_stack 0
		.amdhsa_system_sgpr_private_segment_wavefront_offset 0
		.amdhsa_system_sgpr_workgroup_id_x 1
		.amdhsa_system_sgpr_workgroup_id_y 1
		.amdhsa_system_sgpr_workgroup_id_z 0
		.amdhsa_system_sgpr_workgroup_info 0
		.amdhsa_system_vgpr_workitem_id 1
		.amdhsa_next_free_vgpr 30
		.amdhsa_next_free_sgpr 16
		.amdhsa_accum_offset 32
		.amdhsa_reserve_vcc 1
		.amdhsa_reserve_flat_scratch 0
		.amdhsa_float_round_mode_32 0
		.amdhsa_float_round_mode_16_64 0
		.amdhsa_float_denorm_mode_32 3
		.amdhsa_float_denorm_mode_16_64 3
		.amdhsa_dx10_clamp 1
		.amdhsa_ieee_mode 1
		.amdhsa_fp16_overflow 0
		.amdhsa_tg_split 0
		.amdhsa_exception_fp_ieee_invalid_op 0
		.amdhsa_exception_fp_denorm_src 0
		.amdhsa_exception_fp_ieee_div_zero 0
		.amdhsa_exception_fp_ieee_overflow 0
		.amdhsa_exception_fp_ieee_underflow 0
		.amdhsa_exception_fp_ieee_inexact 0
		.amdhsa_exception_int_div_zero 0
	.end_amdhsa_kernel
	.section	.text._ZL13mul_mat_vec_qIfLi256ELi8E13block_iq2_xxsLi1EXadL_ZL20vec_dot_iq2_xxs_q8_1PKvPK10block_q8_1RKiEEEvS2_S2_PT_iii,"axG",@progbits,_ZL13mul_mat_vec_qIfLi256ELi8E13block_iq2_xxsLi1EXadL_ZL20vec_dot_iq2_xxs_q8_1PKvPK10block_q8_1RKiEEEvS2_S2_PT_iii,comdat
.Lfunc_end68:
	.size	_ZL13mul_mat_vec_qIfLi256ELi8E13block_iq2_xxsLi1EXadL_ZL20vec_dot_iq2_xxs_q8_1PKvPK10block_q8_1RKiEEEvS2_S2_PT_iii, .Lfunc_end68-_ZL13mul_mat_vec_qIfLi256ELi8E13block_iq2_xxsLi1EXadL_ZL20vec_dot_iq2_xxs_q8_1PKvPK10block_q8_1RKiEEEvS2_S2_PT_iii
                                        ; -- End function
	.section	.AMDGPU.csdata,"",@progbits
; Kernel info:
; codeLenInByte = 1740
; NumSgprs: 20
; NumVgprs: 30
; NumAgprs: 0
; TotalNumVgprs: 30
; ScratchSize: 0
; MemoryBound: 0
; FloatMode: 240
; IeeeMode: 1
; LDSByteSize: 0 bytes/workgroup (compile time only)
; SGPRBlocks: 2
; VGPRBlocks: 3
; NumSGPRsForWavesPerEU: 20
; NumVGPRsForWavesPerEU: 30
; AccumOffset: 32
; Occupancy: 8
; WaveLimiterHint : 0
; COMPUTE_PGM_RSRC2:SCRATCH_EN: 0
; COMPUTE_PGM_RSRC2:USER_SGPR: 6
; COMPUTE_PGM_RSRC2:TRAP_HANDLER: 0
; COMPUTE_PGM_RSRC2:TGID_X_EN: 1
; COMPUTE_PGM_RSRC2:TGID_Y_EN: 1
; COMPUTE_PGM_RSRC2:TGID_Z_EN: 0
; COMPUTE_PGM_RSRC2:TIDIG_COMP_CNT: 1
; COMPUTE_PGM_RSRC3_GFX90A:ACCUM_OFFSET: 7
; COMPUTE_PGM_RSRC3_GFX90A:TG_SPLIT: 0
	.section	.text._ZL13mul_mat_vec_qIfLi256ELi8E12block_iq2_xsLi1EXadL_ZL19vec_dot_iq2_xs_q8_1PKvPK10block_q8_1RKiEEEvS2_S2_PT_iii,"axG",@progbits,_ZL13mul_mat_vec_qIfLi256ELi8E12block_iq2_xsLi1EXadL_ZL19vec_dot_iq2_xs_q8_1PKvPK10block_q8_1RKiEEEvS2_S2_PT_iii,comdat
	.globl	_ZL13mul_mat_vec_qIfLi256ELi8E12block_iq2_xsLi1EXadL_ZL19vec_dot_iq2_xs_q8_1PKvPK10block_q8_1RKiEEEvS2_S2_PT_iii ; -- Begin function _ZL13mul_mat_vec_qIfLi256ELi8E12block_iq2_xsLi1EXadL_ZL19vec_dot_iq2_xs_q8_1PKvPK10block_q8_1RKiEEEvS2_S2_PT_iii
	.p2align	8
	.type	_ZL13mul_mat_vec_qIfLi256ELi8E12block_iq2_xsLi1EXadL_ZL19vec_dot_iq2_xs_q8_1PKvPK10block_q8_1RKiEEEvS2_S2_PT_iii,@function
_ZL13mul_mat_vec_qIfLi256ELi8E12block_iq2_xsLi1EXadL_ZL19vec_dot_iq2_xs_q8_1PKvPK10block_q8_1RKiEEEvS2_S2_PT_iii: ; @_ZL13mul_mat_vec_qIfLi256ELi8E12block_iq2_xsLi1EXadL_ZL19vec_dot_iq2_xs_q8_1PKvPK10block_q8_1RKiEEEvS2_S2_PT_iii
; %bb.0:
	s_load_dword s8, s[4:5], 0x34
	s_load_dwordx4 s[0:3], s[4:5], 0x18
	v_bfe_u32 v1, v0, 10, 10
	s_waitcnt lgkmcnt(0)
	s_lshr_b32 s3, s8, 16
	s_mul_i32 s6, s6, s3
	v_add_u32_e32 v1, s6, v1
	s_cmp_lt_u32 s7, s2
	v_cmp_gt_u32_e32 vcc, s1, v1
	s_cselect_b64 s[2:3], -1, 0
	s_and_b64 s[2:3], s[2:3], vcc
	s_and_saveexec_b64 s[8:9], s[2:3]
	s_cbranch_execz .LBB69_7
; %bb.1:
	s_load_dwordx2 s[2:3], s[4:5], 0x10
	s_ashr_i32 s6, s0, 31
	s_lshr_b32 s6, s6, 24
	s_add_i32 s6, s0, s6
	v_and_b32_e32 v12, 0x3ff, v0
	s_ashr_i32 s6, s6, 8
	v_lshrrev_b32_e32 v13, 3, v12
	v_cmp_gt_u32_e32 vcc, s6, v13
	v_mov_b32_e32 v14, 0
	s_and_saveexec_b64 s[8:9], vcc
	s_cbranch_execz .LBB69_5
; %bb.2:
	s_load_dwordx4 s[12:15], s[4:5], 0x0
	s_addk_i32 s0, 0x1ff
	s_ashr_i32 s4, s0, 31
	s_lshr_b32 s4, s4, 23
	s_add_i32 s0, s0, s4
	s_ashr_i32 s0, s0, 9
	v_and_b32_e32 v0, 7, v12
	s_mul_i32 s0, s7, s0
	v_lshlrev_b32_e32 v6, 2, v0
	s_waitcnt lgkmcnt(0)
	v_mad_u64_u32 v[2:3], s[4:5], v0, 36, s[14:15]
	v_lshlrev_b32_e32 v4, 3, v13
	v_mul_lo_u32 v15, v1, s6
	v_mov_b32_e32 v16, 0
	v_lshl_add_u32 v17, s0, 4, v4
	s_mov_b64 s[4:5], 0
	s_movk_i32 s0, 0x4a
	v_pk_mov_b32 v[4:5], s[12:13], s[12:13] op_sel:[0,1]
	v_lshlrev_b32_e32 v18, 1, v6
	v_mov_b32_e32 v14, 0
	s_getpc_b64 s[12:13]
	s_add_u32 s12, s12, _ZL12ksigns_iq2xs@rel32@lo+4
	s_addc_u32 s13, s13, _ZL12ksigns_iq2xs@rel32@hi+12
.LBB69_3:                               ; =>This Inner Loop Header: Depth=1
	v_add_u32_e32 v6, v15, v13
	v_mad_i64_i32 v[8:9], s[10:11], v6, s0, v[4:5]
	v_add_co_u32_e32 v20, vcc, v8, v18
	v_addc_co_u32_e32 v21, vcc, 0, v9, vcc
	v_add_co_u32_e32 v22, vcc, v8, v0
	v_addc_co_u32_e32 v23, vcc, 0, v9, vcc
	global_load_ubyte v19, v[22:23], off offset:66
	global_load_dwordx2 v[10:11], v[20:21], off offset:2
	v_mad_i64_i32 v[6:7], s[10:11], v17, 36, v[2:3]
	s_getpc_b64 s[10:11]
	s_add_u32 s10, s10, _ZL10iq2xs_grid@rel32@lo+4
	s_addc_u32 s11, s11, _ZL10iq2xs_grid@rel32@hi+12
	v_add_u32_e32 v13, 8, v13
	v_add_u32_e32 v17, 64, v17
	s_waitcnt vmcnt(0)
	v_and_b32_e32 v20, 0x1ff, v10
	v_bfe_u32 v27, v10, 9, 7
	v_lshlrev_b32_e32 v26, 3, v20
	global_load_sbyte v28, v27, s[12:13]
	global_load_dwordx4 v[20:23], v[6:7], off offset:4
	global_load_dwordx2 v[24:25], v26, s[10:11]
	v_bfe_u32 v35, v11, 9, 7
	s_waitcnt vmcnt(2)
	v_and_b32_e32 v27, 1, v28
	v_cmp_eq_u16_e32 vcc, 0, v27
	s_waitcnt vmcnt(0)
	v_mul_i32_i24_sdwa v26, v24, sext(v20) dst_sel:DWORD dst_unused:UNUSED_PAD src0_sel:BYTE_0 src1_sel:BYTE_0
	v_sub_u32_e32 v27, 0, v26
	v_cndmask_b32_e32 v26, v27, v26, vcc
	v_mul_i32_i24_sdwa v27, v24, sext(v20) dst_sel:DWORD dst_unused:UNUSED_PAD src0_sel:BYTE_1 src1_sel:BYTE_1
	v_and_b32_e32 v29, 2, v28
	v_cmp_eq_u16_e32 vcc, 0, v29
	v_sub_u32_e32 v29, 0, v27
	v_cndmask_b32_e32 v27, v29, v27, vcc
	v_add_u32_e32 v26, v27, v26
	v_mul_i32_i24_sdwa v27, v24, sext(v20) dst_sel:DWORD dst_unused:UNUSED_PAD src0_sel:BYTE_2 src1_sel:BYTE_2
	v_and_b32_e32 v29, 4, v28
	v_cmp_eq_u16_e32 vcc, 0, v29
	v_sub_u32_e32 v29, 0, v27
	v_mul_i32_i24_sdwa v20, v24, sext(v20) dst_sel:DWORD dst_unused:UNUSED_PAD src0_sel:BYTE_3 src1_sel:BYTE_3
	v_and_b32_e32 v24, 8, v28
	v_cndmask_b32_e32 v27, v29, v27, vcc
	v_cmp_eq_u16_e32 vcc, 0, v24
	v_sub_u32_e32 v24, 0, v20
	v_cndmask_b32_e32 v20, v24, v20, vcc
	v_add3_u32 v20, v26, v27, v20
	v_mul_i32_i24_sdwa v24, v25, sext(v21) dst_sel:DWORD dst_unused:UNUSED_PAD src0_sel:BYTE_0 src1_sel:BYTE_0
	v_and_b32_e32 v26, 16, v28
	v_cmp_eq_u16_e32 vcc, 0, v26
	v_sub_u32_e32 v26, 0, v24
	v_cndmask_b32_e32 v24, v26, v24, vcc
	v_mul_i32_i24_sdwa v26, v25, sext(v21) dst_sel:DWORD dst_unused:UNUSED_PAD src0_sel:BYTE_1 src1_sel:BYTE_1
	v_and_b32_e32 v27, 32, v28
	v_cmp_eq_u16_e32 vcc, 0, v27
	v_sub_u32_e32 v27, 0, v26
	v_cndmask_b32_e32 v26, v27, v26, vcc
	v_add3_u32 v20, v20, v24, v26
	v_mul_i32_i24_sdwa v24, v25, sext(v21) dst_sel:DWORD dst_unused:UNUSED_PAD src0_sel:BYTE_2 src1_sel:BYTE_2
	v_sub_u32_e32 v26, 0, v24
	v_cmp_gt_i16_e32 vcc, 0, v10
	v_mul_i32_i24_sdwa v21, v25, sext(v21) dst_sel:DWORD dst_unused:UNUSED_PAD src0_sel:BYTE_3 src1_sel:BYTE_3
	v_cndmask_b32_e32 v24, v24, v26, vcc
	v_sub_u32_e32 v25, 0, v21
	v_cmp_gt_i16_e32 vcc, 0, v28
	v_cndmask_b32_e32 v21, v21, v25, vcc
	v_add3_u32 v26, v20, v24, v21
	v_lshrrev_b32_e32 v20, 13, v10
	v_lshrrev_b32_e32 v25, 25, v10
	v_and_b32_e32 v24, 0xff8, v20
	global_load_sbyte v27, v25, s[12:13]
	global_load_dwordx2 v[20:21], v24, s[10:11]
	s_waitcnt vmcnt(1)
	v_and_b32_e32 v25, 1, v27
	s_waitcnt vmcnt(0)
	v_mul_i32_i24_sdwa v24, v20, sext(v22) dst_sel:DWORD dst_unused:UNUSED_PAD src0_sel:BYTE_0 src1_sel:BYTE_0
	v_cmp_eq_u16_e32 vcc, 0, v25
	v_sub_u32_e32 v25, 0, v24
	v_cndmask_b32_e32 v28, v25, v24, vcc
	v_mul_i32_i24_sdwa v24, v20, sext(v22) dst_sel:DWORD dst_unused:UNUSED_PAD src0_sel:BYTE_1 src1_sel:BYTE_1
	v_and_b32_e32 v25, 2, v27
	v_cmp_eq_u16_e32 vcc, 0, v25
	v_sub_u32_e32 v25, 0, v24
	v_cndmask_b32_e32 v29, v25, v24, vcc
	v_mul_i32_i24_sdwa v24, v20, sext(v22) dst_sel:DWORD dst_unused:UNUSED_PAD src0_sel:BYTE_2 src1_sel:BYTE_2
	v_and_b32_e32 v25, 4, v27
	v_cmp_eq_u16_e32 vcc, 0, v25
	v_sub_u32_e32 v25, 0, v24
	v_mul_i32_i24_sdwa v20, v20, sext(v22) dst_sel:DWORD dst_unused:UNUSED_PAD src0_sel:BYTE_3 src1_sel:BYTE_3
	v_and_b32_e32 v22, 8, v27
	v_cndmask_b32_e32 v30, v25, v24, vcc
	v_cmp_eq_u16_e32 vcc, 0, v22
	v_sub_u32_e32 v22, 0, v20
	v_cndmask_b32_e32 v31, v22, v20, vcc
	v_mul_i32_i24_sdwa v20, v21, sext(v23) dst_sel:DWORD dst_unused:UNUSED_PAD src0_sel:BYTE_0 src1_sel:BYTE_0
	v_and_b32_e32 v22, 16, v27
	v_cmp_eq_u16_e32 vcc, 0, v22
	v_sub_u32_e32 v22, 0, v20
	v_cndmask_b32_e32 v32, v22, v20, vcc
	v_mul_i32_i24_sdwa v20, v21, sext(v23) dst_sel:DWORD dst_unused:UNUSED_PAD src0_sel:BYTE_1 src1_sel:BYTE_1
	v_and_b32_e32 v22, 32, v27
	v_cmp_eq_u16_e32 vcc, 0, v22
	v_sub_u32_e32 v22, 0, v20
	v_cndmask_b32_e32 v33, v22, v20, vcc
	v_mul_i32_i24_sdwa v20, v21, sext(v23) dst_sel:DWORD dst_unused:UNUSED_PAD src0_sel:BYTE_2 src1_sel:BYTE_2
	v_sub_u32_e32 v22, 0, v20
	v_cmp_lt_i16_sdwa vcc, v10, v16 src0_sel:WORD_1 src1_sel:DWORD
	v_cndmask_b32_e32 v10, v20, v22, vcc
	v_mul_i32_i24_sdwa v20, v21, sext(v23) dst_sel:DWORD dst_unused:UNUSED_PAD src0_sel:BYTE_3 src1_sel:BYTE_3
	v_sub_u32_e32 v21, 0, v20
	v_cmp_gt_i16_e32 vcc, 0, v27
	v_cndmask_b32_e32 v27, v20, v21, vcc
	v_and_b32_e32 v20, 0x1ff, v11
	v_lshlrev_b32_e32 v34, 3, v20
	global_load_sbyte v36, v35, s[12:13]
	global_load_dwordx4 v[20:23], v[6:7], off offset:20
	global_load_dwordx2 v[24:25], v34, s[10:11]
	s_waitcnt vmcnt(2)
	v_and_b32_e32 v35, 1, v36
	v_cmp_eq_u16_e32 vcc, 0, v35
	s_waitcnt vmcnt(0)
	v_mul_i32_i24_sdwa v34, v24, sext(v20) dst_sel:DWORD dst_unused:UNUSED_PAD src0_sel:BYTE_0 src1_sel:BYTE_0
	v_sub_u32_e32 v35, 0, v34
	v_cndmask_b32_e32 v34, v35, v34, vcc
	v_mul_i32_i24_sdwa v35, v24, sext(v20) dst_sel:DWORD dst_unused:UNUSED_PAD src0_sel:BYTE_1 src1_sel:BYTE_1
	v_and_b32_e32 v37, 2, v36
	v_cmp_eq_u16_e32 vcc, 0, v37
	v_sub_u32_e32 v37, 0, v35
	v_cndmask_b32_e32 v35, v37, v35, vcc
	v_add_u32_e32 v34, v35, v34
	v_mul_i32_i24_sdwa v35, v24, sext(v20) dst_sel:DWORD dst_unused:UNUSED_PAD src0_sel:BYTE_2 src1_sel:BYTE_2
	v_and_b32_e32 v37, 4, v36
	v_cmp_eq_u16_e32 vcc, 0, v37
	v_sub_u32_e32 v37, 0, v35
	v_mul_i32_i24_sdwa v20, v24, sext(v20) dst_sel:DWORD dst_unused:UNUSED_PAD src0_sel:BYTE_3 src1_sel:BYTE_3
	v_and_b32_e32 v24, 8, v36
	v_cndmask_b32_e32 v35, v37, v35, vcc
	v_cmp_eq_u16_e32 vcc, 0, v24
	v_sub_u32_e32 v24, 0, v20
	v_cndmask_b32_e32 v20, v24, v20, vcc
	v_add3_u32 v20, v34, v35, v20
	v_mul_i32_i24_sdwa v24, v25, sext(v21) dst_sel:DWORD dst_unused:UNUSED_PAD src0_sel:BYTE_0 src1_sel:BYTE_0
	v_and_b32_e32 v34, 16, v36
	v_cmp_eq_u16_e32 vcc, 0, v34
	v_sub_u32_e32 v34, 0, v24
	v_cndmask_b32_e32 v24, v34, v24, vcc
	v_mul_i32_i24_sdwa v34, v25, sext(v21) dst_sel:DWORD dst_unused:UNUSED_PAD src0_sel:BYTE_1 src1_sel:BYTE_1
	v_and_b32_e32 v35, 32, v36
	v_cmp_eq_u16_e32 vcc, 0, v35
	v_sub_u32_e32 v35, 0, v34
	v_cndmask_b32_e32 v34, v35, v34, vcc
	v_add3_u32 v20, v20, v24, v34
	v_mul_i32_i24_sdwa v24, v25, sext(v21) dst_sel:DWORD dst_unused:UNUSED_PAD src0_sel:BYTE_2 src1_sel:BYTE_2
	v_sub_u32_e32 v34, 0, v24
	v_cmp_gt_i16_e32 vcc, 0, v11
	v_mul_i32_i24_sdwa v21, v25, sext(v21) dst_sel:DWORD dst_unused:UNUSED_PAD src0_sel:BYTE_3 src1_sel:BYTE_3
	v_cndmask_b32_e32 v24, v24, v34, vcc
	v_sub_u32_e32 v25, 0, v21
	v_cmp_gt_i16_e32 vcc, 0, v36
	v_cndmask_b32_e32 v21, v21, v25, vcc
	v_add3_u32 v24, v20, v24, v21
	v_lshrrev_b32_e32 v20, 13, v11
	v_lshrrev_b32_e32 v34, 25, v11
	v_and_b32_e32 v25, 0xff8, v20
	global_load_sbyte v35, v34, s[12:13]
	global_load_dwordx2 v[20:21], v25, s[10:11]
	s_waitcnt vmcnt(1)
	v_and_b32_e32 v34, 1, v35
	global_load_ushort v8, v[8:9], off
	s_waitcnt vmcnt(1)
	v_mul_i32_i24_sdwa v25, v20, sext(v22) dst_sel:DWORD dst_unused:UNUSED_PAD src0_sel:BYTE_0 src1_sel:BYTE_0
	global_load_ushort v6, v[6:7], off
	v_cmp_eq_u16_e32 vcc, 0, v34
	v_sub_u32_e32 v34, 0, v25
	v_cndmask_b32_e32 v25, v34, v25, vcc
	v_mul_i32_i24_sdwa v34, v20, sext(v22) dst_sel:DWORD dst_unused:UNUSED_PAD src0_sel:BYTE_1 src1_sel:BYTE_1
	v_and_b32_e32 v36, 2, v35
	v_cmp_eq_u16_e32 vcc, 0, v36
	v_sub_u32_e32 v36, 0, v34
	v_cndmask_b32_e32 v34, v36, v34, vcc
	v_add3_u32 v24, v24, v25, v34
	v_mul_i32_i24_sdwa v25, v20, sext(v22) dst_sel:DWORD dst_unused:UNUSED_PAD src0_sel:BYTE_2 src1_sel:BYTE_2
	v_and_b32_e32 v34, 4, v35
	v_cmp_eq_u16_e32 vcc, 0, v34
	v_sub_u32_e32 v34, 0, v25
	v_mul_i32_i24_sdwa v20, v20, sext(v22) dst_sel:DWORD dst_unused:UNUSED_PAD src0_sel:BYTE_3 src1_sel:BYTE_3
	v_and_b32_e32 v22, 8, v35
	v_cndmask_b32_e32 v25, v34, v25, vcc
	v_cmp_eq_u16_e32 vcc, 0, v22
	v_sub_u32_e32 v22, 0, v20
	v_cndmask_b32_e32 v20, v22, v20, vcc
	v_add3_u32 v20, v24, v25, v20
	v_mul_i32_i24_sdwa v22, v21, sext(v23) dst_sel:DWORD dst_unused:UNUSED_PAD src0_sel:BYTE_0 src1_sel:BYTE_0
	v_and_b32_e32 v24, 16, v35
	v_cmp_eq_u16_e32 vcc, 0, v24
	v_sub_u32_e32 v24, 0, v22
	v_cndmask_b32_e32 v22, v24, v22, vcc
	v_mul_i32_i24_sdwa v24, v21, sext(v23) dst_sel:DWORD dst_unused:UNUSED_PAD src0_sel:BYTE_1 src1_sel:BYTE_1
	v_and_b32_e32 v25, 32, v35
	v_cmp_eq_u16_e32 vcc, 0, v25
	v_sub_u32_e32 v25, 0, v24
	v_cndmask_b32_e32 v24, v25, v24, vcc
	v_add3_u32 v20, v20, v22, v24
	v_mul_i32_i24_sdwa v22, v21, sext(v23) dst_sel:DWORD dst_unused:UNUSED_PAD src0_sel:BYTE_2 src1_sel:BYTE_2
	v_sub_u32_e32 v24, 0, v22
	v_cmp_lt_i16_sdwa vcc, v11, v16 src0_sel:WORD_1 src1_sel:DWORD
	v_mul_i32_i24_sdwa v21, v21, sext(v23) dst_sel:DWORD dst_unused:UNUSED_PAD src0_sel:BYTE_3 src1_sel:BYTE_3
	v_cndmask_b32_e32 v11, v22, v24, vcc
	v_sub_u32_e32 v22, 0, v21
	v_cmp_gt_i16_e32 vcc, 0, v35
	v_cndmask_b32_e32 v21, v21, v22, vcc
	v_add3_u32 v11, v20, v11, v21
	v_add3_u32 v20, v26, v28, v29
	;; [unrolled: 1-line block ×5, first 2 shown]
	v_lshrrev_b16_e32 v20, 4, v19
	v_and_b32_e32 v19, 15, v19
	v_cvt_f32_ubyte0_e32 v9, v20
	v_cvt_f32_ubyte0_e32 v7, v19
	v_add_f32_e32 v9, 0.5, v9
	v_add_f32_e32 v7, 0.5, v7
	v_cmp_le_u32_e32 vcc, s6, v13
	s_or_b64 s[4:5], vcc, s[4:5]
	s_waitcnt vmcnt(1)
	v_cvt_f32_f16_e32 v8, v8
	s_waitcnt vmcnt(0)
	v_cvt_f32_f16_e32 v6, v6
	v_mul_f32_e32 v6, v8, v6
	v_cvt_f32_i32_e32 v8, v10
	v_cvt_f32_i32_e32 v10, v11
	v_mul_f32_e32 v6, 0x3e800000, v6
	v_mul_f32_e32 v9, v9, v10
	v_fmac_f32_e32 v9, v7, v8
	v_fmac_f32_e32 v14, v6, v9
	s_andn2_b64 exec, exec, s[4:5]
	s_cbranch_execnz .LBB69_3
; %bb.4:
	s_or_b64 exec, exec, s[4:5]
.LBB69_5:
	s_or_b64 exec, exec, s[8:9]
	v_mbcnt_lo_u32_b32 v0, -1, 0
	v_mbcnt_hi_u32_b32 v2, -1, v0
	v_and_b32_e32 v0, 64, v2
	v_add_u32_e32 v3, 64, v0
	v_xor_b32_e32 v0, 32, v2
	v_cmp_lt_i32_e32 vcc, v0, v3
	v_cndmask_b32_e32 v0, v2, v0, vcc
	v_lshlrev_b32_e32 v0, 2, v0
	ds_bpermute_b32 v0, v0, v14
	v_xor_b32_e32 v4, 16, v2
	v_cmp_lt_i32_e32 vcc, v4, v3
	v_cndmask_b32_e32 v4, v2, v4, vcc
	v_lshlrev_b32_e32 v4, 2, v4
	s_waitcnt lgkmcnt(0)
	v_add_f32_e32 v0, v14, v0
	ds_bpermute_b32 v4, v4, v0
	v_xor_b32_e32 v5, 8, v2
	v_cmp_lt_i32_e32 vcc, v5, v3
	s_waitcnt lgkmcnt(0)
	v_add_f32_e32 v0, v0, v4
	v_cndmask_b32_e32 v4, v2, v5, vcc
	v_lshlrev_b32_e32 v4, 2, v4
	ds_bpermute_b32 v4, v4, v0
	v_xor_b32_e32 v5, 4, v2
	v_cmp_lt_i32_e32 vcc, v5, v3
	s_waitcnt lgkmcnt(0)
	v_add_f32_e32 v0, v0, v4
	v_cndmask_b32_e32 v4, v2, v5, vcc
	v_lshlrev_b32_e32 v4, 2, v4
	;; [unrolled: 7-line block ×3, first 2 shown]
	ds_bpermute_b32 v4, v4, v0
	v_xor_b32_e32 v5, 1, v2
	v_cmp_lt_i32_e32 vcc, v5, v3
	v_cndmask_b32_e32 v2, v2, v5, vcc
	v_lshlrev_b32_e32 v2, 2, v2
	s_waitcnt lgkmcnt(0)
	v_add_f32_e32 v0, v0, v4
	ds_bpermute_b32 v2, v2, v0
	v_cmp_eq_u32_e32 vcc, 0, v12
	s_and_b64 exec, exec, vcc
	s_cbranch_execz .LBB69_7
; %bb.6:
	s_mul_i32 s7, s7, s1
	s_waitcnt lgkmcnt(0)
	v_add_f32_e32 v2, v0, v2
	v_add_u32_e32 v0, s7, v1
	v_mov_b32_e32 v1, 0
	v_lshlrev_b64 v[0:1], 2, v[0:1]
	v_mov_b32_e32 v3, s3
	v_add_co_u32_e32 v0, vcc, s2, v0
	v_addc_co_u32_e32 v1, vcc, v3, v1, vcc
	global_store_dword v[0:1], v2, off
.LBB69_7:
	s_endpgm
	.section	.rodata,"a",@progbits
	.p2align	6, 0x0
	.amdhsa_kernel _ZL13mul_mat_vec_qIfLi256ELi8E12block_iq2_xsLi1EXadL_ZL19vec_dot_iq2_xs_q8_1PKvPK10block_q8_1RKiEEEvS2_S2_PT_iii
		.amdhsa_group_segment_fixed_size 0
		.amdhsa_private_segment_fixed_size 0
		.amdhsa_kernarg_size 296
		.amdhsa_user_sgpr_count 6
		.amdhsa_user_sgpr_private_segment_buffer 1
		.amdhsa_user_sgpr_dispatch_ptr 0
		.amdhsa_user_sgpr_queue_ptr 0
		.amdhsa_user_sgpr_kernarg_segment_ptr 1
		.amdhsa_user_sgpr_dispatch_id 0
		.amdhsa_user_sgpr_flat_scratch_init 0
		.amdhsa_user_sgpr_kernarg_preload_length 0
		.amdhsa_user_sgpr_kernarg_preload_offset 0
		.amdhsa_user_sgpr_private_segment_size 0
		.amdhsa_uses_dynamic_stack 0
		.amdhsa_system_sgpr_private_segment_wavefront_offset 0
		.amdhsa_system_sgpr_workgroup_id_x 1
		.amdhsa_system_sgpr_workgroup_id_y 1
		.amdhsa_system_sgpr_workgroup_id_z 0
		.amdhsa_system_sgpr_workgroup_info 0
		.amdhsa_system_vgpr_workitem_id 1
		.amdhsa_next_free_vgpr 38
		.amdhsa_next_free_sgpr 16
		.amdhsa_accum_offset 40
		.amdhsa_reserve_vcc 1
		.amdhsa_reserve_flat_scratch 0
		.amdhsa_float_round_mode_32 0
		.amdhsa_float_round_mode_16_64 0
		.amdhsa_float_denorm_mode_32 3
		.amdhsa_float_denorm_mode_16_64 3
		.amdhsa_dx10_clamp 1
		.amdhsa_ieee_mode 1
		.amdhsa_fp16_overflow 0
		.amdhsa_tg_split 0
		.amdhsa_exception_fp_ieee_invalid_op 0
		.amdhsa_exception_fp_denorm_src 0
		.amdhsa_exception_fp_ieee_div_zero 0
		.amdhsa_exception_fp_ieee_overflow 0
		.amdhsa_exception_fp_ieee_underflow 0
		.amdhsa_exception_fp_ieee_inexact 0
		.amdhsa_exception_int_div_zero 0
	.end_amdhsa_kernel
	.section	.text._ZL13mul_mat_vec_qIfLi256ELi8E12block_iq2_xsLi1EXadL_ZL19vec_dot_iq2_xs_q8_1PKvPK10block_q8_1RKiEEEvS2_S2_PT_iii,"axG",@progbits,_ZL13mul_mat_vec_qIfLi256ELi8E12block_iq2_xsLi1EXadL_ZL19vec_dot_iq2_xs_q8_1PKvPK10block_q8_1RKiEEEvS2_S2_PT_iii,comdat
.Lfunc_end69:
	.size	_ZL13mul_mat_vec_qIfLi256ELi8E12block_iq2_xsLi1EXadL_ZL19vec_dot_iq2_xs_q8_1PKvPK10block_q8_1RKiEEEvS2_S2_PT_iii, .Lfunc_end69-_ZL13mul_mat_vec_qIfLi256ELi8E12block_iq2_xsLi1EXadL_ZL19vec_dot_iq2_xs_q8_1PKvPK10block_q8_1RKiEEEvS2_S2_PT_iii
                                        ; -- End function
	.section	.AMDGPU.csdata,"",@progbits
; Kernel info:
; codeLenInByte = 1752
; NumSgprs: 20
; NumVgprs: 38
; NumAgprs: 0
; TotalNumVgprs: 38
; ScratchSize: 0
; MemoryBound: 0
; FloatMode: 240
; IeeeMode: 1
; LDSByteSize: 0 bytes/workgroup (compile time only)
; SGPRBlocks: 2
; VGPRBlocks: 4
; NumSGPRsForWavesPerEU: 20
; NumVGPRsForWavesPerEU: 38
; AccumOffset: 40
; Occupancy: 8
; WaveLimiterHint : 0
; COMPUTE_PGM_RSRC2:SCRATCH_EN: 0
; COMPUTE_PGM_RSRC2:USER_SGPR: 6
; COMPUTE_PGM_RSRC2:TRAP_HANDLER: 0
; COMPUTE_PGM_RSRC2:TGID_X_EN: 1
; COMPUTE_PGM_RSRC2:TGID_Y_EN: 1
; COMPUTE_PGM_RSRC2:TGID_Z_EN: 0
; COMPUTE_PGM_RSRC2:TIDIG_COMP_CNT: 1
; COMPUTE_PGM_RSRC3_GFX90A:ACCUM_OFFSET: 9
; COMPUTE_PGM_RSRC3_GFX90A:TG_SPLIT: 0
	.section	.text._ZL13mul_mat_vec_qIfLi256ELi8E13block_iq3_xxsLi1EXadL_ZL20vec_dot_iq3_xxs_q8_1PKvPK10block_q8_1RKiEEEvS2_S2_PT_iii,"axG",@progbits,_ZL13mul_mat_vec_qIfLi256ELi8E13block_iq3_xxsLi1EXadL_ZL20vec_dot_iq3_xxs_q8_1PKvPK10block_q8_1RKiEEEvS2_S2_PT_iii,comdat
	.globl	_ZL13mul_mat_vec_qIfLi256ELi8E13block_iq3_xxsLi1EXadL_ZL20vec_dot_iq3_xxs_q8_1PKvPK10block_q8_1RKiEEEvS2_S2_PT_iii ; -- Begin function _ZL13mul_mat_vec_qIfLi256ELi8E13block_iq3_xxsLi1EXadL_ZL20vec_dot_iq3_xxs_q8_1PKvPK10block_q8_1RKiEEEvS2_S2_PT_iii
	.p2align	8
	.type	_ZL13mul_mat_vec_qIfLi256ELi8E13block_iq3_xxsLi1EXadL_ZL20vec_dot_iq3_xxs_q8_1PKvPK10block_q8_1RKiEEEvS2_S2_PT_iii,@function
_ZL13mul_mat_vec_qIfLi256ELi8E13block_iq3_xxsLi1EXadL_ZL20vec_dot_iq3_xxs_q8_1PKvPK10block_q8_1RKiEEEvS2_S2_PT_iii: ; @_ZL13mul_mat_vec_qIfLi256ELi8E13block_iq3_xxsLi1EXadL_ZL20vec_dot_iq3_xxs_q8_1PKvPK10block_q8_1RKiEEEvS2_S2_PT_iii
; %bb.0:
	s_load_dword s0, s[4:5], 0x34
	s_load_dwordx4 s[8:11], s[4:5], 0x18
	v_bfe_u32 v1, v0, 10, 10
	s_waitcnt lgkmcnt(0)
	s_lshr_b32 s0, s0, 16
	s_mul_i32 s6, s6, s0
	v_add_u32_e32 v9, s6, v1
	s_cmp_lt_u32 s7, s10
	v_cmp_gt_u32_e32 vcc, s9, v9
	s_cselect_b64 s[0:1], -1, 0
	s_and_b64 s[0:1], s[0:1], vcc
	s_and_saveexec_b64 s[2:3], s[0:1]
	s_cbranch_execz .LBB70_7
; %bb.1:
	s_load_dwordx2 s[2:3], s[4:5], 0x10
	s_ashr_i32 s0, s8, 31
	s_lshr_b32 s0, s0, 24
	s_add_i32 s0, s8, s0
	v_and_b32_e32 v16, 0x3ff, v0
	s_ashr_i32 s6, s0, 8
	v_lshrrev_b32_e32 v18, 3, v16
	v_cmp_gt_u32_e32 vcc, s6, v18
	v_mov_b32_e32 v17, 0
	s_and_saveexec_b64 s[10:11], vcc
	s_cbranch_execz .LBB70_5
; %bb.2:
	s_load_dwordx4 s[12:15], s[4:5], 0x0
	s_add_i32 s0, s8, 0x1ff
	s_ashr_i32 s1, s0, 31
	s_lshr_b32 s1, s1, 23
	s_add_i32 s0, s0, s1
	s_ashr_i32 s0, s0, 9
	v_and_b32_e32 v1, 7, v16
	s_mul_i32 s4, s7, s0
	v_lshlrev_b32_e32 v8, 3, v1
	v_lshlrev_b32_e32 v0, 1, v1
	s_waitcnt lgkmcnt(0)
	v_mad_u64_u32 v[10:11], s[0:1], v1, 36, s[14:15]
	v_lshlrev_b32_e32 v1, 3, v18
	v_mul_lo_u32 v19, v9, s6
	v_mov_b32_e32 v17, 0
	v_lshl_add_u32 v20, s4, 4, v1
	s_mov_b64 s[4:5], 0
	s_movk_i32 s8, 0x62
	v_pk_mov_b32 v[12:13], s[12:13], s[12:13] op_sel:[0,1]
	v_lshlrev_b32_e32 v21, 1, v0
	s_mov_b32 s16, 0xffff
	s_mov_b32 s17, 0xc060c00
	v_mov_b32_e32 v22, 2
	s_getpc_b64 s[14:15]
	s_add_u32 s14, s14, _ZL11iq3xxs_grid@rel32@lo+4
	s_addc_u32 s15, s15, _ZL11iq3xxs_grid@rel32@hi+12
	s_getpc_b64 s[12:13]
	s_add_u32 s12, s12, _ZL8ksigns64@rel32@lo+4
	s_addc_u32 s13, s13, _ZL8ksigns64@rel32@hi+12
.LBB70_3:                               ; =>This Inner Loop Header: Depth=1
	v_add_u32_e32 v0, v19, v18
	v_mad_i64_i32 v[14:15], s[0:1], v20, 36, v[10:11]
	v_mad_i64_i32 v[24:25], s[0:1], v0, s8, v[12:13]
	global_load_dword v30, v[14:15], off offset:32
	global_load_dwordx4 v[4:7], v[14:15], off
	global_load_dwordx4 v[0:3], v[14:15], off offset:16
	v_add_co_u32_e64 v14, s[0:1], v24, v8
	v_addc_co_u32_e64 v15, s[0:1], 0, v25, s[0:1]
	v_add_co_u32_e64 v26, s[0:1], v24, v21
	v_addc_co_u32_e64 v27, s[0:1], 0, v25, s[0:1]
	global_load_dword v31, v[26:27], off offset:66
	global_load_dwordx2 v[28:29], v[14:15], off offset:2
	global_load_ushort v32, v[24:25], off
	v_mov_b32_e32 v23, 0
	v_add_u32_e32 v18, 8, v18
	v_cmp_le_u32_e32 vcc, s6, v18
	v_add_u32_e32 v20, 64, v20
	s_or_b64 s[4:5], vcc, s[4:5]
	s_waitcnt vmcnt(4)
	v_cvt_f32_f16_e32 v4, v4
	s_waitcnt vmcnt(2)
	v_and_b32_e32 v25, 0x7f, v31
	v_and_b32_e32 v14, 0xffff0000, v31
	s_waitcnt vmcnt(1)
	v_lshlrev_b32_sdwa v15, v22, v28 dst_sel:DWORD dst_unused:UNUSED_PAD src0_sel:DWORD src1_sel:BYTE_0
	v_lshlrev_b32_sdwa v24, v22, v28 dst_sel:DWORD dst_unused:UNUSED_PAD src0_sel:DWORD src1_sel:BYTE_1
	v_lshlrev_b32_sdwa v26, v22, v28 dst_sel:DWORD dst_unused:UNUSED_PAD src0_sel:DWORD src1_sel:BYTE_2
	v_lshlrev_b32_sdwa v27, v22, v28 dst_sel:DWORD dst_unused:UNUSED_PAD src0_sel:DWORD src1_sel:BYTE_3
	v_lshrrev_b32_e32 v28, 4, v31
	v_lshlrev_b32_sdwa v33, v22, v29 dst_sel:DWORD dst_unused:UNUSED_PAD src0_sel:DWORD src1_sel:BYTE_0
	v_lshlrev_b32_sdwa v34, v22, v29 dst_sel:DWORD dst_unused:UNUSED_PAD src0_sel:DWORD src1_sel:BYTE_1
	v_lshlrev_b32_sdwa v35, v22, v29 dst_sel:DWORD dst_unused:UNUSED_PAD src0_sel:DWORD src1_sel:BYTE_2
	v_lshrrev_b32_e32 v36, 18, v31
	v_lshlrev_b32_e32 v38, 3, v25
	v_lshlrev_b32_sdwa v29, v22, v29 dst_sel:DWORD dst_unused:UNUSED_PAD src0_sel:DWORD src1_sel:BYTE_3
	v_lshrrev_b32_e32 v37, 28, v31
	v_and_or_b32 v31, v31, s16, v14
	global_load_dword v39, v15, s[14:15]
	global_load_dword v40, v24, s[14:15]
	v_and_b32_e32 v28, 0x3f8, v28
	global_load_dword v41, v26, s[14:15]
	global_load_dword v42, v27, s[14:15]
	global_load_dword v43, v33, s[14:15]
	global_load_dword v44, v34, s[14:15]
	v_and_b32_e32 v33, 0x3f8, v36
	global_load_dword v34, v35, s[14:15]
	global_load_dword v36, v29, s[14:15]
	global_load_dwordx2 v[14:15], v38, s[12:13]
	global_load_dwordx2 v[24:25], v28, s[12:13]
	;; [unrolled: 1-line block ×3, first 2 shown]
	v_lshrrev_b32_e32 v28, 11, v31
	v_cvt_f32_ubyte0_e32 v29, v37
	v_and_b32_e32 v28, 0x3f8, v28
	v_add_f32_e32 v31, 0.5, v29
	global_load_dwordx2 v[28:29], v28, s[12:13]
	s_waitcnt vmcnt(12)
	v_cvt_f32_f16_e32 v32, v32
	s_waitcnt vmcnt(3)
	v_and_b32_e32 v35, 0xff000000, v14
	v_xor_b32_e32 v33, v14, v39
	v_and_b32_e32 v37, 0xff0000, v14
	v_and_b32_e32 v38, 0xff00, v14
	v_xor_b32_e32 v39, v15, v40
	v_and_b32_e32 v40, 0xff000000, v15
	v_and_b32_e32 v45, 0xff0000, v15
	;; [unrolled: 1-line block ×3, first 2 shown]
	s_waitcnt vmcnt(2)
	v_xor_b32_e32 v41, v24, v41
	v_and_b32_e32 v47, 0xff000000, v24
	v_and_b32_e32 v48, 0xff0000, v24
	;; [unrolled: 1-line block ×3, first 2 shown]
	v_xor_b32_e32 v42, v25, v42
	v_and_b32_e32 v50, 0xff000000, v25
	v_and_b32_e32 v51, 0xff0000, v25
	;; [unrolled: 1-line block ×3, first 2 shown]
	s_waitcnt vmcnt(1)
	v_xor_b32_e32 v34, v26, v34
	v_and_b32_e32 v53, 0xff000000, v26
	v_and_b32_e32 v54, 0xff0000, v26
	;; [unrolled: 1-line block ×3, first 2 shown]
	v_xor_b32_e32 v36, v27, v36
	v_and_b32_e32 v56, 0xff000000, v27
	v_and_b32_e32 v57, 0xff0000, v27
	;; [unrolled: 1-line block ×3, first 2 shown]
	v_sub_u32_e32 v35, v33, v35
	v_sub_u32_e32 v37, v33, v37
	;; [unrolled: 1-line block ×24, first 2 shown]
	v_and_b32_e32 v35, 0xff000000, v35
	v_and_b32_e32 v36, 0xff00, v38
	v_perm_b32 v14, v37, v14, s17
	v_and_b32_e32 v33, 0xff000000, v33
	v_and_b32_e32 v37, 0xff00, v45
	v_perm_b32 v15, v40, v15, s17
	v_or3_b32 v14, v14, v35, v36
	v_and_b32_e32 v38, 0xff000000, v39
	v_and_b32_e32 v39, 0xff00, v47
	v_perm_b32 v24, v46, v24, s17
	s_waitcnt vmcnt(0)
	v_xor_b32_e32 v43, v28, v43
	v_and_b32_e32 v45, 0xff000000, v28
	v_and_b32_e32 v46, 0xff0000, v28
	;; [unrolled: 1-line block ×3, first 2 shown]
	v_or3_b32 v15, v15, v33, v37
	v_dot4c_i32_i8_e32 v23, v14, v5
	v_and_b32_e32 v40, 0xff000000, v41
	v_and_b32_e32 v41, 0xff00, v49
	v_perm_b32 v25, v48, v25, s17
	v_xor_b32_e32 v44, v29, v44
	v_and_b32_e32 v48, 0xff000000, v29
	v_and_b32_e32 v49, 0xff0000, v29
	;; [unrolled: 1-line block ×3, first 2 shown]
	v_or3_b32 v24, v24, v38, v39
	v_sub_u32_e32 v33, v43, v45
	v_sub_u32_e32 v35, v43, v46
	;; [unrolled: 1-line block ×4, first 2 shown]
	v_dot4c_i32_i8_e32 v23, v15, v6
	v_perm_b32 v26, v50, v26, s17
	v_and_b32_e32 v34, 0xff000000, v34
	v_and_b32_e32 v50, 0xff00, v53
	v_perm_b32 v27, v52, v27, s17
	v_or3_b32 v25, v25, v40, v41
	v_sub_u32_e32 v37, v44, v48
	v_sub_u32_e32 v38, v44, v49
	;; [unrolled: 1-line block ×4, first 2 shown]
	v_and_b32_e32 v5, 0xff000000, v33
	v_and_b32_e32 v14, 0xff00, v36
	v_perm_b32 v28, v35, v28, s17
	v_dot4c_i32_i8_e32 v23, v24, v7
	v_or3_b32 v27, v27, v34, v50
	v_and_b32_e32 v33, 0xff000000, v37
	v_and_b32_e32 v34, 0xff00, v39
	v_perm_b32 v29, v38, v29, s17
	v_or3_b32 v5, v28, v5, v14
	v_dot4c_i32_i8_e32 v23, v25, v0
	v_and_b32_e32 v42, 0xff000000, v42
	v_and_b32_e32 v51, 0xff00, v51
	v_or3_b32 v6, v29, v33, v34
	v_dot4c_i32_i8_e32 v23, v5, v1
	v_or3_b32 v26, v26, v42, v51
	v_dot4c_i32_i8_e32 v23, v6, v2
	v_dot4c_i32_i8_e32 v23, v26, v3
	;; [unrolled: 1-line block ×3, first 2 shown]
	v_mul_f32_e32 v1, v31, v32
	v_mul_f32_e32 v1, v1, v4
	v_mul_f32_e32 v1, 0.5, v1
	v_cvt_f32_i32_e32 v0, v23
	v_fmac_f32_e32 v17, v1, v0
	s_andn2_b64 exec, exec, s[4:5]
	s_cbranch_execnz .LBB70_3
; %bb.4:
	s_or_b64 exec, exec, s[4:5]
.LBB70_5:
	s_or_b64 exec, exec, s[10:11]
	v_mbcnt_lo_u32_b32 v0, -1, 0
	v_mbcnt_hi_u32_b32 v1, -1, v0
	v_and_b32_e32 v0, 64, v1
	v_add_u32_e32 v2, 64, v0
	v_xor_b32_e32 v0, 32, v1
	v_cmp_lt_i32_e32 vcc, v0, v2
	v_cndmask_b32_e32 v0, v1, v0, vcc
	v_lshlrev_b32_e32 v0, 2, v0
	ds_bpermute_b32 v0, v0, v17
	v_xor_b32_e32 v3, 16, v1
	v_cmp_lt_i32_e32 vcc, v3, v2
	v_cndmask_b32_e32 v3, v1, v3, vcc
	v_lshlrev_b32_e32 v3, 2, v3
	s_waitcnt lgkmcnt(0)
	v_add_f32_e32 v0, v17, v0
	ds_bpermute_b32 v3, v3, v0
	v_xor_b32_e32 v4, 8, v1
	v_cmp_lt_i32_e32 vcc, v4, v2
	s_waitcnt lgkmcnt(0)
	v_add_f32_e32 v0, v0, v3
	v_cndmask_b32_e32 v3, v1, v4, vcc
	v_lshlrev_b32_e32 v3, 2, v3
	ds_bpermute_b32 v3, v3, v0
	v_xor_b32_e32 v4, 4, v1
	v_cmp_lt_i32_e32 vcc, v4, v2
	s_waitcnt lgkmcnt(0)
	v_add_f32_e32 v0, v0, v3
	v_cndmask_b32_e32 v3, v1, v4, vcc
	v_lshlrev_b32_e32 v3, 2, v3
	;; [unrolled: 7-line block ×3, first 2 shown]
	ds_bpermute_b32 v3, v3, v0
	v_xor_b32_e32 v4, 1, v1
	v_cmp_lt_i32_e32 vcc, v4, v2
	v_cndmask_b32_e32 v1, v1, v4, vcc
	v_lshlrev_b32_e32 v1, 2, v1
	s_waitcnt lgkmcnt(0)
	v_add_f32_e32 v0, v0, v3
	ds_bpermute_b32 v1, v1, v0
	v_cmp_eq_u32_e32 vcc, 0, v16
	s_and_b64 exec, exec, vcc
	s_cbranch_execz .LBB70_7
; %bb.6:
	s_mul_i32 s7, s7, s9
	s_waitcnt lgkmcnt(0)
	v_add_f32_e32 v2, v0, v1
	v_add_u32_e32 v0, s7, v9
	v_mov_b32_e32 v1, 0
	v_lshlrev_b64 v[0:1], 2, v[0:1]
	v_mov_b32_e32 v3, s3
	v_add_co_u32_e32 v0, vcc, s2, v0
	v_addc_co_u32_e32 v1, vcc, v3, v1, vcc
	global_store_dword v[0:1], v2, off
.LBB70_7:
	s_endpgm
	.section	.rodata,"a",@progbits
	.p2align	6, 0x0
	.amdhsa_kernel _ZL13mul_mat_vec_qIfLi256ELi8E13block_iq3_xxsLi1EXadL_ZL20vec_dot_iq3_xxs_q8_1PKvPK10block_q8_1RKiEEEvS2_S2_PT_iii
		.amdhsa_group_segment_fixed_size 0
		.amdhsa_private_segment_fixed_size 0
		.amdhsa_kernarg_size 296
		.amdhsa_user_sgpr_count 6
		.amdhsa_user_sgpr_private_segment_buffer 1
		.amdhsa_user_sgpr_dispatch_ptr 0
		.amdhsa_user_sgpr_queue_ptr 0
		.amdhsa_user_sgpr_kernarg_segment_ptr 1
		.amdhsa_user_sgpr_dispatch_id 0
		.amdhsa_user_sgpr_flat_scratch_init 0
		.amdhsa_user_sgpr_kernarg_preload_length 0
		.amdhsa_user_sgpr_kernarg_preload_offset 0
		.amdhsa_user_sgpr_private_segment_size 0
		.amdhsa_uses_dynamic_stack 0
		.amdhsa_system_sgpr_private_segment_wavefront_offset 0
		.amdhsa_system_sgpr_workgroup_id_x 1
		.amdhsa_system_sgpr_workgroup_id_y 1
		.amdhsa_system_sgpr_workgroup_id_z 0
		.amdhsa_system_sgpr_workgroup_info 0
		.amdhsa_system_vgpr_workitem_id 1
		.amdhsa_next_free_vgpr 59
		.amdhsa_next_free_sgpr 18
		.amdhsa_accum_offset 60
		.amdhsa_reserve_vcc 1
		.amdhsa_reserve_flat_scratch 0
		.amdhsa_float_round_mode_32 0
		.amdhsa_float_round_mode_16_64 0
		.amdhsa_float_denorm_mode_32 3
		.amdhsa_float_denorm_mode_16_64 3
		.amdhsa_dx10_clamp 1
		.amdhsa_ieee_mode 1
		.amdhsa_fp16_overflow 0
		.amdhsa_tg_split 0
		.amdhsa_exception_fp_ieee_invalid_op 0
		.amdhsa_exception_fp_denorm_src 0
		.amdhsa_exception_fp_ieee_div_zero 0
		.amdhsa_exception_fp_ieee_overflow 0
		.amdhsa_exception_fp_ieee_underflow 0
		.amdhsa_exception_fp_ieee_inexact 0
		.amdhsa_exception_int_div_zero 0
	.end_amdhsa_kernel
	.section	.text._ZL13mul_mat_vec_qIfLi256ELi8E13block_iq3_xxsLi1EXadL_ZL20vec_dot_iq3_xxs_q8_1PKvPK10block_q8_1RKiEEEvS2_S2_PT_iii,"axG",@progbits,_ZL13mul_mat_vec_qIfLi256ELi8E13block_iq3_xxsLi1EXadL_ZL20vec_dot_iq3_xxs_q8_1PKvPK10block_q8_1RKiEEEvS2_S2_PT_iii,comdat
.Lfunc_end70:
	.size	_ZL13mul_mat_vec_qIfLi256ELi8E13block_iq3_xxsLi1EXadL_ZL20vec_dot_iq3_xxs_q8_1PKvPK10block_q8_1RKiEEEvS2_S2_PT_iii, .Lfunc_end70-_ZL13mul_mat_vec_qIfLi256ELi8E13block_iq3_xxsLi1EXadL_ZL20vec_dot_iq3_xxs_q8_1PKvPK10block_q8_1RKiEEEvS2_S2_PT_iii
                                        ; -- End function
	.section	.AMDGPU.csdata,"",@progbits
; Kernel info:
; codeLenInByte = 1624
; NumSgprs: 22
; NumVgprs: 59
; NumAgprs: 0
; TotalNumVgprs: 59
; ScratchSize: 0
; MemoryBound: 0
; FloatMode: 240
; IeeeMode: 1
; LDSByteSize: 0 bytes/workgroup (compile time only)
; SGPRBlocks: 2
; VGPRBlocks: 7
; NumSGPRsForWavesPerEU: 22
; NumVGPRsForWavesPerEU: 59
; AccumOffset: 60
; Occupancy: 8
; WaveLimiterHint : 0
; COMPUTE_PGM_RSRC2:SCRATCH_EN: 0
; COMPUTE_PGM_RSRC2:USER_SGPR: 6
; COMPUTE_PGM_RSRC2:TRAP_HANDLER: 0
; COMPUTE_PGM_RSRC2:TGID_X_EN: 1
; COMPUTE_PGM_RSRC2:TGID_Y_EN: 1
; COMPUTE_PGM_RSRC2:TGID_Z_EN: 0
; COMPUTE_PGM_RSRC2:TIDIG_COMP_CNT: 1
; COMPUTE_PGM_RSRC3_GFX90A:ACCUM_OFFSET: 14
; COMPUTE_PGM_RSRC3_GFX90A:TG_SPLIT: 0
	.section	.text._ZL13mul_mat_vec_qIfLi256ELi8E11block_iq1_sLi1EXadL_ZL18vec_dot_iq1_s_q8_1PKvPK10block_q8_1RKiEEEvS2_S2_PT_iii,"axG",@progbits,_ZL13mul_mat_vec_qIfLi256ELi8E11block_iq1_sLi1EXadL_ZL18vec_dot_iq1_s_q8_1PKvPK10block_q8_1RKiEEEvS2_S2_PT_iii,comdat
	.globl	_ZL13mul_mat_vec_qIfLi256ELi8E11block_iq1_sLi1EXadL_ZL18vec_dot_iq1_s_q8_1PKvPK10block_q8_1RKiEEEvS2_S2_PT_iii ; -- Begin function _ZL13mul_mat_vec_qIfLi256ELi8E11block_iq1_sLi1EXadL_ZL18vec_dot_iq1_s_q8_1PKvPK10block_q8_1RKiEEEvS2_S2_PT_iii
	.p2align	8
	.type	_ZL13mul_mat_vec_qIfLi256ELi8E11block_iq1_sLi1EXadL_ZL18vec_dot_iq1_s_q8_1PKvPK10block_q8_1RKiEEEvS2_S2_PT_iii,@function
_ZL13mul_mat_vec_qIfLi256ELi8E11block_iq1_sLi1EXadL_ZL18vec_dot_iq1_s_q8_1PKvPK10block_q8_1RKiEEEvS2_S2_PT_iii: ; @_ZL13mul_mat_vec_qIfLi256ELi8E11block_iq1_sLi1EXadL_ZL18vec_dot_iq1_s_q8_1PKvPK10block_q8_1RKiEEEvS2_S2_PT_iii
; %bb.0:
	s_load_dword s8, s[4:5], 0x34
	s_load_dwordx4 s[0:3], s[4:5], 0x18
	v_bfe_u32 v1, v0, 10, 10
	s_waitcnt lgkmcnt(0)
	s_lshr_b32 s3, s8, 16
	s_mul_i32 s6, s6, s3
	v_add_u32_e32 v1, s6, v1
	s_cmp_lt_u32 s7, s2
	v_cmp_gt_u32_e32 vcc, s1, v1
	s_cselect_b64 s[2:3], -1, 0
	s_and_b64 s[2:3], s[2:3], vcc
	s_and_saveexec_b64 s[8:9], s[2:3]
	s_cbranch_execz .LBB71_7
; %bb.1:
	s_load_dwordx2 s[2:3], s[4:5], 0x10
	s_ashr_i32 s6, s0, 31
	s_lshr_b32 s6, s6, 24
	s_add_i32 s6, s0, s6
	v_and_b32_e32 v2, 0x3ff, v0
	s_ashr_i32 s6, s6, 8
	v_lshrrev_b32_e32 v4, 3, v2
	v_cmp_gt_u32_e32 vcc, s6, v4
	v_mov_b32_e32 v3, 0
	s_and_saveexec_b64 s[12:13], vcc
	s_cbranch_execz .LBB71_5
; %bb.2:
	s_addk_i32 s0, 0x1ff
	s_load_dwordx4 s[8:11], s[4:5], 0x0
	s_ashr_i32 s4, s0, 31
	s_lshr_b32 s4, s4, 23
	s_add_i32 s0, s0, s4
	s_ashr_i32 s0, s0, 9
	v_and_b32_e32 v0, 7, v2
	s_mul_i32 s0, s7, s0
	v_lshlrev_b32_e32 v8, 1, v0
	v_lshlrev_b32_e32 v6, 3, v4
	v_mul_lo_u32 v5, v1, s6
	v_mov_b32_e32 v3, 0
	v_lshl_add_u32 v6, s0, 4, v6
	s_mov_b64 s[4:5], 0
	v_lshlrev_b32_e32 v7, 1, v8
	v_lshlrev_b32_e32 v8, 1, v0
	s_movk_i32 s0, 0x700
.LBB71_3:                               ; =>This Inner Loop Header: Depth=1
	v_add_u32_e32 v9, v5, v4
	s_waitcnt lgkmcnt(0)
	v_mad_i64_i32 v[18:19], s[14:15], v9, 50, s[8:9]
	v_add_co_u32_e32 v10, vcc, v18, v7
	v_addc_co_u32_e32 v11, vcc, 0, v19, vcc
	v_add_co_u32_e32 v12, vcc, v18, v8
	v_addc_co_u32_e32 v13, vcc, 0, v19, vcc
	global_load_dword v9, v[10:11], off offset:2
	global_load_ushort v22, v[12:13], off offset:34
	v_mad_i64_i32 v[10:11], s[14:15], v6, 36, s[10:11]
	v_mad_u64_u32 v[20:21], s[16:17], v0, 36, v[10:11]
	global_load_dwordx4 v[10:13], v[20:21], off
	global_load_dwordx4 v[14:17], v[20:21], off offset:16
	global_load_ushort v23, v[18:19], off
	s_getpc_b64 s[14:15]
	s_add_u32 s14, s14, _ZL13iq1s_grid_gpu@rel32@lo+4
	s_addc_u32 s15, s15, _ZL13iq1s_grid_gpu@rel32@hi+12
	v_add_u32_e32 v4, 8, v4
	v_cmp_le_u32_e32 vcc, s6, v4
	v_add_u32_e32 v6, 64, v6
	s_or_b64 s[4:5], vcc, s[4:5]
	s_waitcnt vmcnt(4)
	v_and_b32_e32 v24, 0xff, v9
	s_waitcnt vmcnt(3)
	v_lshlrev_b32_e32 v25, 8, v22
	v_lshrrev_b16_e32 v18, 8, v9
	v_lshrrev_b32_e32 v19, 24, v9
	v_lshlrev_b32_e32 v26, 5, v22
	v_bfe_u32 v9, v9, 16, 8
	v_lshlrev_b32_e32 v27, 2, v22
	v_lshrrev_b32_e32 v28, 1, v22
	v_and_or_b32 v24, v25, s0, v24
	v_and_or_b32 v18, v26, s0, v18
	;; [unrolled: 1-line block ×4, first 2 shown]
	v_lshlrev_b32_e32 v24, 3, v24
	v_lshlrev_b32_e32 v18, 3, v18
	;; [unrolled: 1-line block ×4, first 2 shown]
	global_load_dword v25, v24, s[14:15]
	global_load_dword v26, v18, s[14:15]
	;; [unrolled: 1-line block ×4, first 2 shown]
	global_load_dword v29, v[20:21], off offset:32
	v_lshrrev_b32_e32 v18, 11, v22
	v_mov_b32_e32 v9, 0
	s_waitcnt vmcnt(7)
	v_cvt_f32_f16_e32 v20, v10
	v_cvt_f32_f16_sdwa v21, v10 dst_sel:DWORD dst_unused:UNUSED_PAD src0_sel:WORD_1
	s_waitcnt vmcnt(5)
	v_cvt_f32_f16_e32 v10, v23
	v_and_or_b32 v23, v18, 14, 1
	v_and_b32_e32 v22, 0x8000, v22
	v_cvt_f32_u32_e32 v22, v22
	v_mov_b32_e32 v19, 0xbf600000
	v_fmac_f32_e32 v19, 0xb7000000, v22
	s_waitcnt vmcnt(4)
	v_and_b32_e32 v18, 0xf0f0f0f, v25
	v_lshrrev_b32_e32 v24, 4, v25
	v_and_b32_e32 v24, 0xf0f0f0f, v24
	v_dot4c_i32_i8_e32 v9, v18, v11
	s_waitcnt vmcnt(3)
	v_and_b32_e32 v25, 0xf0f0f0f, v26
	v_lshrrev_b32_e32 v26, 4, v26
	v_dot4c_i32_i8_e32 v9, v24, v12
	v_and_b32_e32 v11, 0xf0f0f0f, v26
	v_dot4c_i32_i8_e32 v9, v25, v13
	s_waitcnt vmcnt(2)
	v_and_b32_e32 v30, 0xf0f0f0f, v27
	v_lshrrev_b32_e32 v27, 4, v27
	v_dot4c_i32_i8_e32 v9, v11, v14
	;; [unrolled: 6-line block ×3, first 2 shown]
	v_and_b32_e32 v26, 0xf0f0f0f, v28
	v_dot4c_i32_i8_e32 v9, v31, v17
	s_waitcnt vmcnt(0)
	v_dot4c_i32_i8_e32 v9, v26, v29
	s_nop 2
	v_cvt_f32_i32_e32 v18, v9
	v_cvt_f32_ubyte0_e32 v9, v23
	v_mul_f32_e32 v9, v9, v10
	v_pk_mul_f32 v[10:11], v[18:19], v[20:21]
	v_add_f32_e32 v10, v10, v11
	v_fmac_f32_e32 v3, v9, v10
	s_andn2_b64 exec, exec, s[4:5]
	s_cbranch_execnz .LBB71_3
; %bb.4:
	s_or_b64 exec, exec, s[4:5]
.LBB71_5:
	s_or_b64 exec, exec, s[12:13]
	v_mbcnt_lo_u32_b32 v0, -1, 0
	v_mbcnt_hi_u32_b32 v4, -1, v0
	v_and_b32_e32 v0, 64, v4
	v_add_u32_e32 v5, 64, v0
	v_xor_b32_e32 v0, 32, v4
	v_cmp_lt_i32_e32 vcc, v0, v5
	v_cndmask_b32_e32 v0, v4, v0, vcc
	v_lshlrev_b32_e32 v0, 2, v0
	ds_bpermute_b32 v0, v0, v3
	v_xor_b32_e32 v6, 16, v4
	v_cmp_lt_i32_e32 vcc, v6, v5
	s_waitcnt lgkmcnt(0)
	v_add_f32_e32 v0, v3, v0
	v_cndmask_b32_e32 v3, v4, v6, vcc
	v_lshlrev_b32_e32 v3, 2, v3
	ds_bpermute_b32 v3, v3, v0
	v_xor_b32_e32 v6, 8, v4
	v_cmp_lt_i32_e32 vcc, v6, v5
	s_waitcnt lgkmcnt(0)
	v_add_f32_e32 v0, v0, v3
	;; [unrolled: 7-line block ×5, first 2 shown]
	v_cndmask_b32_e32 v3, v4, v6, vcc
	v_lshlrev_b32_e32 v3, 2, v3
	ds_bpermute_b32 v3, v3, v0
	v_cmp_eq_u32_e32 vcc, 0, v2
	s_and_b64 exec, exec, vcc
	s_cbranch_execz .LBB71_7
; %bb.6:
	s_mul_i32 s7, s7, s1
	s_waitcnt lgkmcnt(0)
	v_add_f32_e32 v2, v0, v3
	v_add_u32_e32 v0, s7, v1
	v_mov_b32_e32 v1, 0
	v_lshlrev_b64 v[0:1], 2, v[0:1]
	v_mov_b32_e32 v3, s3
	v_add_co_u32_e32 v0, vcc, s2, v0
	v_addc_co_u32_e32 v1, vcc, v3, v1, vcc
	global_store_dword v[0:1], v2, off
.LBB71_7:
	s_endpgm
	.section	.rodata,"a",@progbits
	.p2align	6, 0x0
	.amdhsa_kernel _ZL13mul_mat_vec_qIfLi256ELi8E11block_iq1_sLi1EXadL_ZL18vec_dot_iq1_s_q8_1PKvPK10block_q8_1RKiEEEvS2_S2_PT_iii
		.amdhsa_group_segment_fixed_size 0
		.amdhsa_private_segment_fixed_size 0
		.amdhsa_kernarg_size 296
		.amdhsa_user_sgpr_count 6
		.amdhsa_user_sgpr_private_segment_buffer 1
		.amdhsa_user_sgpr_dispatch_ptr 0
		.amdhsa_user_sgpr_queue_ptr 0
		.amdhsa_user_sgpr_kernarg_segment_ptr 1
		.amdhsa_user_sgpr_dispatch_id 0
		.amdhsa_user_sgpr_flat_scratch_init 0
		.amdhsa_user_sgpr_kernarg_preload_length 0
		.amdhsa_user_sgpr_kernarg_preload_offset 0
		.amdhsa_user_sgpr_private_segment_size 0
		.amdhsa_uses_dynamic_stack 0
		.amdhsa_system_sgpr_private_segment_wavefront_offset 0
		.amdhsa_system_sgpr_workgroup_id_x 1
		.amdhsa_system_sgpr_workgroup_id_y 1
		.amdhsa_system_sgpr_workgroup_id_z 0
		.amdhsa_system_sgpr_workgroup_info 0
		.amdhsa_system_vgpr_workitem_id 1
		.amdhsa_next_free_vgpr 32
		.amdhsa_next_free_sgpr 18
		.amdhsa_accum_offset 32
		.amdhsa_reserve_vcc 1
		.amdhsa_reserve_flat_scratch 0
		.amdhsa_float_round_mode_32 0
		.amdhsa_float_round_mode_16_64 0
		.amdhsa_float_denorm_mode_32 3
		.amdhsa_float_denorm_mode_16_64 3
		.amdhsa_dx10_clamp 1
		.amdhsa_ieee_mode 1
		.amdhsa_fp16_overflow 0
		.amdhsa_tg_split 0
		.amdhsa_exception_fp_ieee_invalid_op 0
		.amdhsa_exception_fp_denorm_src 0
		.amdhsa_exception_fp_ieee_div_zero 0
		.amdhsa_exception_fp_ieee_overflow 0
		.amdhsa_exception_fp_ieee_underflow 0
		.amdhsa_exception_fp_ieee_inexact 0
		.amdhsa_exception_int_div_zero 0
	.end_amdhsa_kernel
	.section	.text._ZL13mul_mat_vec_qIfLi256ELi8E11block_iq1_sLi1EXadL_ZL18vec_dot_iq1_s_q8_1PKvPK10block_q8_1RKiEEEvS2_S2_PT_iii,"axG",@progbits,_ZL13mul_mat_vec_qIfLi256ELi8E11block_iq1_sLi1EXadL_ZL18vec_dot_iq1_s_q8_1PKvPK10block_q8_1RKiEEEvS2_S2_PT_iii,comdat
.Lfunc_end71:
	.size	_ZL13mul_mat_vec_qIfLi256ELi8E11block_iq1_sLi1EXadL_ZL18vec_dot_iq1_s_q8_1PKvPK10block_q8_1RKiEEEvS2_S2_PT_iii, .Lfunc_end71-_ZL13mul_mat_vec_qIfLi256ELi8E11block_iq1_sLi1EXadL_ZL18vec_dot_iq1_s_q8_1PKvPK10block_q8_1RKiEEEvS2_S2_PT_iii
                                        ; -- End function
	.section	.AMDGPU.csdata,"",@progbits
; Kernel info:
; codeLenInByte = 976
; NumSgprs: 22
; NumVgprs: 32
; NumAgprs: 0
; TotalNumVgprs: 32
; ScratchSize: 0
; MemoryBound: 0
; FloatMode: 240
; IeeeMode: 1
; LDSByteSize: 0 bytes/workgroup (compile time only)
; SGPRBlocks: 2
; VGPRBlocks: 3
; NumSGPRsForWavesPerEU: 22
; NumVGPRsForWavesPerEU: 32
; AccumOffset: 32
; Occupancy: 8
; WaveLimiterHint : 0
; COMPUTE_PGM_RSRC2:SCRATCH_EN: 0
; COMPUTE_PGM_RSRC2:USER_SGPR: 6
; COMPUTE_PGM_RSRC2:TRAP_HANDLER: 0
; COMPUTE_PGM_RSRC2:TGID_X_EN: 1
; COMPUTE_PGM_RSRC2:TGID_Y_EN: 1
; COMPUTE_PGM_RSRC2:TGID_Z_EN: 0
; COMPUTE_PGM_RSRC2:TIDIG_COMP_CNT: 1
; COMPUTE_PGM_RSRC3_GFX90A:ACCUM_OFFSET: 7
; COMPUTE_PGM_RSRC3_GFX90A:TG_SPLIT: 0
	.section	.text._ZL13mul_mat_vec_qIfLi32ELi4E12block_iq4_nlLi2EXadL_ZL19vec_dot_iq4_nl_q8_1PKvPK10block_q8_1RKiEEEvS2_S2_PT_iii,"axG",@progbits,_ZL13mul_mat_vec_qIfLi32ELi4E12block_iq4_nlLi2EXadL_ZL19vec_dot_iq4_nl_q8_1PKvPK10block_q8_1RKiEEEvS2_S2_PT_iii,comdat
	.globl	_ZL13mul_mat_vec_qIfLi32ELi4E12block_iq4_nlLi2EXadL_ZL19vec_dot_iq4_nl_q8_1PKvPK10block_q8_1RKiEEEvS2_S2_PT_iii ; -- Begin function _ZL13mul_mat_vec_qIfLi32ELi4E12block_iq4_nlLi2EXadL_ZL19vec_dot_iq4_nl_q8_1PKvPK10block_q8_1RKiEEEvS2_S2_PT_iii
	.p2align	8
	.type	_ZL13mul_mat_vec_qIfLi32ELi4E12block_iq4_nlLi2EXadL_ZL19vec_dot_iq4_nl_q8_1PKvPK10block_q8_1RKiEEEvS2_S2_PT_iii,@function
_ZL13mul_mat_vec_qIfLi32ELi4E12block_iq4_nlLi2EXadL_ZL19vec_dot_iq4_nl_q8_1PKvPK10block_q8_1RKiEEEvS2_S2_PT_iii: ; @_ZL13mul_mat_vec_qIfLi32ELi4E12block_iq4_nlLi2EXadL_ZL19vec_dot_iq4_nl_q8_1PKvPK10block_q8_1RKiEEEvS2_S2_PT_iii
; %bb.0:
	s_load_dword s8, s[4:5], 0x34
	s_load_dwordx4 s[0:3], s[4:5], 0x18
	v_bfe_u32 v1, v0, 10, 10
	s_waitcnt lgkmcnt(0)
	s_lshr_b32 s3, s8, 16
	s_mul_i32 s6, s6, s3
	v_add_u32_e32 v1, s6, v1
	s_cmp_lt_u32 s7, s2
	v_cmp_gt_u32_e32 vcc, s1, v1
	s_cselect_b64 s[2:3], -1, 0
	s_and_b64 s[2:3], s[2:3], vcc
	s_and_saveexec_b64 s[8:9], s[2:3]
	s_cbranch_execz .LBB72_7
; %bb.1:
	s_load_dwordx2 s[2:3], s[4:5], 0x10
	s_ashr_i32 s6, s0, 31
	s_lshr_b32 s6, s6, 27
	s_add_i32 s6, s0, s6
	v_and_b32_e32 v0, 0x3ff, v0
	s_ashr_i32 s6, s6, 5
	v_lshrrev_b32_e32 v3, 1, v0
	v_cmp_gt_u32_e32 vcc, s6, v3
	v_mov_b32_e32 v2, 0
	s_and_saveexec_b64 s[12:13], vcc
	s_cbranch_execz .LBB72_5
; %bb.2:
	s_addk_i32 s0, 0x1ff
	s_load_dwordx4 s[8:11], s[4:5], 0x0
	s_ashr_i32 s4, s0, 31
	s_lshr_b32 s4, s4, 23
	s_add_i32 s0, s0, s4
	v_lshlrev_b32_e32 v2, 1, v0
	s_ashr_i32 s0, s0, 9
	v_and_b32_e32 v6, 2, v2
	s_mul_i32 s0, s7, s0
	v_lshlrev_b32_e32 v8, 1, v6
	v_mul_lo_u32 v4, v1, s6
	s_lshl_b32 s0, s0, 4
	v_mov_b32_e32 v2, 0
	s_mov_b64 s[4:5], 0
	v_lshlrev_b32_e32 v5, 1, v8
	v_lshlrev_b32_e32 v6, 2, v6
.LBB72_3:                               ; =>This Inner Loop Header: Depth=1
	v_add_u32_e32 v7, v4, v3
	s_waitcnt lgkmcnt(0)
	v_mad_i64_i32 v[8:9], s[14:15], v7, 18, s[8:9]
	v_add_co_u32_e32 v10, vcc, v8, v5
	v_addc_co_u32_e32 v11, vcc, 0, v9, vcc
	global_load_dwordx2 v[10:11], v[10:11], off offset:2
	v_add_u32_e32 v7, s0, v3
	v_mad_i64_i32 v[12:13], s[16:17], v7, 36, s[10:11]
	v_add_co_u32_e32 v14, vcc, v12, v6
	s_getpc_b64 s[14:15]
	s_add_u32 s14, s14, _ZL13kvalues_iq4nl@rel32@lo+4
	s_addc_u32 s15, s15, _ZL13kvalues_iq4nl@rel32@hi+12
	v_addc_co_u32_e32 v15, vcc, 0, v13, vcc
	global_load_ushort v7, v[8:9], off
	global_load_dwordx2 v[16:17], v[14:15], off offset:4
	global_load_dwordx2 v[18:19], v[14:15], off offset:20
	v_add_u32_e32 v3, 32, v3
	v_cmp_le_u32_e32 vcc, s6, v3
	s_or_b64 s[4:5], vcc, s[4:5]
	s_waitcnt vmcnt(3)
	v_bfe_u32 v8, v10, 24, 4
	v_and_b32_e32 v9, 15, v10
	v_bfe_u32 v14, v10, 8, 4
	v_bfe_u32 v15, v10, 16, 4
	v_bfe_u32 v20, v10, 12, 4
	v_bfe_u32 v21, v10, 20, 4
	v_lshrrev_b32_e32 v22, 28, v10
	v_bfe_u32 v10, v10, 4, 4
	v_bfe_u32 v23, v11, 24, 4
	v_and_b32_e32 v24, 15, v11
	v_bfe_u32 v25, v11, 8, 4
	v_bfe_u32 v26, v11, 16, 4
	;; [unrolled: 1-line block ×4, first 2 shown]
	v_lshrrev_b32_e32 v29, 28, v11
	v_bfe_u32 v11, v11, 4, 4
	global_load_ubyte v30, v14, s[14:15]
	global_load_ubyte v31, v15, s[14:15]
	;; [unrolled: 1-line block ×15, first 2 shown]
                                        ; kill: killed $vgpr25
                                        ; kill: killed $vgpr11
                                        ; kill: killed $vgpr9
                                        ; kill: killed $vgpr10
                                        ; kill: killed $vgpr24
                                        ; kill: killed $vgpr28
                                        ; kill: killed $vgpr15
                                        ; kill: killed $vgpr8
                                        ; kill: killed $vgpr14
                                        ; kill: killed $vgpr20
                                        ; kill: killed $vgpr29
                                        ; kill: killed $vgpr22
                                        ; kill: killed $vgpr27
                                        ; kill: killed $vgpr26
                                        ; kill: killed $vgpr21
	global_load_ubyte v8, v23, s[14:15]
	global_load_dword v9, v[12:13], off
	v_mov_b32_e32 v10, 0
	v_mov_b32_e32 v11, 0
	s_waitcnt vmcnt(19)
	v_cvt_f32_f16_e32 v7, v7
	s_waitcnt vmcnt(15)
	v_lshlrev_b32_e32 v13, 16, v31
	s_waitcnt vmcnt(13)
	v_lshlrev_b32_e32 v20, 16, v33
	s_waitcnt vmcnt(12)
	v_lshl_or_b32 v21, v32, 8, v34
	s_waitcnt vmcnt(11)
	v_lshlrev_b32_e32 v15, 24, v35
	s_waitcnt vmcnt(10)
	v_lshl_or_b32 v14, v30, 8, v36
	s_waitcnt vmcnt(9)
	v_lshlrev_b32_e32 v12, 24, v37
	v_or3_b32 v12, v14, v13, v12
	s_waitcnt vmcnt(7)
	v_lshlrev_b32_e32 v22, 16, v39
	v_or3_b32 v13, v21, v20, v15
	s_waitcnt vmcnt(5)
	v_lshlrev_b32_e32 v25, 16, v41
	s_waitcnt vmcnt(4)
	v_lshl_or_b32 v26, v40, 8, v42
	s_waitcnt vmcnt(3)
	v_lshlrev_b32_e32 v24, 24, v43
	s_waitcnt vmcnt(2)
	v_lshl_or_b32 v23, v38, 8, v44
	v_or3_b32 v14, v26, v25, v24
	v_dot4c_i32_i8_e32 v10, v12, v16
	v_dot4c_i32_i8_e32 v11, v13, v18
	;; [unrolled: 1-line block ×3, first 2 shown]
	s_waitcnt vmcnt(1)
	v_lshlrev_b32_e32 v8, 24, v8
	v_or3_b32 v8, v23, v22, v8
	v_dot4c_i32_i8_e32 v10, v8, v17
	s_waitcnt vmcnt(0)
	v_cvt_f32_f16_e32 v9, v9
	v_mul_f32_e32 v7, v7, v9
	v_add_u32_e32 v8, v11, v10
	v_cvt_f32_i32_e32 v8, v8
	v_fmac_f32_e32 v2, v7, v8
	s_andn2_b64 exec, exec, s[4:5]
	s_cbranch_execnz .LBB72_3
; %bb.4:
	s_or_b64 exec, exec, s[4:5]
.LBB72_5:
	s_or_b64 exec, exec, s[12:13]
	v_mbcnt_lo_u32_b32 v3, -1, 0
	v_mbcnt_hi_u32_b32 v3, -1, v3
	v_and_b32_e32 v4, 64, v3
	v_add_u32_e32 v4, 64, v4
	v_xor_b32_e32 v5, 32, v3
	v_cmp_lt_i32_e32 vcc, v5, v4
	v_cndmask_b32_e32 v5, v3, v5, vcc
	v_lshlrev_b32_e32 v5, 2, v5
	ds_bpermute_b32 v5, v5, v2
	v_xor_b32_e32 v6, 16, v3
	v_cmp_lt_i32_e32 vcc, v6, v4
	s_waitcnt lgkmcnt(0)
	v_add_f32_e32 v2, v2, v5
	v_cndmask_b32_e32 v5, v3, v6, vcc
	v_lshlrev_b32_e32 v5, 2, v5
	ds_bpermute_b32 v5, v5, v2
	v_xor_b32_e32 v6, 8, v3
	v_cmp_lt_i32_e32 vcc, v6, v4
	s_waitcnt lgkmcnt(0)
	v_add_f32_e32 v2, v2, v5
	;; [unrolled: 7-line block ×4, first 2 shown]
	v_cndmask_b32_e32 v5, v3, v6, vcc
	v_lshlrev_b32_e32 v5, 2, v5
	ds_bpermute_b32 v5, v5, v2
	v_xor_b32_e32 v6, 1, v3
	v_cmp_lt_i32_e32 vcc, v6, v4
	v_cndmask_b32_e32 v3, v3, v6, vcc
	v_lshlrev_b32_e32 v3, 2, v3
	s_waitcnt lgkmcnt(0)
	v_add_f32_e32 v2, v2, v5
	ds_bpermute_b32 v3, v3, v2
	v_cmp_eq_u32_e32 vcc, 0, v0
	s_and_b64 exec, exec, vcc
	s_cbranch_execz .LBB72_7
; %bb.6:
	s_mul_i32 s7, s7, s1
	v_add_u32_e32 v0, s7, v1
	v_mov_b32_e32 v1, 0
	v_lshlrev_b64 v[0:1], 2, v[0:1]
	s_waitcnt lgkmcnt(0)
	v_add_f32_e32 v2, v2, v3
	v_mov_b32_e32 v3, s3
	v_add_co_u32_e32 v0, vcc, s2, v0
	v_addc_co_u32_e32 v1, vcc, v3, v1, vcc
	global_store_dword v[0:1], v2, off
.LBB72_7:
	s_endpgm
	.section	.rodata,"a",@progbits
	.p2align	6, 0x0
	.amdhsa_kernel _ZL13mul_mat_vec_qIfLi32ELi4E12block_iq4_nlLi2EXadL_ZL19vec_dot_iq4_nl_q8_1PKvPK10block_q8_1RKiEEEvS2_S2_PT_iii
		.amdhsa_group_segment_fixed_size 0
		.amdhsa_private_segment_fixed_size 0
		.amdhsa_kernarg_size 296
		.amdhsa_user_sgpr_count 6
		.amdhsa_user_sgpr_private_segment_buffer 1
		.amdhsa_user_sgpr_dispatch_ptr 0
		.amdhsa_user_sgpr_queue_ptr 0
		.amdhsa_user_sgpr_kernarg_segment_ptr 1
		.amdhsa_user_sgpr_dispatch_id 0
		.amdhsa_user_sgpr_flat_scratch_init 0
		.amdhsa_user_sgpr_kernarg_preload_length 0
		.amdhsa_user_sgpr_kernarg_preload_offset 0
		.amdhsa_user_sgpr_private_segment_size 0
		.amdhsa_uses_dynamic_stack 0
		.amdhsa_system_sgpr_private_segment_wavefront_offset 0
		.amdhsa_system_sgpr_workgroup_id_x 1
		.amdhsa_system_sgpr_workgroup_id_y 1
		.amdhsa_system_sgpr_workgroup_id_z 0
		.amdhsa_system_sgpr_workgroup_info 0
		.amdhsa_system_vgpr_workitem_id 1
		.amdhsa_next_free_vgpr 45
		.amdhsa_next_free_sgpr 18
		.amdhsa_accum_offset 48
		.amdhsa_reserve_vcc 1
		.amdhsa_reserve_flat_scratch 0
		.amdhsa_float_round_mode_32 0
		.amdhsa_float_round_mode_16_64 0
		.amdhsa_float_denorm_mode_32 3
		.amdhsa_float_denorm_mode_16_64 3
		.amdhsa_dx10_clamp 1
		.amdhsa_ieee_mode 1
		.amdhsa_fp16_overflow 0
		.amdhsa_tg_split 0
		.amdhsa_exception_fp_ieee_invalid_op 0
		.amdhsa_exception_fp_denorm_src 0
		.amdhsa_exception_fp_ieee_div_zero 0
		.amdhsa_exception_fp_ieee_overflow 0
		.amdhsa_exception_fp_ieee_underflow 0
		.amdhsa_exception_fp_ieee_inexact 0
		.amdhsa_exception_int_div_zero 0
	.end_amdhsa_kernel
	.section	.text._ZL13mul_mat_vec_qIfLi32ELi4E12block_iq4_nlLi2EXadL_ZL19vec_dot_iq4_nl_q8_1PKvPK10block_q8_1RKiEEEvS2_S2_PT_iii,"axG",@progbits,_ZL13mul_mat_vec_qIfLi32ELi4E12block_iq4_nlLi2EXadL_ZL19vec_dot_iq4_nl_q8_1PKvPK10block_q8_1RKiEEEvS2_S2_PT_iii,comdat
.Lfunc_end72:
	.size	_ZL13mul_mat_vec_qIfLi32ELi4E12block_iq4_nlLi2EXadL_ZL19vec_dot_iq4_nl_q8_1PKvPK10block_q8_1RKiEEEvS2_S2_PT_iii, .Lfunc_end72-_ZL13mul_mat_vec_qIfLi32ELi4E12block_iq4_nlLi2EXadL_ZL19vec_dot_iq4_nl_q8_1PKvPK10block_q8_1RKiEEEvS2_S2_PT_iii
                                        ; -- End function
	.section	.AMDGPU.csdata,"",@progbits
; Kernel info:
; codeLenInByte = 1036
; NumSgprs: 22
; NumVgprs: 45
; NumAgprs: 0
; TotalNumVgprs: 45
; ScratchSize: 0
; MemoryBound: 0
; FloatMode: 240
; IeeeMode: 1
; LDSByteSize: 0 bytes/workgroup (compile time only)
; SGPRBlocks: 2
; VGPRBlocks: 5
; NumSGPRsForWavesPerEU: 22
; NumVGPRsForWavesPerEU: 45
; AccumOffset: 48
; Occupancy: 8
; WaveLimiterHint : 0
; COMPUTE_PGM_RSRC2:SCRATCH_EN: 0
; COMPUTE_PGM_RSRC2:USER_SGPR: 6
; COMPUTE_PGM_RSRC2:TRAP_HANDLER: 0
; COMPUTE_PGM_RSRC2:TGID_X_EN: 1
; COMPUTE_PGM_RSRC2:TGID_Y_EN: 1
; COMPUTE_PGM_RSRC2:TGID_Z_EN: 0
; COMPUTE_PGM_RSRC2:TIDIG_COMP_CNT: 1
; COMPUTE_PGM_RSRC3_GFX90A:ACCUM_OFFSET: 11
; COMPUTE_PGM_RSRC3_GFX90A:TG_SPLIT: 0
	.section	.text._ZL13mul_mat_vec_qIfLi256ELi8E11block_iq3_sLi1EXadL_ZL18vec_dot_iq3_s_q8_1PKvPK10block_q8_1RKiEEEvS2_S2_PT_iii,"axG",@progbits,_ZL13mul_mat_vec_qIfLi256ELi8E11block_iq3_sLi1EXadL_ZL18vec_dot_iq3_s_q8_1PKvPK10block_q8_1RKiEEEvS2_S2_PT_iii,comdat
	.globl	_ZL13mul_mat_vec_qIfLi256ELi8E11block_iq3_sLi1EXadL_ZL18vec_dot_iq3_s_q8_1PKvPK10block_q8_1RKiEEEvS2_S2_PT_iii ; -- Begin function _ZL13mul_mat_vec_qIfLi256ELi8E11block_iq3_sLi1EXadL_ZL18vec_dot_iq3_s_q8_1PKvPK10block_q8_1RKiEEEvS2_S2_PT_iii
	.p2align	8
	.type	_ZL13mul_mat_vec_qIfLi256ELi8E11block_iq3_sLi1EXadL_ZL18vec_dot_iq3_s_q8_1PKvPK10block_q8_1RKiEEEvS2_S2_PT_iii,@function
_ZL13mul_mat_vec_qIfLi256ELi8E11block_iq3_sLi1EXadL_ZL18vec_dot_iq3_s_q8_1PKvPK10block_q8_1RKiEEEvS2_S2_PT_iii: ; @_ZL13mul_mat_vec_qIfLi256ELi8E11block_iq3_sLi1EXadL_ZL18vec_dot_iq3_s_q8_1PKvPK10block_q8_1RKiEEEvS2_S2_PT_iii
; %bb.0:
	s_load_dword s8, s[4:5], 0x34
	s_load_dwordx4 s[0:3], s[4:5], 0x18
	v_bfe_u32 v1, v0, 10, 10
	s_waitcnt lgkmcnt(0)
	s_lshr_b32 s3, s8, 16
	s_mul_i32 s6, s6, s3
	v_add_u32_e32 v1, s6, v1
	s_cmp_lt_u32 s7, s2
	v_cmp_gt_u32_e32 vcc, s1, v1
	s_cselect_b64 s[2:3], -1, 0
	s_and_b64 s[2:3], s[2:3], vcc
	s_and_saveexec_b64 s[8:9], s[2:3]
	s_cbranch_execz .LBB73_9
; %bb.1:
	s_load_dwordx2 s[2:3], s[4:5], 0x10
	s_ashr_i32 s6, s0, 31
	s_lshr_b32 s6, s6, 24
	s_add_i32 s6, s0, s6
	v_and_b32_e32 v5, 0x3ff, v0
	s_ashr_i32 s6, s6, 8
	v_lshrrev_b32_e32 v23, 3, v5
	v_cmp_gt_u32_e32 vcc, s6, v23
	v_mov_b32_e32 v22, 0
	s_and_saveexec_b64 s[8:9], vcc
	s_cbranch_execz .LBB73_7
; %bb.2:
	s_load_dwordx4 s[12:15], s[4:5], 0x0
	s_addk_i32 s0, 0x1ff
	s_ashr_i32 s4, s0, 31
	v_and_b32_e32 v0, 7, v5
	v_lshlrev_b32_e32 v6, 2, v5
	s_lshr_b32 s4, s4, 23
	v_and_b32_e32 v25, 4, v6
	v_lshlrev_b32_e32 v6, 2, v0
	s_add_i32 s0, s0, s4
	s_waitcnt lgkmcnt(0)
	v_mad_u64_u32 v[2:3], s[4:5], v0, 36, s[14:15]
	v_mov_b32_e32 v9, s13
	v_add_co_u32_e32 v6, vcc, s12, v6
	v_addc_co_u32_e32 v7, vcc, 0, v9, vcc
	s_movk_i32 s4, 0x4a
	v_add_co_u32_e32 v6, vcc, s4, v6
	v_lshlrev_b32_e32 v8, 3, v0
	v_addc_co_u32_e32 v7, vcc, 0, v7, vcc
	v_add_co_u32_e32 v8, vcc, s12, v8
	s_ashr_i32 s0, s0, 9
	v_addc_co_u32_e32 v9, vcc, 0, v9, vcc
	s_mul_i32 s0, s7, s0
	v_mul_lo_u32 v24, v1, s6
	v_add_co_u32_e32 v8, vcc, 2, v8
	s_lshl_b32 s0, s0, 4
	v_mov_b32_e32 v22, 0
	v_bfe_u32 v4, v5, 1, 2
	v_add_u32_e32 v26, v23, v24
	v_addc_co_u32_e32 v9, vcc, 0, v9, vcc
	s_mov_b64 s[4:5], 0
	s_movk_i32 s10, 0x6e
	v_pk_mov_b32 v[10:11], s[12:13], s[12:13] op_sel:[0,1]
	s_movk_i32 s11, 0x100
	s_mov_b32 s12, 0x1010101
	s_mov_b32 s13, 0x1000000
	v_mov_b32_e32 v27, 0xff0000
	v_mov_b32_e32 v28, 0xff00
	v_mov_b32_e32 v29, 0xff
	s_mov_b32 s14, 0xc060c00
.LBB73_3:                               ; =>This Loop Header: Depth=1
                                        ;     Child Loop BB73_4 Depth 2
	v_add_u32_e32 v12, v23, v24
	v_mad_i64_i32 v[12:13], s[16:17], v12, s10, v[10:11]
	v_add_co_u32_e32 v14, vcc, v12, v0
	v_addc_co_u32_e32 v15, vcc, 0, v13, vcc
	global_load_ubyte v31, v[14:15], off offset:66
	v_lshl_add_u32 v14, v23, 3, s0
	v_mad_i64_i32 v[14:15], s[16:17], v14, 36, v[2:3]
	v_add_co_u32_e32 v20, vcc, 4, v14
	v_mad_i64_i32 v[16:17], s[16:17], v26, s10, v[6:7]
	v_mad_i64_i32 v[18:19], s[16:17], v26, s10, v[8:9]
	v_addc_co_u32_e32 v21, vcc, 0, v15, vcc
	s_mov_b32 s15, 7
	v_mov_b32_e32 v30, 0
.LBB73_4:                               ;   Parent Loop BB73_3 Depth=1
                                        ; =>  This Inner Loop Header: Depth=2
	global_load_ushort v32, v[18:19], off
	global_load_ubyte v34, v[16:17], off
	s_add_i32 s18, s15, 1
	s_waitcnt vmcnt(2)
	v_lshlrev_b32_e32 v35, s18, v31
	v_lshlrev_b32_e32 v33, s15, v31
	s_getpc_b64 s[16:17]
	s_add_u32 s16, s16, _ZL10iq3xs_grid@rel32@lo+4
	s_addc_u32 s17, s17, _ZL10iq3xs_grid@rel32@hi+12
	s_add_i32 s15, s15, -2
	s_cmp_lg_u32 s15, -1
	s_waitcnt vmcnt(1)
	v_and_b32_e32 v36, 0xff, v32
	v_lshrrev_b16_e32 v32, 8, v32
	v_and_or_b32 v35, v35, s11, v36
	v_and_or_b32 v32, v33, s11, v32
	v_lshlrev_b32_e32 v35, 2, v35
	v_lshlrev_b32_e32 v36, 2, v32
	global_load_dword v37, v35, s[16:17]
	global_load_dword v38, v36, s[16:17]
	global_load_dwordx2 v[32:33], v[20:21], off
	v_add_co_u32_e32 v20, vcc, 8, v20
	v_addc_co_u32_e32 v21, vcc, 0, v21, vcc
	v_add_co_u32_e32 v16, vcc, 1, v16
	s_waitcnt vmcnt(3)
	v_and_b32_e32 v35, 15, v34
	v_lshrrev_b16_e32 v34, 4, v34
	v_addc_co_u32_e32 v17, vcc, 0, v17, vcc
	v_mul_lo_u32 v34, v34, s12
	v_add_co_u32_e32 v18, vcc, 2, v18
	v_not_b32_e32 v34, v34
	v_addc_co_u32_e32 v19, vcc, 0, v19, vcc
	v_and_b32_e32 v36, 0x8040201, v34
	v_and_b32_e32 v35, 0xffff, v35
	;; [unrolled: 1-line block ×3, first 2 shown]
	v_cmp_gt_u32_e32 vcc, s13, v36
	v_mul_lo_u32 v35, v35, s12
	v_and_b32_e32 v40, 0x200, v34
	v_cndmask_b32_e64 v36, 0, -1, vcc
	v_cmp_eq_u32_e32 vcc, 0, v39
	v_not_b32_e32 v35, v35
	v_and_b32_e32 v34, 1, v34
	v_cndmask_b32_e32 v39, 0, v27, vcc
	v_cmp_eq_u32_e32 vcc, 0, v40
	v_and_b32_e32 v41, 0x8040201, v35
	v_cndmask_b32_e32 v40, 0, v28, vcc
	v_cmp_eq_u32_e32 vcc, 0, v34
	v_and_b32_e32 v42, 0x40000, v35
	v_cndmask_b32_e32 v34, 0, v29, vcc
	v_cmp_gt_u32_e32 vcc, s13, v41
	v_and_b32_e32 v43, 0x200, v35
	v_cndmask_b32_e64 v41, 0, -1, vcc
	v_cmp_eq_u32_e32 vcc, 0, v42
	v_and_b32_e32 v35, 1, v35
	v_cndmask_b32_e32 v42, 0, v27, vcc
	v_cmp_eq_u32_e32 vcc, 0, v43
	v_cndmask_b32_e32 v43, 0, v28, vcc
	v_cmp_eq_u32_e32 vcc, 0, v35
	v_cndmask_b32_e32 v35, 0, v29, vcc
	v_lshlrev_b32_e32 v41, 24, v41
	v_or_b32_e32 v45, v43, v35
	v_lshlrev_b32_e32 v36, 24, v36
	v_or_b32_e32 v44, v40, v34
	v_or3_b32 v45, v45, v42, v41
	v_or3_b32 v44, v44, v39, v36
	s_waitcnt vmcnt(2)
	v_xor_b32_e32 v37, v45, v37
	s_waitcnt vmcnt(1)
	v_xor_b32_e32 v38, v44, v38
	v_sub_u32_e32 v41, v37, v41
	v_sub_u32_e32 v42, v37, v42
	;; [unrolled: 1-line block ×8, first 2 shown]
	v_and_b32_e32 v38, 0xff000000, v41
	v_and_b32_e32 v40, 0xff00, v43
	v_perm_b32 v35, v42, v35, s14
	v_and_b32_e32 v36, 0xff000000, v36
	v_and_b32_e32 v39, 0xff00, v39
	v_perm_b32 v34, v37, v34, s14
	v_or3_b32 v35, v35, v38, v40
	v_or3_b32 v34, v34, v36, v39
	s_waitcnt vmcnt(0)
	v_dot4c_i32_i8_e32 v30, v35, v32
	v_dot4c_i32_i8_e32 v30, v34, v33
	s_cbranch_scc1 .LBB73_4
; %bb.5:                                ;   in Loop: Header=BB73_3 Depth=1
	global_load_ushort v16, v[12:13], off
	v_add_co_u32_e32 v12, vcc, v12, v4
	v_addc_co_u32_e32 v13, vcc, 0, v13, vcc
	global_load_dword v17, v[14:15], off
	global_load_ubyte v18, v[12:13], off offset:106
	v_cvt_f32_i32_e32 v12, v30
	v_add_u32_e32 v23, 8, v23
	v_cmp_le_u32_e32 vcc, s6, v23
	s_or_b64 s[4:5], vcc, s[4:5]
	v_add_u32_e32 v26, 8, v26
	s_waitcnt vmcnt(2)
	v_cvt_f32_f16_e32 v13, v16
	s_waitcnt vmcnt(1)
	v_cvt_f32_f16_e32 v14, v17
	s_waitcnt vmcnt(0)
	v_bfe_u32 v15, v18, v25, 4
	v_cvt_f32_ubyte0_e32 v15, v15
	v_add_f32_e32 v15, 0.5, v15
	v_mul_f32_e32 v13, v15, v13
	v_mul_f32_e32 v13, v13, v14
	v_mul_f32_e32 v13, 0.5, v13
	v_fmac_f32_e32 v22, v13, v12
	s_andn2_b64 exec, exec, s[4:5]
	s_cbranch_execnz .LBB73_3
; %bb.6:
	s_or_b64 exec, exec, s[4:5]
.LBB73_7:
	s_or_b64 exec, exec, s[8:9]
	v_mbcnt_lo_u32_b32 v0, -1, 0
	v_mbcnt_hi_u32_b32 v2, -1, v0
	v_and_b32_e32 v0, 64, v2
	v_add_u32_e32 v3, 64, v0
	v_xor_b32_e32 v0, 32, v2
	v_cmp_lt_i32_e32 vcc, v0, v3
	v_cndmask_b32_e32 v0, v2, v0, vcc
	v_lshlrev_b32_e32 v0, 2, v0
	ds_bpermute_b32 v0, v0, v22
	v_xor_b32_e32 v4, 16, v2
	v_cmp_lt_i32_e32 vcc, v4, v3
	v_cndmask_b32_e32 v4, v2, v4, vcc
	v_lshlrev_b32_e32 v4, 2, v4
	s_waitcnt lgkmcnt(0)
	v_add_f32_e32 v0, v22, v0
	ds_bpermute_b32 v4, v4, v0
	v_xor_b32_e32 v6, 8, v2
	v_cmp_lt_i32_e32 vcc, v6, v3
	s_waitcnt lgkmcnt(0)
	v_add_f32_e32 v0, v0, v4
	v_cndmask_b32_e32 v4, v2, v6, vcc
	v_lshlrev_b32_e32 v4, 2, v4
	ds_bpermute_b32 v4, v4, v0
	v_xor_b32_e32 v6, 4, v2
	v_cmp_lt_i32_e32 vcc, v6, v3
	s_waitcnt lgkmcnt(0)
	v_add_f32_e32 v0, v0, v4
	v_cndmask_b32_e32 v4, v2, v6, vcc
	v_lshlrev_b32_e32 v4, 2, v4
	;; [unrolled: 7-line block ×3, first 2 shown]
	ds_bpermute_b32 v4, v4, v0
	v_xor_b32_e32 v6, 1, v2
	v_cmp_lt_i32_e32 vcc, v6, v3
	v_cndmask_b32_e32 v2, v2, v6, vcc
	v_lshlrev_b32_e32 v2, 2, v2
	s_waitcnt lgkmcnt(0)
	v_add_f32_e32 v0, v0, v4
	ds_bpermute_b32 v2, v2, v0
	v_cmp_eq_u32_e32 vcc, 0, v5
	s_and_b64 exec, exec, vcc
	s_cbranch_execz .LBB73_9
; %bb.8:
	s_mul_i32 s7, s7, s1
	s_waitcnt lgkmcnt(0)
	v_add_f32_e32 v2, v0, v2
	v_add_u32_e32 v0, s7, v1
	v_mov_b32_e32 v1, 0
	v_lshlrev_b64 v[0:1], 2, v[0:1]
	v_mov_b32_e32 v3, s3
	v_add_co_u32_e32 v0, vcc, s2, v0
	v_addc_co_u32_e32 v1, vcc, v3, v1, vcc
	global_store_dword v[0:1], v2, off
.LBB73_9:
	s_endpgm
	.section	.rodata,"a",@progbits
	.p2align	6, 0x0
	.amdhsa_kernel _ZL13mul_mat_vec_qIfLi256ELi8E11block_iq3_sLi1EXadL_ZL18vec_dot_iq3_s_q8_1PKvPK10block_q8_1RKiEEEvS2_S2_PT_iii
		.amdhsa_group_segment_fixed_size 0
		.amdhsa_private_segment_fixed_size 0
		.amdhsa_kernarg_size 296
		.amdhsa_user_sgpr_count 6
		.amdhsa_user_sgpr_private_segment_buffer 1
		.amdhsa_user_sgpr_dispatch_ptr 0
		.amdhsa_user_sgpr_queue_ptr 0
		.amdhsa_user_sgpr_kernarg_segment_ptr 1
		.amdhsa_user_sgpr_dispatch_id 0
		.amdhsa_user_sgpr_flat_scratch_init 0
		.amdhsa_user_sgpr_kernarg_preload_length 0
		.amdhsa_user_sgpr_kernarg_preload_offset 0
		.amdhsa_user_sgpr_private_segment_size 0
		.amdhsa_uses_dynamic_stack 0
		.amdhsa_system_sgpr_private_segment_wavefront_offset 0
		.amdhsa_system_sgpr_workgroup_id_x 1
		.amdhsa_system_sgpr_workgroup_id_y 1
		.amdhsa_system_sgpr_workgroup_id_z 0
		.amdhsa_system_sgpr_workgroup_info 0
		.amdhsa_system_vgpr_workitem_id 1
		.amdhsa_next_free_vgpr 46
		.amdhsa_next_free_sgpr 19
		.amdhsa_accum_offset 48
		.amdhsa_reserve_vcc 1
		.amdhsa_reserve_flat_scratch 0
		.amdhsa_float_round_mode_32 0
		.amdhsa_float_round_mode_16_64 0
		.amdhsa_float_denorm_mode_32 3
		.amdhsa_float_denorm_mode_16_64 3
		.amdhsa_dx10_clamp 1
		.amdhsa_ieee_mode 1
		.amdhsa_fp16_overflow 0
		.amdhsa_tg_split 0
		.amdhsa_exception_fp_ieee_invalid_op 0
		.amdhsa_exception_fp_denorm_src 0
		.amdhsa_exception_fp_ieee_div_zero 0
		.amdhsa_exception_fp_ieee_overflow 0
		.amdhsa_exception_fp_ieee_underflow 0
		.amdhsa_exception_fp_ieee_inexact 0
		.amdhsa_exception_int_div_zero 0
	.end_amdhsa_kernel
	.section	.text._ZL13mul_mat_vec_qIfLi256ELi8E11block_iq3_sLi1EXadL_ZL18vec_dot_iq3_s_q8_1PKvPK10block_q8_1RKiEEEvS2_S2_PT_iii,"axG",@progbits,_ZL13mul_mat_vec_qIfLi256ELi8E11block_iq3_sLi1EXadL_ZL18vec_dot_iq3_s_q8_1PKvPK10block_q8_1RKiEEEvS2_S2_PT_iii,comdat
.Lfunc_end73:
	.size	_ZL13mul_mat_vec_qIfLi256ELi8E11block_iq3_sLi1EXadL_ZL18vec_dot_iq3_s_q8_1PKvPK10block_q8_1RKiEEEvS2_S2_PT_iii, .Lfunc_end73-_ZL13mul_mat_vec_qIfLi256ELi8E11block_iq3_sLi1EXadL_ZL18vec_dot_iq3_s_q8_1PKvPK10block_q8_1RKiEEEvS2_S2_PT_iii
                                        ; -- End function
	.section	.AMDGPU.csdata,"",@progbits
; Kernel info:
; codeLenInByte = 1264
; NumSgprs: 23
; NumVgprs: 46
; NumAgprs: 0
; TotalNumVgprs: 46
; ScratchSize: 0
; MemoryBound: 0
; FloatMode: 240
; IeeeMode: 1
; LDSByteSize: 0 bytes/workgroup (compile time only)
; SGPRBlocks: 2
; VGPRBlocks: 5
; NumSGPRsForWavesPerEU: 23
; NumVGPRsForWavesPerEU: 46
; AccumOffset: 48
; Occupancy: 8
; WaveLimiterHint : 0
; COMPUTE_PGM_RSRC2:SCRATCH_EN: 0
; COMPUTE_PGM_RSRC2:USER_SGPR: 6
; COMPUTE_PGM_RSRC2:TRAP_HANDLER: 0
; COMPUTE_PGM_RSRC2:TGID_X_EN: 1
; COMPUTE_PGM_RSRC2:TGID_Y_EN: 1
; COMPUTE_PGM_RSRC2:TGID_Z_EN: 0
; COMPUTE_PGM_RSRC2:TIDIG_COMP_CNT: 1
; COMPUTE_PGM_RSRC3_GFX90A:ACCUM_OFFSET: 11
; COMPUTE_PGM_RSRC3_GFX90A:TG_SPLIT: 0
	.section	.text._ZL13mul_mat_vec_qIfLi256ELi8E11block_iq2_sLi1EXadL_ZL18vec_dot_iq2_s_q8_1PKvPK10block_q8_1RKiEEEvS2_S2_PT_iii,"axG",@progbits,_ZL13mul_mat_vec_qIfLi256ELi8E11block_iq2_sLi1EXadL_ZL18vec_dot_iq2_s_q8_1PKvPK10block_q8_1RKiEEEvS2_S2_PT_iii,comdat
	.globl	_ZL13mul_mat_vec_qIfLi256ELi8E11block_iq2_sLi1EXadL_ZL18vec_dot_iq2_s_q8_1PKvPK10block_q8_1RKiEEEvS2_S2_PT_iii ; -- Begin function _ZL13mul_mat_vec_qIfLi256ELi8E11block_iq2_sLi1EXadL_ZL18vec_dot_iq2_s_q8_1PKvPK10block_q8_1RKiEEEvS2_S2_PT_iii
	.p2align	8
	.type	_ZL13mul_mat_vec_qIfLi256ELi8E11block_iq2_sLi1EXadL_ZL18vec_dot_iq2_s_q8_1PKvPK10block_q8_1RKiEEEvS2_S2_PT_iii,@function
_ZL13mul_mat_vec_qIfLi256ELi8E11block_iq2_sLi1EXadL_ZL18vec_dot_iq2_s_q8_1PKvPK10block_q8_1RKiEEEvS2_S2_PT_iii: ; @_ZL13mul_mat_vec_qIfLi256ELi8E11block_iq2_sLi1EXadL_ZL18vec_dot_iq2_s_q8_1PKvPK10block_q8_1RKiEEEvS2_S2_PT_iii
; %bb.0:
	s_load_dword s0, s[4:5], 0x34
	s_load_dwordx4 s[8:11], s[4:5], 0x18
	v_bfe_u32 v1, v0, 10, 10
	s_waitcnt lgkmcnt(0)
	s_lshr_b32 s0, s0, 16
	s_mul_i32 s6, s6, s0
	v_add_u32_e32 v1, s6, v1
	s_cmp_lt_u32 s7, s10
	v_cmp_gt_u32_e32 vcc, s9, v1
	s_cselect_b64 s[0:1], -1, 0
	s_and_b64 s[0:1], s[0:1], vcc
	s_and_saveexec_b64 s[2:3], s[0:1]
	s_cbranch_execz .LBB74_7
; %bb.1:
	s_load_dwordx2 s[2:3], s[4:5], 0x10
	s_ashr_i32 s0, s8, 31
	s_lshr_b32 s0, s0, 24
	s_add_i32 s0, s8, s0
	v_and_b32_e32 v5, 0x3ff, v0
	s_ashr_i32 s6, s0, 8
	v_lshrrev_b32_e32 v15, 3, v5
	v_cmp_gt_u32_e32 vcc, s6, v15
	v_mov_b32_e32 v14, 0
	s_and_saveexec_b64 s[10:11], vcc
	s_cbranch_execz .LBB74_5
; %bb.2:
	s_add_i32 s0, s8, 0x1ff
	s_load_dwordx4 s[12:15], s[4:5], 0x0
	s_ashr_i32 s1, s0, 31
	s_lshr_b32 s1, s1, 23
	s_add_i32 s0, s0, s1
	s_ashr_i32 s0, s0, 9
	s_mul_i32 s4, s7, s0
	v_and_b32_e32 v0, 7, v5
	v_lshlrev_b32_e32 v6, 3, v15
	v_mul_lo_u32 v16, v1, s6
	v_mov_b32_e32 v14, 0
	s_waitcnt lgkmcnt(0)
	v_mad_u64_u32 v[2:3], s[0:1], v0, 36, s[14:15]
	v_lshlrev_b32_e32 v4, 2, v0
	v_lshl_add_u32 v17, s4, 4, v6
	s_mov_b64 s[4:5], 0
	s_movk_i32 s8, 0x52
	v_pk_mov_b32 v[6:7], s[12:13], s[12:13] op_sel:[0,1]
	s_movk_i32 s12, 0x300
	s_mov_b32 s13, 0x1010101
	s_mov_b32 s14, 0x1000000
	v_mov_b32_e32 v18, 0xff0000
	v_mov_b32_e32 v19, 0xff00
	;; [unrolled: 1-line block ×3, first 2 shown]
	s_mov_b32 s15, 0xc060c00
	v_mov_b32_e32 v21, 4
.LBB74_3:                               ; =>This Inner Loop Header: Depth=1
	v_add_u32_e32 v8, v16, v15
	v_mad_i64_i32 v[8:9], s[16:17], v8, s8, v[6:7]
	v_add_co_u32_e32 v10, vcc, v8, v4
	v_addc_co_u32_e32 v11, vcc, 0, v9, vcc
	v_add_co_u32_e32 v12, vcc, v8, v0
	v_addc_co_u32_e32 v13, vcc, 0, v9, vcc
	global_load_ushort v26, v[8:9], off
	global_load_dword v22, v[10:11], off offset:2
	global_load_ubyte v23, v[12:13], off offset:66
	global_load_dword v24, v[10:11], off offset:34
	global_load_ubyte v27, v[12:13], off offset:74
	s_getpc_b64 s[0:1]
	s_add_u32 s0, s0, _ZL9iq2s_grid@rel32@lo+4
	s_addc_u32 s1, s1, _ZL9iq2s_grid@rel32@hi+12
	v_add_u32_e32 v15, 8, v15
	s_waitcnt vmcnt(4)
	v_cvt_f32_f16_e32 v26, v26
	s_waitcnt vmcnt(3)
	v_lshrrev_b32_e32 v8, 24, v22
	v_and_b32_e32 v9, 0xff, v22
	s_waitcnt vmcnt(2)
	v_lshlrev_b32_e32 v10, 8, v23
	s_waitcnt vmcnt(1)
	v_lshrrev_b32_e32 v11, 8, v24
	v_and_b32_e32 v12, 15, v24
	v_lshrrev_b16_e32 v13, 4, v24
	v_bfe_u32 v25, v22, 8, 8
	v_lshlrev_b32_e32 v28, 6, v23
	v_bfe_u32 v29, v24, 8, 4
	v_bfe_u32 v22, v22, 16, 8
	v_lshlrev_b32_e32 v30, 4, v23
	v_bfe_u32 v31, v24, 16, 4
	;; [unrolled: 3-line block ×3, first 2 shown]
	v_lshrrev_b16_sdwa v24, v21, v24 dst_sel:DWORD dst_unused:UNUSED_PAD src0_sel:DWORD src1_sel:BYTE_3
	v_and_or_b32 v9, v10, s12, v9
	v_mul_lo_u32 v10, v12, s13
	v_and_b32_e32 v12, 15, v13
	v_and_or_b32 v13, v28, s12, v25
	v_mul_lo_u32 v25, v29, s13
	v_lshrrev_b16_e32 v11, 4, v11
	v_and_or_b32 v22, v30, s12, v22
	v_mul_lo_u32 v28, v31, s13
	v_mul_lo_u32 v29, v32, s13
	v_and_or_b32 v8, v23, s12, v8
	v_mul_lo_u32 v23, v33, s13
	v_mul_lo_u32 v24, v24, s13
	v_lshlrev_b32_e32 v30, 3, v9
	v_not_b32_e32 v9, v10
	v_and_b32_e32 v10, 0xffff, v12
	v_lshlrev_b32_e32 v31, 3, v13
	v_not_b32_e32 v12, v25
	v_and_b32_e32 v11, 15, v11
	v_lshlrev_b32_e32 v25, 3, v22
	v_not_b32_e32 v13, v28
	v_not_b32_e32 v22, v29
	v_lshlrev_b32_e32 v28, 3, v8
	v_not_b32_e32 v8, v23
	v_not_b32_e32 v23, v24
	v_and_b32_e32 v24, 0x8040201, v9
	v_and_b32_e32 v29, 0x40000, v9
	;; [unrolled: 1-line block ×4, first 2 shown]
	v_mul_lo_u32 v34, v10, s13
	v_and_b32_e32 v35, 0x8040201, v12
	v_and_b32_e32 v36, 0x40000, v12
	;; [unrolled: 1-line block ×21, first 2 shown]
	global_load_dwordx2 v[8:9], v30, s[0:1]
	global_load_dwordx2 v[10:11], v31, s[0:1]
	;; [unrolled: 1-line block ×4, first 2 shown]
	v_cmp_gt_u32_e32 vcc, s14, v24
	v_cndmask_b32_e64 v24, 0, -1, vcc
	v_cmp_eq_u32_e32 vcc, 0, v29
	v_cndmask_b32_e32 v25, 0, v18, vcc
	v_cmp_eq_u32_e32 vcc, 0, v32
	v_cndmask_b32_e32 v28, 0, v19, vcc
	;; [unrolled: 2-line block ×3, first 2 shown]
	v_cmp_gt_u32_e32 vcc, s14, v35
	v_cndmask_b32_e64 v31, 0, -1, vcc
	v_cmp_eq_u32_e32 vcc, 0, v36
	v_cndmask_b32_e32 v32, 0, v18, vcc
	v_cmp_eq_u32_e32 vcc, 0, v37
	v_cndmask_b32_e32 v33, 0, v19, vcc
	v_cmp_eq_u32_e32 vcc, 0, v38
	v_not_b32_e32 v30, v34
	v_cndmask_b32_e32 v34, 0, v20, vcc
	v_cmp_gt_u32_e32 vcc, s14, v40
	v_cndmask_b32_e64 v36, 0, -1, vcc
	v_cmp_eq_u32_e32 vcc, 0, v41
	v_cndmask_b32_e32 v37, 0, v18, vcc
	v_cmp_eq_u32_e32 vcc, 0, v42
	v_cndmask_b32_e32 v38, 0, v19, vcc
	v_cmp_eq_u32_e32 vcc, 0, v43
	v_mul_lo_u32 v35, v39, s13
	v_cndmask_b32_e32 v39, 0, v20, vcc
	v_cmp_gt_u32_e32 vcc, s14, v44
	v_cndmask_b32_e64 v40, 0, -1, vcc
	v_cmp_eq_u32_e32 vcc, 0, v45
	v_cndmask_b32_e32 v41, 0, v18, vcc
	v_cmp_eq_u32_e32 vcc, 0, v46
	v_cndmask_b32_e32 v42, 0, v19, vcc
	v_cmp_eq_u32_e32 vcc, 0, v47
	v_cndmask_b32_e32 v43, 0, v20, vcc
	v_cmp_gt_u32_e32 vcc, s14, v48
	v_cndmask_b32_e64 v44, 0, -1, vcc
	v_cmp_eq_u32_e32 vcc, 0, v49
	v_cndmask_b32_e32 v45, 0, v18, vcc
	v_cmp_eq_u32_e32 vcc, 0, v50
	v_cndmask_b32_e32 v46, 0, v19, vcc
	v_cmp_eq_u32_e32 vcc, 0, v51
	;; [unrolled: 8-line block ×3, first 2 shown]
	v_and_b32_e32 v53, 0x8040201, v30
	v_cndmask_b32_e32 v51, 0, v20, vcc
	v_and_b32_e32 v54, 0x40000, v30
	v_cmp_gt_u32_e32 vcc, s14, v53
	v_and_b32_e32 v55, 0x200, v30
	v_cndmask_b32_e64 v53, 0, -1, vcc
	v_cmp_eq_u32_e32 vcc, 0, v54
	v_and_b32_e32 v30, 1, v30
	v_not_b32_e32 v35, v35
	v_cndmask_b32_e32 v54, 0, v18, vcc
	v_cmp_eq_u32_e32 vcc, 0, v55
	v_cndmask_b32_e32 v55, 0, v19, vcc
	v_cmp_eq_u32_e32 vcc, 0, v30
	v_and_b32_e32 v57, 0x8040201, v35
	v_cndmask_b32_e32 v30, 0, v20, vcc
	v_and_b32_e32 v58, 0x40000, v35
	v_and_b32_e32 v59, 0x200, v35
	;; [unrolled: 1-line block ×3, first 2 shown]
	v_cmp_gt_u32_e64 s[0:1], s14, v57
	v_lshlrev_b32_e32 v53, 24, v53
	v_cmp_eq_u32_e32 vcc, 0, v35
	v_or_b32_e32 v35, v55, v30
	v_cndmask_b32_e64 v57, 0, -1, s[0:1]
	v_cmp_eq_u32_e64 s[0:1], 0, v58
	v_lshlrev_b32_e32 v24, 24, v24
	v_or_b32_e32 v52, v28, v29
	v_cndmask_b32_e64 v58, 0, v18, s[0:1]
	v_cmp_eq_u32_e64 s[0:1], 0, v59
	v_or3_b32 v35, v35, v54, v53
	v_or3_b32 v52, v52, v25, v24
	v_cndmask_b32_e64 v59, 0, v19, s[0:1]
	s_waitcnt vmcnt(3)
	v_xor_b32_e32 v9, v35, v9
	v_cndmask_b32_e32 v35, 0, v20, vcc
	v_lshlrev_b32_e32 v31, 24, v31
	v_or_b32_e32 v56, v33, v34
	v_xor_b32_e32 v8, v52, v8
	v_lshlrev_b32_e32 v52, 24, v57
	v_or_b32_e32 v57, v59, v35
	v_or3_b32 v56, v56, v32, v31
	v_or3_b32 v57, v57, v58, v52
	v_lshlrev_b32_e32 v36, 24, v36
	s_waitcnt vmcnt(2)
	v_xor_b32_e32 v10, v56, v10
	v_xor_b32_e32 v11, v57, v11
	v_or_b32_e32 v56, v38, v39
	v_lshlrev_b32_e32 v40, 24, v40
	v_or_b32_e32 v57, v42, v43
	v_or3_b32 v56, v56, v37, v36
	v_or3_b32 v57, v57, v41, v40
	v_lshlrev_b32_e32 v44, 24, v44
	s_waitcnt vmcnt(1)
	v_xor_b32_e32 v56, v56, v12
	v_xor_b32_e32 v57, v57, v13
	v_or_b32_e32 v12, v46, v47
	v_lshlrev_b32_e32 v48, 24, v48
	v_or_b32_e32 v13, v50, v51
	v_or3_b32 v12, v12, v45, v44
	v_or3_b32 v13, v13, v49, v48
	s_waitcnt vmcnt(0)
	v_xor_b32_e32 v22, v12, v22
	v_xor_b32_e32 v60, v13, v23
	v_mad_i64_i32 v[12:13], s[0:1], v17, 36, v[2:3]
	v_sub_u32_e32 v61, v8, v24
	v_sub_u32_e32 v62, v8, v25
	;; [unrolled: 1-line block ×16, first 2 shown]
	global_load_dwordx4 v[8:11], v[12:13], off
	v_sub_u32_e32 v44, v22, v44
	v_sub_u32_e32 v45, v22, v45
	;; [unrolled: 1-line block ×4, first 2 shown]
	global_load_dwordx4 v[22:25], v[12:13], off offset:16
	v_sub_u32_e32 v36, v56, v36
	v_sub_u32_e32 v37, v56, v37
	v_sub_u32_e32 v38, v56, v38
	v_sub_u32_e32 v39, v56, v39
	global_load_dword v56, v[12:13], off offset:32
	v_sub_u32_e32 v40, v57, v40
	v_sub_u32_e32 v41, v57, v41
	;; [unrolled: 1-line block ×8, first 2 shown]
	v_and_b32_e32 v36, 0xff000000, v36
	v_and_b32_e32 v38, 0xff00, v38
	v_perm_b32 v37, v37, v39, s15
	v_mov_b32_e32 v50, 0
	v_perm_b32 v29, v62, v29, s15
	v_perm_b32 v30, v54, v30, s15
	v_and_b32_e32 v54, 0xff000000, v61
	v_and_b32_e32 v39, 0xff000000, v40
	;; [unrolled: 1-line block ×3, first 2 shown]
	v_perm_b32 v41, v41, v43, s15
	v_and_b32_e32 v42, 0xff000000, v44
	v_perm_b32 v44, v45, v47, s15
	v_and_b32_e32 v12, 0xff000000, v12
	v_and_b32_e32 v45, 0xff00, v48
	v_perm_b32 v13, v13, v49, s15
	v_and_b32_e32 v28, 0xff00, v28
	v_or3_b32 v36, v37, v36, v38
	v_mov_b32_e32 v51, 0
	v_and_b32_e32 v53, 0xff000000, v53
	v_and_b32_e32 v43, 0xff00, v46
	;; [unrolled: 1-line block ×3, first 2 shown]
	v_or3_b32 v37, v41, v39, v40
	v_or3_b32 v12, v13, v12, v45
	;; [unrolled: 1-line block ×3, first 2 shown]
	v_perm_b32 v32, v32, v34, s15
	v_and_b32_e32 v31, 0xff000000, v31
	v_and_b32_e32 v33, 0xff00, v33
	v_or3_b32 v38, v44, v42, v43
	v_or3_b32 v28, v30, v53, v46
	v_and_b32_e32 v52, 0xff000000, v52
	v_perm_b32 v35, v58, v35, s15
	v_and_b32_e32 v47, 0xff00, v59
	v_or3_b32 v29, v32, v31, v33
	v_or3_b32 v30, v35, v52, v47
	v_lshrrev_b16_e32 v34, 4, v27
	v_and_b32_e32 v27, 15, v27
	v_cvt_f32_ubyte0_e32 v34, v34
	v_cvt_f32_ubyte0_e32 v27, v27
	v_add_f32_e32 v34, 0.5, v34
	v_add_f32_e32 v27, 0.5, v27
	v_cmp_le_u32_e32 vcc, s6, v15
	v_add_u32_e32 v17, 64, v17
	s_or_b64 s[4:5], vcc, s[4:5]
	s_waitcnt vmcnt(2)
	v_dot4c_i32_i8_e32 v51, v13, v9
	v_dot4c_i32_i8_e32 v51, v28, v10
	;; [unrolled: 1-line block ×3, first 2 shown]
	v_cvt_f32_f16_e32 v8, v8
	s_waitcnt vmcnt(1)
	v_dot4c_i32_i8_e32 v50, v36, v23
	v_dot4c_i32_i8_e32 v50, v37, v24
	;; [unrolled: 1-line block ×4, first 2 shown]
	v_mul_f32_e32 v8, v26, v8
	s_waitcnt vmcnt(0)
	v_dot4c_i32_i8_e32 v50, v12, v56
	v_mul_f32_e32 v8, 0x3e800000, v8
	v_cvt_f32_i32_e32 v10, v51
	s_nop 0
	v_cvt_f32_i32_e32 v9, v50
	v_mul_f32_e32 v9, v34, v9
	v_fmac_f32_e32 v9, v27, v10
	v_fmac_f32_e32 v14, v8, v9
	s_andn2_b64 exec, exec, s[4:5]
	s_cbranch_execnz .LBB74_3
; %bb.4:
	s_or_b64 exec, exec, s[4:5]
.LBB74_5:
	s_or_b64 exec, exec, s[10:11]
	v_mbcnt_lo_u32_b32 v0, -1, 0
	v_mbcnt_hi_u32_b32 v2, -1, v0
	v_and_b32_e32 v0, 64, v2
	v_add_u32_e32 v3, 64, v0
	v_xor_b32_e32 v0, 32, v2
	v_cmp_lt_i32_e32 vcc, v0, v3
	v_cndmask_b32_e32 v0, v2, v0, vcc
	v_lshlrev_b32_e32 v0, 2, v0
	ds_bpermute_b32 v0, v0, v14
	v_xor_b32_e32 v4, 16, v2
	v_cmp_lt_i32_e32 vcc, v4, v3
	v_cndmask_b32_e32 v4, v2, v4, vcc
	v_lshlrev_b32_e32 v4, 2, v4
	s_waitcnt lgkmcnt(0)
	v_add_f32_e32 v0, v14, v0
	ds_bpermute_b32 v4, v4, v0
	v_xor_b32_e32 v6, 8, v2
	v_cmp_lt_i32_e32 vcc, v6, v3
	s_waitcnt lgkmcnt(0)
	v_add_f32_e32 v0, v0, v4
	v_cndmask_b32_e32 v4, v2, v6, vcc
	v_lshlrev_b32_e32 v4, 2, v4
	ds_bpermute_b32 v4, v4, v0
	v_xor_b32_e32 v6, 4, v2
	v_cmp_lt_i32_e32 vcc, v6, v3
	s_waitcnt lgkmcnt(0)
	v_add_f32_e32 v0, v0, v4
	v_cndmask_b32_e32 v4, v2, v6, vcc
	v_lshlrev_b32_e32 v4, 2, v4
	ds_bpermute_b32 v4, v4, v0
	v_xor_b32_e32 v6, 2, v2
	v_cmp_lt_i32_e32 vcc, v6, v3
	s_waitcnt lgkmcnt(0)
	v_add_f32_e32 v0, v0, v4
	v_cndmask_b32_e32 v4, v2, v6, vcc
	v_lshlrev_b32_e32 v4, 2, v4
	ds_bpermute_b32 v4, v4, v0
	v_xor_b32_e32 v6, 1, v2
	v_cmp_lt_i32_e32 vcc, v6, v3
	v_cndmask_b32_e32 v2, v2, v6, vcc
	v_lshlrev_b32_e32 v2, 2, v2
	s_waitcnt lgkmcnt(0)
	v_add_f32_e32 v0, v0, v4
	ds_bpermute_b32 v2, v2, v0
	v_cmp_eq_u32_e32 vcc, 0, v5
	s_and_b64 exec, exec, vcc
	s_cbranch_execz .LBB74_7
; %bb.6:
	s_mul_i32 s7, s7, s9
	s_waitcnt lgkmcnt(0)
	v_add_f32_e32 v2, v0, v2
	v_add_u32_e32 v0, s7, v1
	v_mov_b32_e32 v1, 0
	v_lshlrev_b64 v[0:1], 2, v[0:1]
	v_mov_b32_e32 v3, s3
	v_add_co_u32_e32 v0, vcc, s2, v0
	v_addc_co_u32_e32 v1, vcc, v3, v1, vcc
	global_store_dword v[0:1], v2, off
.LBB74_7:
	s_endpgm
	.section	.rodata,"a",@progbits
	.p2align	6, 0x0
	.amdhsa_kernel _ZL13mul_mat_vec_qIfLi256ELi8E11block_iq2_sLi1EXadL_ZL18vec_dot_iq2_s_q8_1PKvPK10block_q8_1RKiEEEvS2_S2_PT_iii
		.amdhsa_group_segment_fixed_size 0
		.amdhsa_private_segment_fixed_size 0
		.amdhsa_kernarg_size 296
		.amdhsa_user_sgpr_count 6
		.amdhsa_user_sgpr_private_segment_buffer 1
		.amdhsa_user_sgpr_dispatch_ptr 0
		.amdhsa_user_sgpr_queue_ptr 0
		.amdhsa_user_sgpr_kernarg_segment_ptr 1
		.amdhsa_user_sgpr_dispatch_id 0
		.amdhsa_user_sgpr_flat_scratch_init 0
		.amdhsa_user_sgpr_kernarg_preload_length 0
		.amdhsa_user_sgpr_kernarg_preload_offset 0
		.amdhsa_user_sgpr_private_segment_size 0
		.amdhsa_uses_dynamic_stack 0
		.amdhsa_system_sgpr_private_segment_wavefront_offset 0
		.amdhsa_system_sgpr_workgroup_id_x 1
		.amdhsa_system_sgpr_workgroup_id_y 1
		.amdhsa_system_sgpr_workgroup_id_z 0
		.amdhsa_system_sgpr_workgroup_info 0
		.amdhsa_system_vgpr_workitem_id 1
		.amdhsa_next_free_vgpr 63
		.amdhsa_next_free_sgpr 18
		.amdhsa_accum_offset 64
		.amdhsa_reserve_vcc 1
		.amdhsa_reserve_flat_scratch 0
		.amdhsa_float_round_mode_32 0
		.amdhsa_float_round_mode_16_64 0
		.amdhsa_float_denorm_mode_32 3
		.amdhsa_float_denorm_mode_16_64 3
		.amdhsa_dx10_clamp 1
		.amdhsa_ieee_mode 1
		.amdhsa_fp16_overflow 0
		.amdhsa_tg_split 0
		.amdhsa_exception_fp_ieee_invalid_op 0
		.amdhsa_exception_fp_denorm_src 0
		.amdhsa_exception_fp_ieee_div_zero 0
		.amdhsa_exception_fp_ieee_overflow 0
		.amdhsa_exception_fp_ieee_underflow 0
		.amdhsa_exception_fp_ieee_inexact 0
		.amdhsa_exception_int_div_zero 0
	.end_amdhsa_kernel
	.section	.text._ZL13mul_mat_vec_qIfLi256ELi8E11block_iq2_sLi1EXadL_ZL18vec_dot_iq2_s_q8_1PKvPK10block_q8_1RKiEEEvS2_S2_PT_iii,"axG",@progbits,_ZL13mul_mat_vec_qIfLi256ELi8E11block_iq2_sLi1EXadL_ZL18vec_dot_iq2_s_q8_1PKvPK10block_q8_1RKiEEEvS2_S2_PT_iii,comdat
.Lfunc_end74:
	.size	_ZL13mul_mat_vec_qIfLi256ELi8E11block_iq2_sLi1EXadL_ZL18vec_dot_iq2_s_q8_1PKvPK10block_q8_1RKiEEEvS2_S2_PT_iii, .Lfunc_end74-_ZL13mul_mat_vec_qIfLi256ELi8E11block_iq2_sLi1EXadL_ZL18vec_dot_iq2_s_q8_1PKvPK10block_q8_1RKiEEEvS2_S2_PT_iii
                                        ; -- End function
	.section	.AMDGPU.csdata,"",@progbits
; Kernel info:
; codeLenInByte = 2220
; NumSgprs: 22
; NumVgprs: 63
; NumAgprs: 0
; TotalNumVgprs: 63
; ScratchSize: 0
; MemoryBound: 0
; FloatMode: 240
; IeeeMode: 1
; LDSByteSize: 0 bytes/workgroup (compile time only)
; SGPRBlocks: 2
; VGPRBlocks: 7
; NumSGPRsForWavesPerEU: 22
; NumVGPRsForWavesPerEU: 63
; AccumOffset: 64
; Occupancy: 8
; WaveLimiterHint : 0
; COMPUTE_PGM_RSRC2:SCRATCH_EN: 0
; COMPUTE_PGM_RSRC2:USER_SGPR: 6
; COMPUTE_PGM_RSRC2:TRAP_HANDLER: 0
; COMPUTE_PGM_RSRC2:TGID_X_EN: 1
; COMPUTE_PGM_RSRC2:TGID_Y_EN: 1
; COMPUTE_PGM_RSRC2:TGID_Z_EN: 0
; COMPUTE_PGM_RSRC2:TIDIG_COMP_CNT: 1
; COMPUTE_PGM_RSRC3_GFX90A:ACCUM_OFFSET: 15
; COMPUTE_PGM_RSRC3_GFX90A:TG_SPLIT: 0
	.section	.text._ZL13mul_mat_vec_qIfLi256ELi8E12block_iq4_xsLi1EXadL_ZL19vec_dot_iq4_xs_q8_1PKvPK10block_q8_1RKiEEEvS2_S2_PT_iii,"axG",@progbits,_ZL13mul_mat_vec_qIfLi256ELi8E12block_iq4_xsLi1EXadL_ZL19vec_dot_iq4_xs_q8_1PKvPK10block_q8_1RKiEEEvS2_S2_PT_iii,comdat
	.globl	_ZL13mul_mat_vec_qIfLi256ELi8E12block_iq4_xsLi1EXadL_ZL19vec_dot_iq4_xs_q8_1PKvPK10block_q8_1RKiEEEvS2_S2_PT_iii ; -- Begin function _ZL13mul_mat_vec_qIfLi256ELi8E12block_iq4_xsLi1EXadL_ZL19vec_dot_iq4_xs_q8_1PKvPK10block_q8_1RKiEEEvS2_S2_PT_iii
	.p2align	8
	.type	_ZL13mul_mat_vec_qIfLi256ELi8E12block_iq4_xsLi1EXadL_ZL19vec_dot_iq4_xs_q8_1PKvPK10block_q8_1RKiEEEvS2_S2_PT_iii,@function
_ZL13mul_mat_vec_qIfLi256ELi8E12block_iq4_xsLi1EXadL_ZL19vec_dot_iq4_xs_q8_1PKvPK10block_q8_1RKiEEEvS2_S2_PT_iii: ; @_ZL13mul_mat_vec_qIfLi256ELi8E12block_iq4_xsLi1EXadL_ZL19vec_dot_iq4_xs_q8_1PKvPK10block_q8_1RKiEEEvS2_S2_PT_iii
; %bb.0:
	s_load_dword s8, s[4:5], 0x34
	s_load_dwordx4 s[0:3], s[4:5], 0x18
	v_bfe_u32 v1, v0, 10, 10
	s_waitcnt lgkmcnt(0)
	s_lshr_b32 s3, s8, 16
	s_mul_i32 s6, s6, s3
	v_add_u32_e32 v11, s6, v1
	s_cmp_lt_u32 s7, s2
	v_cmp_gt_u32_e32 vcc, s1, v11
	s_cselect_b64 s[2:3], -1, 0
	s_and_b64 s[2:3], s[2:3], vcc
	s_and_saveexec_b64 s[8:9], s[2:3]
	s_cbranch_execz .LBB75_7
; %bb.1:
	s_load_dwordx2 s[2:3], s[4:5], 0x10
	s_ashr_i32 s6, s0, 31
	s_lshr_b32 s6, s6, 24
	s_add_i32 s6, s0, s6
	v_and_b32_e32 v16, 0x3ff, v0
	s_ashr_i32 s6, s6, 8
	v_lshrrev_b32_e32 v18, 3, v16
	v_cmp_gt_u32_e32 vcc, s6, v18
	v_mov_b32_e32 v17, 0
	s_and_saveexec_b64 s[8:9], vcc
	s_cbranch_execz .LBB75_5
; %bb.2:
	s_load_dwordx4 s[12:15], s[4:5], 0x0
	s_addk_i32 s0, 0x1ff
	s_ashr_i32 s4, s0, 31
	s_lshr_b32 s4, s4, 23
	s_add_i32 s0, s0, s4
	s_ashr_i32 s0, s0, 9
	v_and_b32_e32 v1, 7, v16
	s_mul_i32 s0, s7, s0
	s_waitcnt lgkmcnt(0)
	v_mad_u64_u32 v[8:9], s[4:5], v1, 36, s[14:15]
	v_lshlrev_b32_e32 v0, 2, v1
	v_lshlrev_b32_e32 v2, 2, v16
	;; [unrolled: 1-line block ×4, first 2 shown]
	v_mul_lo_u32 v19, v11, s6
	v_mov_b32_e32 v17, 0
	v_bfe_u32 v10, v16, 1, 2
	v_and_b32_e32 v20, 4, v2
	v_lshl_add_u32 v22, s0, 4, v1
	s_mov_b64 s[4:5], 0
	s_movk_i32 s0, 0x88
	v_pk_mov_b32 v[12:13], s[12:13], s[12:13] op_sel:[0,1]
	v_lshlrev_b32_e32 v23, 2, v0
.LBB75_3:                               ; =>This Inner Loop Header: Depth=1
	v_add_u32_e32 v0, v19, v18
	v_mad_i64_i32 v[28:29], s[12:13], v0, s0, v[12:13]
	v_add_co_u32_e32 v30, vcc, v28, v23
	v_addc_co_u32_e32 v31, vcc, 0, v29, vcc
	v_add_co_u32_e32 v32, vcc, v28, v10
	v_mad_i64_i32 v[14:15], s[10:11], v22, 36, v[8:9]
	v_addc_co_u32_e32 v33, vcc, 0, v29, vcc
	global_load_dwordx4 v[24:27], v[30:31], off offset:8
	global_load_ubyte v34, v[32:33], off offset:4
	global_load_dwordx4 v[4:7], v[14:15], off
	global_load_dwordx4 v[0:3], v[14:15], off offset:16
	global_load_dword v35, v[28:29], off
	s_getpc_b64 s[10:11]
	s_add_u32 s10, s10, _ZL13kvalues_iq4nl@rel32@lo+4
	s_addc_u32 s11, s11, _ZL13kvalues_iq4nl@rel32@hi+12
	v_add_u32_e32 v18, 8, v18
	v_cmp_le_u32_e32 vcc, s6, v18
	v_add_u32_e32 v22, 64, v22
	s_or_b64 s[4:5], vcc, s[4:5]
	s_waitcnt vmcnt(4)
	v_bfe_u32 v28, v24, 24, 4
	v_and_b32_e32 v29, 15, v24
	v_bfe_u32 v30, v24, 8, 4
	v_bfe_u32 v31, v24, 16, 4
	v_bfe_u32 v32, v24, 20, 4
	v_lshrrev_b32_e32 v33, 28, v24
	v_bfe_u32 v36, v24, 4, 4
	v_bfe_u32 v24, v24, 12, 4
	v_bfe_u32 v37, v25, 24, 4
	v_and_b32_e32 v38, 15, v25
	v_bfe_u32 v39, v25, 8, 4
	v_bfe_u32 v40, v25, 16, 4
	v_bfe_u32 v41, v25, 20, 4
	v_lshrrev_b32_e32 v42, 28, v25
	v_bfe_u32 v43, v25, 4, 4
	v_bfe_u32 v25, v25, 12, 4
	;; [unrolled: 8-line block ×4, first 2 shown]
	global_load_ubyte v58, v24, s[10:11]
	global_load_ubyte v59, v30, s[10:11]
	;; [unrolled: 1-line block ×6, first 2 shown]
                                        ; kill: killed $vgpr33
                                        ; kill: killed $vgpr32
                                        ; kill: killed $vgpr24
                                        ; kill: killed $vgpr31
                                        ; kill: killed $vgpr36
                                        ; kill: killed $vgpr30
	global_load_ubyte v24, v29, s[10:11]
	global_load_ubyte v30, v28, s[10:11]
	;; [unrolled: 1-line block ×4, first 2 shown]
	s_nop 0
	global_load_ubyte v33, v40, s[10:11]
	global_load_ubyte v36, v41, s[10:11]
                                        ; kill: killed $vgpr25
                                        ; kill: killed $vgpr41
                                        ; kill: killed $vgpr40
                                        ; kill: killed $vgpr39
                                        ; kill: killed $vgpr29
                                        ; kill: killed $vgpr28
	global_load_ubyte v25, v43, s[10:11]
	global_load_ubyte v28, v42, s[10:11]
	;; [unrolled: 1-line block ×6, first 2 shown]
                                        ; kill: killed $vgpr26
                                        ; kill: killed $vgpr43
                                        ; kill: killed $vgpr37
                                        ; kill: killed $vgpr46
                                        ; kill: killed $vgpr38
                                        ; kill: killed $vgpr42
	s_nop 0
	global_load_ubyte v26, v47, s[10:11]
	global_load_ubyte v37, v48, s[10:11]
	;; [unrolled: 1-line block ×6, first 2 shown]
                                        ; kill: killed $vgpr50
                                        ; kill: killed $vgpr44
                                        ; kill: killed $vgpr48
                                        ; kill: killed $vgpr47
                                        ; kill: killed $vgpr45
                                        ; kill: killed $vgpr49
	s_nop 0
	global_load_ubyte v44, v27, s[10:11]
	global_load_ubyte v45, v53, s[10:11]
	;; [unrolled: 1-line block ×6, first 2 shown]
                                        ; kill: killed $vgpr27
                                        ; kill: killed $vgpr51
                                        ; kill: killed $vgpr55
                                        ; kill: killed $vgpr54
                                        ; kill: killed $vgpr53
                                        ; kill: killed $vgpr56
	global_load_ubyte v27, v52, s[10:11]
	s_nop 0
	global_load_ubyte v51, v57, s[10:11]
	global_load_dword v53, v[14:15], off offset:32
	s_waitcnt vmcnt(33)
	v_cvt_f32_f16_e32 v52, v35
	v_lshrrev_b32_sdwa v35, v21, v35 dst_sel:DWORD dst_unused:UNUSED_PAD src0_sel:DWORD src1_sel:WORD_1
	v_bfe_u32 v34, v34, v20, 4
	v_lshlrev_b32_e32 v35, 4, v35
	v_and_or_b32 v34, v35, 48, v34
	v_mov_b32_e32 v14, 0
	v_mov_b32_e32 v15, 0
	v_subrev_u32_e32 v34, 32, v34
	v_cvt_f32_i32_e32 v34, v34
	v_cvt_f32_f16_e32 v4, v4
	s_waitcnt vmcnt(30)
	v_lshlrev_b32_e32 v35, 16, v60
	s_waitcnt vmcnt(29)
	v_lshlrev_b32_e32 v55, 16, v61
	s_waitcnt vmcnt(28)
	v_lshl_or_b32 v56, v58, 8, v62
	s_waitcnt vmcnt(27)
	v_lshlrev_b32_e32 v54, 24, v63
	s_waitcnt vmcnt(26)
	v_lshl_or_b32 v24, v59, 8, v24
	s_waitcnt vmcnt(25)
	v_lshlrev_b32_e32 v30, 24, v30
	v_or3_b32 v24, v24, v35, v30
	v_or3_b32 v30, v56, v55, v54
	s_waitcnt vmcnt(22)
	v_lshlrev_b32_e32 v33, 16, v33
	v_dot4c_i32_i8_e32 v14, v24, v5
	v_dot4c_i32_i8_e32 v15, v30, v1
	v_mul_f32_e32 v1, v52, v34
	v_mul_f32_e32 v1, v1, v4
	s_waitcnt vmcnt(20)
	v_lshl_or_b32 v25, v31, 8, v25
	s_waitcnt vmcnt(19)
	v_lshlrev_b32_e32 v28, 24, v28
	s_waitcnt vmcnt(18)
	v_lshl_or_b32 v29, v32, 8, v29
	s_waitcnt vmcnt(17)
	v_lshlrev_b32_e32 v39, 24, v39
	v_lshlrev_b32_e32 v32, 16, v36
	v_or3_b32 v29, v29, v33, v39
	v_or3_b32 v25, v25, v32, v28
	v_dot4c_i32_i8_e32 v14, v29, v6
	v_dot4c_i32_i8_e32 v15, v25, v2
	s_waitcnt vmcnt(14)
	v_lshlrev_b32_e32 v26, 16, v26
	s_waitcnt vmcnt(13)
	v_lshlrev_b32_e32 v37, 16, v37
	s_waitcnt vmcnt(12)
	v_lshl_or_b32 v38, v40, 8, v38
	s_waitcnt vmcnt(10)
	v_lshl_or_b32 v36, v41, 8, v43
	s_waitcnt vmcnt(9)
	v_lshlrev_b32_e32 v31, 24, v46
	v_lshlrev_b32_e32 v41, 24, v42
	v_or3_b32 v26, v36, v26, v31
	v_or3_b32 v28, v38, v37, v41
	v_dot4c_i32_i8_e32 v14, v26, v7
	v_dot4c_i32_i8_e32 v15, v28, v3
	s_waitcnt vmcnt(6)
	v_lshlrev_b32_e32 v42, 16, v47
	s_waitcnt vmcnt(4)
	v_lshlrev_b32_e32 v43, 24, v49
	;; [unrolled: 2-line block ×3, first 2 shown]
	s_waitcnt vmcnt(2)
	v_lshl_or_b32 v27, v45, 8, v27
	v_lshlrev_b32_e32 v45, 16, v48
	s_waitcnt vmcnt(1)
	v_lshl_or_b32 v44, v44, 8, v51
	v_or3_b32 v27, v27, v42, v40
	v_or3_b32 v31, v44, v45, v43
	v_dot4c_i32_i8_e32 v14, v27, v0
	s_waitcnt vmcnt(0)
	v_dot4c_i32_i8_e32 v15, v31, v53
	s_nop 2
	v_add_u32_e32 v0, v15, v14
	v_cvt_f32_i32_e32 v0, v0
	v_fmac_f32_e32 v17, v1, v0
	s_andn2_b64 exec, exec, s[4:5]
	s_cbranch_execnz .LBB75_3
; %bb.4:
	s_or_b64 exec, exec, s[4:5]
.LBB75_5:
	s_or_b64 exec, exec, s[8:9]
	v_mbcnt_lo_u32_b32 v0, -1, 0
	v_mbcnt_hi_u32_b32 v1, -1, v0
	v_and_b32_e32 v0, 64, v1
	v_add_u32_e32 v2, 64, v0
	v_xor_b32_e32 v0, 32, v1
	v_cmp_lt_i32_e32 vcc, v0, v2
	v_cndmask_b32_e32 v0, v1, v0, vcc
	v_lshlrev_b32_e32 v0, 2, v0
	ds_bpermute_b32 v0, v0, v17
	v_xor_b32_e32 v3, 16, v1
	v_cmp_lt_i32_e32 vcc, v3, v2
	v_cndmask_b32_e32 v3, v1, v3, vcc
	v_lshlrev_b32_e32 v3, 2, v3
	s_waitcnt lgkmcnt(0)
	v_add_f32_e32 v0, v17, v0
	ds_bpermute_b32 v3, v3, v0
	v_xor_b32_e32 v4, 8, v1
	v_cmp_lt_i32_e32 vcc, v4, v2
	s_waitcnt lgkmcnt(0)
	v_add_f32_e32 v0, v0, v3
	v_cndmask_b32_e32 v3, v1, v4, vcc
	v_lshlrev_b32_e32 v3, 2, v3
	ds_bpermute_b32 v3, v3, v0
	v_xor_b32_e32 v4, 4, v1
	v_cmp_lt_i32_e32 vcc, v4, v2
	s_waitcnt lgkmcnt(0)
	v_add_f32_e32 v0, v0, v3
	v_cndmask_b32_e32 v3, v1, v4, vcc
	v_lshlrev_b32_e32 v3, 2, v3
	;; [unrolled: 7-line block ×3, first 2 shown]
	ds_bpermute_b32 v3, v3, v0
	v_xor_b32_e32 v4, 1, v1
	v_cmp_lt_i32_e32 vcc, v4, v2
	v_cndmask_b32_e32 v1, v1, v4, vcc
	v_lshlrev_b32_e32 v1, 2, v1
	s_waitcnt lgkmcnt(0)
	v_add_f32_e32 v0, v0, v3
	ds_bpermute_b32 v1, v1, v0
	v_cmp_eq_u32_e32 vcc, 0, v16
	s_and_b64 exec, exec, vcc
	s_cbranch_execz .LBB75_7
; %bb.6:
	s_mul_i32 s7, s7, s1
	s_waitcnt lgkmcnt(0)
	v_add_f32_e32 v2, v0, v1
	v_add_u32_e32 v0, s7, v11
	v_mov_b32_e32 v1, 0
	v_lshlrev_b64 v[0:1], 2, v[0:1]
	v_mov_b32_e32 v3, s3
	v_add_co_u32_e32 v0, vcc, s2, v0
	v_addc_co_u32_e32 v1, vcc, v3, v1, vcc
	global_store_dword v[0:1], v2, off
.LBB75_7:
	s_endpgm
	.section	.rodata,"a",@progbits
	.p2align	6, 0x0
	.amdhsa_kernel _ZL13mul_mat_vec_qIfLi256ELi8E12block_iq4_xsLi1EXadL_ZL19vec_dot_iq4_xs_q8_1PKvPK10block_q8_1RKiEEEvS2_S2_PT_iii
		.amdhsa_group_segment_fixed_size 0
		.amdhsa_private_segment_fixed_size 0
		.amdhsa_kernarg_size 296
		.amdhsa_user_sgpr_count 6
		.amdhsa_user_sgpr_private_segment_buffer 1
		.amdhsa_user_sgpr_dispatch_ptr 0
		.amdhsa_user_sgpr_queue_ptr 0
		.amdhsa_user_sgpr_kernarg_segment_ptr 1
		.amdhsa_user_sgpr_dispatch_id 0
		.amdhsa_user_sgpr_flat_scratch_init 0
		.amdhsa_user_sgpr_kernarg_preload_length 0
		.amdhsa_user_sgpr_kernarg_preload_offset 0
		.amdhsa_user_sgpr_private_segment_size 0
		.amdhsa_uses_dynamic_stack 0
		.amdhsa_system_sgpr_private_segment_wavefront_offset 0
		.amdhsa_system_sgpr_workgroup_id_x 1
		.amdhsa_system_sgpr_workgroup_id_y 1
		.amdhsa_system_sgpr_workgroup_id_z 0
		.amdhsa_system_sgpr_workgroup_info 0
		.amdhsa_system_vgpr_workitem_id 1
		.amdhsa_next_free_vgpr 64
		.amdhsa_next_free_sgpr 16
		.amdhsa_accum_offset 64
		.amdhsa_reserve_vcc 1
		.amdhsa_reserve_flat_scratch 0
		.amdhsa_float_round_mode_32 0
		.amdhsa_float_round_mode_16_64 0
		.amdhsa_float_denorm_mode_32 3
		.amdhsa_float_denorm_mode_16_64 3
		.amdhsa_dx10_clamp 1
		.amdhsa_ieee_mode 1
		.amdhsa_fp16_overflow 0
		.amdhsa_tg_split 0
		.amdhsa_exception_fp_ieee_invalid_op 0
		.amdhsa_exception_fp_denorm_src 0
		.amdhsa_exception_fp_ieee_div_zero 0
		.amdhsa_exception_fp_ieee_overflow 0
		.amdhsa_exception_fp_ieee_underflow 0
		.amdhsa_exception_fp_ieee_inexact 0
		.amdhsa_exception_int_div_zero 0
	.end_amdhsa_kernel
	.section	.text._ZL13mul_mat_vec_qIfLi256ELi8E12block_iq4_xsLi1EXadL_ZL19vec_dot_iq4_xs_q8_1PKvPK10block_q8_1RKiEEEvS2_S2_PT_iii,"axG",@progbits,_ZL13mul_mat_vec_qIfLi256ELi8E12block_iq4_xsLi1EXadL_ZL19vec_dot_iq4_xs_q8_1PKvPK10block_q8_1RKiEEEvS2_S2_PT_iii,comdat
.Lfunc_end75:
	.size	_ZL13mul_mat_vec_qIfLi256ELi8E12block_iq4_xsLi1EXadL_ZL19vec_dot_iq4_xs_q8_1PKvPK10block_q8_1RKiEEEvS2_S2_PT_iii, .Lfunc_end75-_ZL13mul_mat_vec_qIfLi256ELi8E12block_iq4_xsLi1EXadL_ZL19vec_dot_iq4_xs_q8_1PKvPK10block_q8_1RKiEEEvS2_S2_PT_iii
                                        ; -- End function
	.section	.AMDGPU.csdata,"",@progbits
; Kernel info:
; codeLenInByte = 1532
; NumSgprs: 20
; NumVgprs: 64
; NumAgprs: 0
; TotalNumVgprs: 64
; ScratchSize: 0
; MemoryBound: 0
; FloatMode: 240
; IeeeMode: 1
; LDSByteSize: 0 bytes/workgroup (compile time only)
; SGPRBlocks: 2
; VGPRBlocks: 7
; NumSGPRsForWavesPerEU: 20
; NumVGPRsForWavesPerEU: 64
; AccumOffset: 64
; Occupancy: 8
; WaveLimiterHint : 0
; COMPUTE_PGM_RSRC2:SCRATCH_EN: 0
; COMPUTE_PGM_RSRC2:USER_SGPR: 6
; COMPUTE_PGM_RSRC2:TRAP_HANDLER: 0
; COMPUTE_PGM_RSRC2:TGID_X_EN: 1
; COMPUTE_PGM_RSRC2:TGID_Y_EN: 1
; COMPUTE_PGM_RSRC2:TGID_Z_EN: 0
; COMPUTE_PGM_RSRC2:TIDIG_COMP_CNT: 1
; COMPUTE_PGM_RSRC3_GFX90A:ACCUM_OFFSET: 15
; COMPUTE_PGM_RSRC3_GFX90A:TG_SPLIT: 0
	.section	.text._ZL13mul_mat_vec_qIfLi256ELi8E11block_iq1_mLi1EXadL_ZL18vec_dot_iq1_m_q8_1PKvPK10block_q8_1RKiEEEvS2_S2_PT_iii,"axG",@progbits,_ZL13mul_mat_vec_qIfLi256ELi8E11block_iq1_mLi1EXadL_ZL18vec_dot_iq1_m_q8_1PKvPK10block_q8_1RKiEEEvS2_S2_PT_iii,comdat
	.globl	_ZL13mul_mat_vec_qIfLi256ELi8E11block_iq1_mLi1EXadL_ZL18vec_dot_iq1_m_q8_1PKvPK10block_q8_1RKiEEEvS2_S2_PT_iii ; -- Begin function _ZL13mul_mat_vec_qIfLi256ELi8E11block_iq1_mLi1EXadL_ZL18vec_dot_iq1_m_q8_1PKvPK10block_q8_1RKiEEEvS2_S2_PT_iii
	.p2align	8
	.type	_ZL13mul_mat_vec_qIfLi256ELi8E11block_iq1_mLi1EXadL_ZL18vec_dot_iq1_m_q8_1PKvPK10block_q8_1RKiEEEvS2_S2_PT_iii,@function
_ZL13mul_mat_vec_qIfLi256ELi8E11block_iq1_mLi1EXadL_ZL18vec_dot_iq1_m_q8_1PKvPK10block_q8_1RKiEEEvS2_S2_PT_iii: ; @_ZL13mul_mat_vec_qIfLi256ELi8E11block_iq1_mLi1EXadL_ZL18vec_dot_iq1_m_q8_1PKvPK10block_q8_1RKiEEEvS2_S2_PT_iii
; %bb.0:
	s_load_dword s8, s[4:5], 0x34
	s_load_dwordx4 s[0:3], s[4:5], 0x18
	v_bfe_u32 v1, v0, 10, 10
	s_waitcnt lgkmcnt(0)
	s_lshr_b32 s3, s8, 16
	s_mul_i32 s6, s6, s3
	v_add_u32_e32 v9, s6, v1
	s_cmp_lt_u32 s7, s2
	v_cmp_gt_u32_e32 vcc, s1, v9
	s_cselect_b64 s[2:3], -1, 0
	s_and_b64 s[2:3], s[2:3], vcc
	s_and_saveexec_b64 s[8:9], s[2:3]
	s_cbranch_execz .LBB76_7
; %bb.1:
	s_load_dwordx2 s[2:3], s[4:5], 0x10
	s_ashr_i32 s6, s0, 31
	s_lshr_b32 s6, s6, 24
	s_add_i32 s6, s0, s6
	v_and_b32_e32 v11, 0x3ff, v0
	s_ashr_i32 s6, s6, 8
	v_lshrrev_b32_e32 v15, 3, v11
	v_cmp_gt_u32_e32 vcc, s6, v15
	v_mov_b32_e32 v14, 0
	s_and_saveexec_b64 s[12:13], vcc
	s_cbranch_execz .LBB76_5
; %bb.2:
	s_addk_i32 s0, 0x1ff
	s_load_dwordx4 s[8:11], s[4:5], 0x0
	s_ashr_i32 s4, s0, 31
	s_lshr_b32 s4, s4, 23
	s_add_i32 s0, s0, s4
	s_ashr_i32 s0, s0, 9
	v_and_b32_e32 v1, 1, v11
	s_mul_i32 s0, s7, s0
	v_and_b32_e32 v8, 7, v11
	v_bfe_u32 v0, v11, 1, 2
	v_cmp_eq_u32_e32 vcc, 1, v1
	v_lshlrev_b32_e32 v1, 3, v15
	s_mov_b32 s18, 0xbf600000
	v_mul_lo_u32 v16, v9, s6
	v_mov_b32_e32 v14, 0
	v_lshlrev_b32_e32 v10, 1, v8
	v_cndmask_b32_e64 v17, 0, 6, vcc
	v_lshl_add_u32 v18, s0, 4, v1
	s_mov_b64 s[4:5], 0
	v_lshlrev_b32_e32 v19, 2, v8
	s_mov_b32 s14, 0x40008
	s_movk_i32 s15, 0xf000
	v_lshlrev_b32_e32 v20, 1, v0
	s_movk_i32 s16, 0x700
	s_mov_b32 s0, 0x3d000000
	v_pk_mov_b32 v[12:13], s[18:19], s[18:19] op_sel:[0,1]
	v_mov_b32_e32 v21, 8
.LBB76_3:                               ; =>This Inner Loop Header: Depth=1
	v_add_u32_e32 v0, v16, v15
	s_waitcnt lgkmcnt(0)
	v_mad_i64_i32 v[22:23], s[18:19], v0, 56, s[8:9]
	v_add_co_u32_e32 v0, vcc, v22, v19
	v_addc_co_u32_e32 v1, vcc, 0, v23, vcc
	v_add_co_u32_e32 v2, vcc, v22, v10
	v_addc_co_u32_e32 v3, vcc, 0, v23, vcc
	global_load_dword v26, v[0:1], off
	global_load_ushort v27, v[2:3], off offset:32
	v_mad_i64_i32 v[0:1], s[18:19], v18, 36, s[10:11]
	v_mad_u64_u32 v[24:25], s[20:21], v8, 36, v[0:1]
	global_load_dword v32, v[24:25], off offset:32
	global_load_dwordx4 v[4:7], v[24:25], off
	global_load_dwordx4 v[0:3], v[24:25], off offset:16
	s_getpc_b64 s[18:19]
	s_add_u32 s18, s18, _ZL13iq1s_grid_gpu@rel32@lo+4
	s_addc_u32 s19, s19, _ZL13iq1s_grid_gpu@rel32@hi+12
	v_add_co_u32_e32 v24, vcc, v22, v20
	v_addc_co_u32_e32 v25, vcc, 0, v23, vcc
	global_load_dwordx2 v[22:23], v[22:23], off offset:48
	v_mov_b32_e32 v39, 0
	v_mov_b32_e32 v40, 0
	v_add_u32_e32 v15, 8, v15
	v_cmp_le_u32_e32 vcc, s6, v15
	v_add_u32_e32 v18, 64, v18
	s_or_b64 s[4:5], vcc, s[4:5]
	s_waitcnt vmcnt(5)
	v_and_b32_e32 v28, 0xff, v26
	s_waitcnt vmcnt(4)
	v_lshlrev_b32_e32 v31, 8, v27
	v_lshrrev_b16_e32 v34, 4, v27
	v_and_or_b32 v28, v31, s16, v28
	v_and_b32_e32 v31, 15, v34
	v_bfe_u32 v29, v26, 8, 8
	v_lshrrev_b16_e32 v33, 12, v27
	v_lshlrev_b32_e32 v31, 8, v31
	v_bfe_u32 v30, v26, 16, 8
	v_lshlrev_b32_sdwa v35, v21, v27 dst_sel:DWORD dst_unused:UNUSED_PAD src0_sel:DWORD src1_sel:BYTE_1
	v_alignbit_b32 v26, v33, v26, 24
	v_lshlrev_b32_e32 v28, 3, v28
	v_and_or_b32 v29, v31, s16, v29
	v_and_or_b32 v30, v35, s16, v30
	v_and_b32_e32 v26, 0x7ff, v26
	global_load_dword v35, v28, s[18:19]
	v_lshlrev_b32_e32 v28, 3, v29
	v_lshlrev_b32_e32 v30, 3, v30
	;; [unrolled: 1-line block ×3, first 2 shown]
	global_load_dword v36, v28, s[18:19]
	global_load_dword v37, v30, s[18:19]
	;; [unrolled: 1-line block ×3, first 2 shown]
	global_load_ushort v29, v[24:25], off offset:48
	v_mov_b32_e32 v24, 0
	v_mov_b32_e32 v25, 0
	s_waitcnt vmcnt(7)
	v_dot4c_i32_i8_e32 v24, 0x1010101, v5
	s_waitcnt vmcnt(6)
	v_dot4c_i32_i8_e32 v25, 0x1010101, v1
	v_dot4c_i32_i8_e32 v24, 0x1010101, v6
	;; [unrolled: 1-line block ×3, first 2 shown]
	s_waitcnt vmcnt(5)
	v_alignbit_b32 v30, v23, v22, 16
	v_lshrrev_b16_e32 v31, 12, v22
	v_cvt_f32_i32_e32 v24, v24
	v_cvt_f32_i32_e32 v25, v25
	v_and_b32_sdwa v41, v23, s15 dst_sel:DWORD dst_unused:UNUSED_PAD src0_sel:WORD_1 src1_sel:DWORD
	v_and_b32_sdwa v23, v27, v21 dst_sel:DWORD dst_unused:UNUSED_PAD src0_sel:BYTE_1 src1_sel:DWORD
	v_and_b32_e32 v27, 8, v27
	v_cvt_f32_ubyte0_e32 v23, v23
	v_mov_b32_e32 v28, 0
	v_dot4c_i32_i8_e32 v28, 0x1010101, v3
	v_dot4c_i32_i8_e32 v28, 0x1010101, v32
	v_and_b32_e32 v34, 8, v34
	v_and_b32_e32 v33, 8, v33
	v_mov_b32_e32 v26, 0
	v_dot4c_i32_i8_e32 v26, 0x1010101, v7
	v_dot4c_i32_i8_e32 v26, 0x1010101, v0
	v_cvt_f32_f16_e32 v4, v4
	s_waitcnt vmcnt(0)
	v_lshrrev_b32_e32 v22, v17, v29
	v_pk_lshrrev_b16 v29, s14, v30
	v_lshlrev_b32_e32 v30, 1, v22
	v_lshrrev_b32_e32 v42, 2, v22
	v_cvt_f32_ubyte0_e32 v22, v27
	v_pk_fma_f32 v[22:23], v[22:23], s[0:1], v[12:13] op_sel_hi:[1,0,0] neg_lo:[1,0,0] neg_hi:[1,0,0]
	v_pk_fma_f32 v[22:23], v[22:23], v[24:25], 0 op_sel_hi:[1,1,0]
	v_and_b32_e32 v24, 0xf0f0f0f, v35
	v_lshrrev_b32_e32 v25, 4, v35
	v_and_b32_e32 v25, 0xf0f0f0f, v25
	v_dot4c_i32_i8_e32 v39, v24, v5
	v_and_b32_e32 v43, 0xf0000f0, v29
	v_dot4c_i32_i8_e32 v39, v25, v6
	v_and_b32_e32 v5, 0xf0f0f0f, v36
	v_and_b32_e32 v24, 0xf0f0f0f, v37
	v_lshrrev_b32_e32 v25, 4, v37
	v_cvt_f32_i32_e32 v27, v28
	v_cvt_f32_ubyte0_e32 v29, v33
	v_cvt_f32_ubyte0_e32 v28, v34
	v_and_or_b32 v33, v42, 14, 1
	v_or_b32_e32 v34, v43, v31
	v_dot4c_i32_i8_e32 v39, v5, v7
	v_and_b32_e32 v5, 0xf0f0f0f, v25
	v_dot4c_i32_i8_e32 v40, v24, v1
	v_cvt_f32_ubyte0_e32 v31, v33
	v_or_b32_sdwa v33, v34, v43 dst_sel:DWORD dst_unused:UNUSED_PAD src0_sel:DWORD src1_sel:WORD_1
	v_lshrrev_b32_e32 v6, 4, v36
	v_and_b32_e32 v34, 0xf0f0f0f, v38
	v_lshrrev_b32_e32 v35, 4, v38
	v_dot4c_i32_i8_e32 v40, v5, v2
	v_and_b32_e32 v6, 0xf0f0f0f, v6
	v_and_b32_e32 v1, 0xf0f0f0f, v35
	v_dot4c_i32_i8_e32 v40, v34, v3
	v_cvt_f32_i32_e32 v26, v26
	v_dot4c_i32_i8_e32 v39, v6, v0
	v_dot4c_i32_i8_e32 v40, v1, v32
	v_or_b32_e32 v33, v33, v41
	v_pk_fma_f32 v[28:29], v[28:29], s[0:1], v[12:13] op_sel_hi:[1,0,0] neg_lo:[1,0,0] neg_hi:[1,0,0]
	v_cvt_f32_i32_e32 v0, v39
	v_cvt_f32_i32_e32 v1, v40
	v_cvt_f32_f16_e32 v5, v33
	v_and_or_b32 v30, v30, 14, 1
	v_pk_fma_f32 v[2:3], v[28:29], v[26:27], v[22:23]
	v_cvt_f32_ubyte0_e32 v30, v30
	v_pk_add_f32 v[0:1], v[2:3], v[0:1]
	v_pk_mul_f32 v[0:1], v[0:1], v[30:31]
	v_mul_f32_e32 v4, v5, v4
	v_add_f32_e32 v0, v0, v1
	v_fmac_f32_e32 v14, v4, v0
	s_andn2_b64 exec, exec, s[4:5]
	s_cbranch_execnz .LBB76_3
; %bb.4:
	s_or_b64 exec, exec, s[4:5]
.LBB76_5:
	s_or_b64 exec, exec, s[12:13]
	v_mbcnt_lo_u32_b32 v0, -1, 0
	v_mbcnt_hi_u32_b32 v1, -1, v0
	v_and_b32_e32 v0, 64, v1
	v_add_u32_e32 v2, 64, v0
	v_xor_b32_e32 v0, 32, v1
	v_cmp_lt_i32_e32 vcc, v0, v2
	v_cndmask_b32_e32 v0, v1, v0, vcc
	v_lshlrev_b32_e32 v0, 2, v0
	ds_bpermute_b32 v0, v0, v14
	v_xor_b32_e32 v3, 16, v1
	v_cmp_lt_i32_e32 vcc, v3, v2
	v_cndmask_b32_e32 v3, v1, v3, vcc
	v_lshlrev_b32_e32 v3, 2, v3
	s_waitcnt lgkmcnt(0)
	v_add_f32_e32 v0, v14, v0
	ds_bpermute_b32 v3, v3, v0
	v_xor_b32_e32 v4, 8, v1
	v_cmp_lt_i32_e32 vcc, v4, v2
	s_waitcnt lgkmcnt(0)
	v_add_f32_e32 v0, v0, v3
	v_cndmask_b32_e32 v3, v1, v4, vcc
	v_lshlrev_b32_e32 v3, 2, v3
	ds_bpermute_b32 v3, v3, v0
	v_xor_b32_e32 v4, 4, v1
	v_cmp_lt_i32_e32 vcc, v4, v2
	s_waitcnt lgkmcnt(0)
	v_add_f32_e32 v0, v0, v3
	v_cndmask_b32_e32 v3, v1, v4, vcc
	v_lshlrev_b32_e32 v3, 2, v3
	ds_bpermute_b32 v3, v3, v0
	v_xor_b32_e32 v4, 2, v1
	v_cmp_lt_i32_e32 vcc, v4, v2
	s_waitcnt lgkmcnt(0)
	v_add_f32_e32 v0, v0, v3
	v_cndmask_b32_e32 v3, v1, v4, vcc
	v_lshlrev_b32_e32 v3, 2, v3
	ds_bpermute_b32 v3, v3, v0
	v_xor_b32_e32 v4, 1, v1
	v_cmp_lt_i32_e32 vcc, v4, v2
	v_cndmask_b32_e32 v1, v1, v4, vcc
	v_lshlrev_b32_e32 v1, 2, v1
	s_waitcnt lgkmcnt(0)
	v_add_f32_e32 v0, v0, v3
	ds_bpermute_b32 v1, v1, v0
	v_cmp_eq_u32_e32 vcc, 0, v11
	s_and_b64 exec, exec, vcc
	s_cbranch_execz .LBB76_7
; %bb.6:
	s_mul_i32 s7, s7, s1
	s_waitcnt lgkmcnt(0)
	v_add_f32_e32 v2, v0, v1
	v_add_u32_e32 v0, s7, v9
	v_mov_b32_e32 v1, 0
	v_lshlrev_b64 v[0:1], 2, v[0:1]
	v_mov_b32_e32 v3, s3
	v_add_co_u32_e32 v0, vcc, s2, v0
	v_addc_co_u32_e32 v1, vcc, v3, v1, vcc
	global_store_dword v[0:1], v2, off
.LBB76_7:
	s_endpgm
	.section	.rodata,"a",@progbits
	.p2align	6, 0x0
	.amdhsa_kernel _ZL13mul_mat_vec_qIfLi256ELi8E11block_iq1_mLi1EXadL_ZL18vec_dot_iq1_m_q8_1PKvPK10block_q8_1RKiEEEvS2_S2_PT_iii
		.amdhsa_group_segment_fixed_size 0
		.amdhsa_private_segment_fixed_size 0
		.amdhsa_kernarg_size 296
		.amdhsa_user_sgpr_count 6
		.amdhsa_user_sgpr_private_segment_buffer 1
		.amdhsa_user_sgpr_dispatch_ptr 0
		.amdhsa_user_sgpr_queue_ptr 0
		.amdhsa_user_sgpr_kernarg_segment_ptr 1
		.amdhsa_user_sgpr_dispatch_id 0
		.amdhsa_user_sgpr_flat_scratch_init 0
		.amdhsa_user_sgpr_kernarg_preload_length 0
		.amdhsa_user_sgpr_kernarg_preload_offset 0
		.amdhsa_user_sgpr_private_segment_size 0
		.amdhsa_uses_dynamic_stack 0
		.amdhsa_system_sgpr_private_segment_wavefront_offset 0
		.amdhsa_system_sgpr_workgroup_id_x 1
		.amdhsa_system_sgpr_workgroup_id_y 1
		.amdhsa_system_sgpr_workgroup_id_z 0
		.amdhsa_system_sgpr_workgroup_info 0
		.amdhsa_system_vgpr_workitem_id 1
		.amdhsa_next_free_vgpr 44
		.amdhsa_next_free_sgpr 22
		.amdhsa_accum_offset 44
		.amdhsa_reserve_vcc 1
		.amdhsa_reserve_flat_scratch 0
		.amdhsa_float_round_mode_32 0
		.amdhsa_float_round_mode_16_64 0
		.amdhsa_float_denorm_mode_32 3
		.amdhsa_float_denorm_mode_16_64 3
		.amdhsa_dx10_clamp 1
		.amdhsa_ieee_mode 1
		.amdhsa_fp16_overflow 0
		.amdhsa_tg_split 0
		.amdhsa_exception_fp_ieee_invalid_op 0
		.amdhsa_exception_fp_denorm_src 0
		.amdhsa_exception_fp_ieee_div_zero 0
		.amdhsa_exception_fp_ieee_overflow 0
		.amdhsa_exception_fp_ieee_underflow 0
		.amdhsa_exception_fp_ieee_inexact 0
		.amdhsa_exception_int_div_zero 0
	.end_amdhsa_kernel
	.section	.text._ZL13mul_mat_vec_qIfLi256ELi8E11block_iq1_mLi1EXadL_ZL18vec_dot_iq1_m_q8_1PKvPK10block_q8_1RKiEEEvS2_S2_PT_iii,"axG",@progbits,_ZL13mul_mat_vec_qIfLi256ELi8E11block_iq1_mLi1EXadL_ZL18vec_dot_iq1_m_q8_1PKvPK10block_q8_1RKiEEEvS2_S2_PT_iii,comdat
.Lfunc_end76:
	.size	_ZL13mul_mat_vec_qIfLi256ELi8E11block_iq1_mLi1EXadL_ZL18vec_dot_iq1_m_q8_1PKvPK10block_q8_1RKiEEEvS2_S2_PT_iii, .Lfunc_end76-_ZL13mul_mat_vec_qIfLi256ELi8E11block_iq1_mLi1EXadL_ZL18vec_dot_iq1_m_q8_1PKvPK10block_q8_1RKiEEEvS2_S2_PT_iii
                                        ; -- End function
	.section	.AMDGPU.csdata,"",@progbits
; Kernel info:
; codeLenInByte = 1276
; NumSgprs: 26
; NumVgprs: 44
; NumAgprs: 0
; TotalNumVgprs: 44
; ScratchSize: 0
; MemoryBound: 0
; FloatMode: 240
; IeeeMode: 1
; LDSByteSize: 0 bytes/workgroup (compile time only)
; SGPRBlocks: 3
; VGPRBlocks: 5
; NumSGPRsForWavesPerEU: 26
; NumVGPRsForWavesPerEU: 44
; AccumOffset: 44
; Occupancy: 8
; WaveLimiterHint : 0
; COMPUTE_PGM_RSRC2:SCRATCH_EN: 0
; COMPUTE_PGM_RSRC2:USER_SGPR: 6
; COMPUTE_PGM_RSRC2:TRAP_HANDLER: 0
; COMPUTE_PGM_RSRC2:TGID_X_EN: 1
; COMPUTE_PGM_RSRC2:TGID_Y_EN: 1
; COMPUTE_PGM_RSRC2:TGID_Z_EN: 0
; COMPUTE_PGM_RSRC2:TIDIG_COMP_CNT: 1
; COMPUTE_PGM_RSRC3_GFX90A:ACCUM_OFFSET: 10
; COMPUTE_PGM_RSRC3_GFX90A:TG_SPLIT: 0
	.section	.text._ZL13quantize_q8_1IN3c104HalfEEvPKT_Pvii,"axG",@progbits,_ZL13quantize_q8_1IN3c104HalfEEvPKT_Pvii,comdat
	.globl	_ZL13quantize_q8_1IN3c104HalfEEvPKT_Pvii ; -- Begin function _ZL13quantize_q8_1IN3c104HalfEEvPKT_Pvii
	.p2align	8
	.type	_ZL13quantize_q8_1IN3c104HalfEEvPKT_Pvii,@function
_ZL13quantize_q8_1IN3c104HalfEEvPKT_Pvii: ; @_ZL13quantize_q8_1IN3c104HalfEEvPKT_Pvii
; %bb.0:
	s_load_dword s2, s[4:5], 0x24
	s_load_dwordx2 s[0:1], s[4:5], 0x10
	s_add_u32 s8, s4, 24
	s_addc_u32 s9, s5, 0
	v_and_b32_e32 v1, 0x3ff, v0
	s_waitcnt lgkmcnt(0)
	s_and_b32 s2, s2, 0xffff
	s_mul_i32 s6, s6, s2
	v_add_u32_e32 v2, s6, v1
	v_cmp_gt_u32_e32 vcc, s1, v2
	s_and_saveexec_b64 s[2:3], vcc
	s_cbranch_execz .LBB77_7
; %bb.1:
	s_load_dword s6, s[8:9], 0xc
	s_load_dwordx2 s[2:3], s[4:5], 0x8
	v_bfe_u32 v0, v0, 10, 10
	v_cmp_gt_u32_e32 vcc, s0, v2
	v_mov_b32_e32 v3, 0
	s_waitcnt lgkmcnt(0)
	s_lshr_b32 s6, s6, 16
	s_mul_i32 s7, s7, s6
	v_add_u32_e32 v0, s7, v0
	v_mov_b32_e32 v1, 0
	s_and_saveexec_b64 s[6:7], vcc
	s_cbranch_execz .LBB77_3
; %bb.2:
	s_load_dwordx2 s[4:5], s[4:5], 0x0
	v_mad_u64_u32 v[4:5], s[8:9], v0, s0, v[2:3]
	v_mov_b32_e32 v5, 0
	v_lshlrev_b64 v[4:5], 1, v[4:5]
	s_waitcnt lgkmcnt(0)
	v_mov_b32_e32 v1, s5
	v_add_co_u32_e32 v4, vcc, s4, v4
	v_addc_co_u32_e32 v5, vcc, v1, v5, vcc
	global_load_ushort v1, v[4:5], off
	s_waitcnt vmcnt(0)
	v_cvt_f32_f16_e32 v1, v1
.LBB77_3:
	s_or_b64 exec, exec, s[6:7]
	v_mbcnt_lo_u32_b32 v5, -1, 0
	v_mbcnt_hi_u32_b32 v5, -1, v5
	v_and_b32_e32 v6, 0x60, v5
	v_add_u32_e32 v6, 32, v6
	v_xor_b32_e32 v7, 16, v5
	v_cmp_lt_i32_e32 vcc, v7, v6
	v_cndmask_b32_e32 v7, v5, v7, vcc
	v_and_b32_e32 v4, 0x7fffffff, v1
	v_lshlrev_b32_e32 v7, 2, v7
	ds_bpermute_b32 v4, v7, v4
	v_max_f32_e64 v8, |v1|, |v1|
	ds_bpermute_b32 v7, v7, v1
	s_mov_b32 s6, 0x42fe0000
	s_brev_b32 s0, -2
	s_waitcnt lgkmcnt(1)
	v_max_f32_e32 v4, v4, v4
	v_max_f32_e32 v4, v8, v4
	v_xor_b32_e32 v8, 8, v5
	v_cmp_lt_i32_e32 vcc, v8, v6
	v_cndmask_b32_e32 v8, v5, v8, vcc
	v_lshlrev_b32_e32 v8, 2, v8
	ds_bpermute_b32 v9, v8, v4
	s_waitcnt lgkmcnt(1)
	v_add_f32_e32 v7, v1, v7
	ds_bpermute_b32 v8, v8, v7
	s_waitcnt lgkmcnt(1)
	v_max_f32_e32 v9, v9, v9
	v_max_f32_e32 v4, v4, v9
	v_xor_b32_e32 v9, 4, v5
	v_cmp_lt_i32_e32 vcc, v9, v6
	v_cndmask_b32_e32 v9, v5, v9, vcc
	v_lshlrev_b32_e32 v9, 2, v9
	ds_bpermute_b32 v10, v9, v4
	s_waitcnt lgkmcnt(1)
	v_add_f32_e32 v7, v7, v8
	ds_bpermute_b32 v8, v9, v7
	;; [unrolled: 11-line block ×3, first 2 shown]
	s_waitcnt lgkmcnt(1)
	v_max_f32_e32 v9, v11, v11
	v_max_f32_e32 v4, v4, v9
	v_xor_b32_e32 v9, 1, v5
	v_cmp_lt_i32_e32 vcc, v9, v6
	v_cndmask_b32_e32 v5, v5, v9, vcc
	v_lshlrev_b32_e32 v5, 2, v5
	ds_bpermute_b32 v6, v5, v4
	s_waitcnt lgkmcnt(0)
	v_max_f32_e32 v6, v6, v6
	v_max_f32_e32 v9, v4, v6
	v_div_scale_f32 v6, s[4:5], s6, s6, v9
	v_rcp_f32_e32 v10, v6
	v_add_f32_e32 v4, v7, v8
	ds_bpermute_b32 v5, v5, v4
	v_fma_f32 v7, -v6, v10, 1.0
	v_fmac_f32_e32 v10, v7, v10
	v_div_scale_f32 v7, vcc, v9, s6, v9
	v_mul_f32_e32 v8, v7, v10
	v_fma_f32 v11, -v6, v8, v7
	v_fmac_f32_e32 v8, v11, v10
	v_fma_f32 v6, -v6, v8, v7
	v_div_fmas_f32 v6, v6, v10, v8
	v_div_fixup_f32 v6, v6, s6, v9
	v_cmp_neq_f32_e32 vcc, 0, v9
	s_and_saveexec_b64 s[4:5], vcc
	s_cbranch_execz .LBB77_5
; %bb.4:
	v_div_scale_f32 v3, s[6:7], v6, v6, v1
	v_rcp_f32_e32 v7, v3
	v_div_scale_f32 v8, vcc, v1, v6, v1
	v_fma_f32 v9, -v3, v7, 1.0
	v_fmac_f32_e32 v7, v9, v7
	v_mul_f32_e32 v9, v8, v7
	v_fma_f32 v10, -v3, v9, v8
	v_fmac_f32_e32 v9, v10, v7
	v_fma_f32 v3, -v3, v9, v8
	v_div_fmas_f32 v3, v3, v7, v9
	v_div_fixup_f32 v1, v3, v6, v1
	v_trunc_f32_e32 v3, v1
	v_sub_f32_e32 v7, v1, v3
	v_cmp_ge_f32_e64 s[6:7], |v7|, 0.5
	v_cndmask_b32_e64 v7, 0, 1.0, s[6:7]
	v_bfi_b32 v1, s0, v7, v1
	v_add_f32_e32 v1, v3, v1
	v_cvt_i32_f32_e32 v3, v1
.LBB77_5:
	s_or_b64 exec, exec, s[4:5]
	v_mad_u64_u32 v[0:1], s[0:1], v0, s1, v[2:3]
	v_ashrrev_i32_e32 v1, 31, v0
	v_lshrrev_b32_e32 v1, 27, v1
	v_add_u32_e32 v1, v0, v1
	v_ashrrev_i32_e32 v2, 5, v1
	v_and_b32_e32 v1, 0xffffffe0, v1
	v_sub_u32_e32 v7, v0, v1
	v_mad_i64_i32 v[0:1], s[0:1], v2, 36, s[2:3]
	v_ashrrev_i32_e32 v2, 31, v7
	v_add_co_u32_e32 v8, vcc, v0, v7
	v_addc_co_u32_e32 v9, vcc, v1, v2, vcc
	v_cmp_gt_i32_e32 vcc, 1, v7
	global_store_byte v[8:9], v3, off offset:4
	s_and_b64 exec, exec, vcc
	s_cbranch_execz .LBB77_7
; %bb.6:
	s_waitcnt lgkmcnt(0)
	v_add_f32_e32 v2, v4, v5
	v_cvt_f16_f32_e32 v2, v2
	v_cvt_f16_f32_e32 v3, v6
	v_pack_b32_f16 v2, v3, v2
	global_store_dword v[0:1], v2, off
.LBB77_7:
	s_endpgm
	.section	.rodata,"a",@progbits
	.p2align	6, 0x0
	.amdhsa_kernel _ZL13quantize_q8_1IN3c104HalfEEvPKT_Pvii
		.amdhsa_group_segment_fixed_size 0
		.amdhsa_private_segment_fixed_size 0
		.amdhsa_kernarg_size 280
		.amdhsa_user_sgpr_count 6
		.amdhsa_user_sgpr_private_segment_buffer 1
		.amdhsa_user_sgpr_dispatch_ptr 0
		.amdhsa_user_sgpr_queue_ptr 0
		.amdhsa_user_sgpr_kernarg_segment_ptr 1
		.amdhsa_user_sgpr_dispatch_id 0
		.amdhsa_user_sgpr_flat_scratch_init 0
		.amdhsa_user_sgpr_kernarg_preload_length 0
		.amdhsa_user_sgpr_kernarg_preload_offset 0
		.amdhsa_user_sgpr_private_segment_size 0
		.amdhsa_uses_dynamic_stack 0
		.amdhsa_system_sgpr_private_segment_wavefront_offset 0
		.amdhsa_system_sgpr_workgroup_id_x 1
		.amdhsa_system_sgpr_workgroup_id_y 1
		.amdhsa_system_sgpr_workgroup_id_z 0
		.amdhsa_system_sgpr_workgroup_info 0
		.amdhsa_system_vgpr_workitem_id 1
		.amdhsa_next_free_vgpr 12
		.amdhsa_next_free_sgpr 10
		.amdhsa_accum_offset 12
		.amdhsa_reserve_vcc 1
		.amdhsa_reserve_flat_scratch 0
		.amdhsa_float_round_mode_32 0
		.amdhsa_float_round_mode_16_64 0
		.amdhsa_float_denorm_mode_32 3
		.amdhsa_float_denorm_mode_16_64 3
		.amdhsa_dx10_clamp 1
		.amdhsa_ieee_mode 1
		.amdhsa_fp16_overflow 0
		.amdhsa_tg_split 0
		.amdhsa_exception_fp_ieee_invalid_op 0
		.amdhsa_exception_fp_denorm_src 0
		.amdhsa_exception_fp_ieee_div_zero 0
		.amdhsa_exception_fp_ieee_overflow 0
		.amdhsa_exception_fp_ieee_underflow 0
		.amdhsa_exception_fp_ieee_inexact 0
		.amdhsa_exception_int_div_zero 0
	.end_amdhsa_kernel
	.section	.text._ZL13quantize_q8_1IN3c104HalfEEvPKT_Pvii,"axG",@progbits,_ZL13quantize_q8_1IN3c104HalfEEvPKT_Pvii,comdat
.Lfunc_end77:
	.size	_ZL13quantize_q8_1IN3c104HalfEEvPKT_Pvii, .Lfunc_end77-_ZL13quantize_q8_1IN3c104HalfEEvPKT_Pvii
                                        ; -- End function
	.section	.AMDGPU.csdata,"",@progbits
; Kernel info:
; codeLenInByte = 804
; NumSgprs: 14
; NumVgprs: 12
; NumAgprs: 0
; TotalNumVgprs: 12
; ScratchSize: 0
; MemoryBound: 0
; FloatMode: 240
; IeeeMode: 1
; LDSByteSize: 0 bytes/workgroup (compile time only)
; SGPRBlocks: 1
; VGPRBlocks: 1
; NumSGPRsForWavesPerEU: 14
; NumVGPRsForWavesPerEU: 12
; AccumOffset: 12
; Occupancy: 8
; WaveLimiterHint : 0
; COMPUTE_PGM_RSRC2:SCRATCH_EN: 0
; COMPUTE_PGM_RSRC2:USER_SGPR: 6
; COMPUTE_PGM_RSRC2:TRAP_HANDLER: 0
; COMPUTE_PGM_RSRC2:TGID_X_EN: 1
; COMPUTE_PGM_RSRC2:TGID_Y_EN: 1
; COMPUTE_PGM_RSRC2:TGID_Z_EN: 0
; COMPUTE_PGM_RSRC2:TIDIG_COMP_CNT: 1
; COMPUTE_PGM_RSRC3_GFX90A:ACCUM_OFFSET: 2
; COMPUTE_PGM_RSRC3_GFX90A:TG_SPLIT: 0
	.section	.text._ZL13mul_mat_vec_qIN3c104HalfELi32ELi4E10block_q4_0Li2EXadL_ZL17vec_dot_q4_0_q8_1PKvPK10block_q8_1RKiEEEvS4_S4_PT_iii,"axG",@progbits,_ZL13mul_mat_vec_qIN3c104HalfELi32ELi4E10block_q4_0Li2EXadL_ZL17vec_dot_q4_0_q8_1PKvPK10block_q8_1RKiEEEvS4_S4_PT_iii,comdat
	.globl	_ZL13mul_mat_vec_qIN3c104HalfELi32ELi4E10block_q4_0Li2EXadL_ZL17vec_dot_q4_0_q8_1PKvPK10block_q8_1RKiEEEvS4_S4_PT_iii ; -- Begin function _ZL13mul_mat_vec_qIN3c104HalfELi32ELi4E10block_q4_0Li2EXadL_ZL17vec_dot_q4_0_q8_1PKvPK10block_q8_1RKiEEEvS4_S4_PT_iii
	.p2align	8
	.type	_ZL13mul_mat_vec_qIN3c104HalfELi32ELi4E10block_q4_0Li2EXadL_ZL17vec_dot_q4_0_q8_1PKvPK10block_q8_1RKiEEEvS4_S4_PT_iii,@function
_ZL13mul_mat_vec_qIN3c104HalfELi32ELi4E10block_q4_0Li2EXadL_ZL17vec_dot_q4_0_q8_1PKvPK10block_q8_1RKiEEEvS4_S4_PT_iii: ; @_ZL13mul_mat_vec_qIN3c104HalfELi32ELi4E10block_q4_0Li2EXadL_ZL17vec_dot_q4_0_q8_1PKvPK10block_q8_1RKiEEEvS4_S4_PT_iii
; %bb.0:
	s_load_dword s8, s[4:5], 0x34
	s_load_dwordx4 s[0:3], s[4:5], 0x18
	v_bfe_u32 v1, v0, 10, 10
	s_waitcnt lgkmcnt(0)
	s_lshr_b32 s3, s8, 16
	s_mul_i32 s6, s6, s3
	v_add_u32_e32 v1, s6, v1
	s_cmp_lt_u32 s7, s2
	v_cmp_gt_u32_e32 vcc, s1, v1
	s_cselect_b64 s[2:3], -1, 0
	s_and_b64 s[2:3], s[2:3], vcc
	s_and_saveexec_b64 s[8:9], s[2:3]
	s_cbranch_execz .LBB78_7
; %bb.1:
	s_load_dwordx2 s[2:3], s[4:5], 0x10
	s_ashr_i32 s6, s0, 31
	s_lshr_b32 s6, s6, 27
	s_add_i32 s6, s0, s6
	v_and_b32_e32 v4, 0x3ff, v0
	s_ashr_i32 s6, s6, 5
	v_lshrrev_b32_e32 v6, 1, v4
	v_cmp_gt_u32_e32 vcc, s6, v6
	v_mov_b32_e32 v5, 0
	s_and_saveexec_b64 s[12:13], vcc
	s_cbranch_execz .LBB78_5
; %bb.2:
	s_addk_i32 s0, 0x1ff
	s_load_dwordx4 s[8:11], s[4:5], 0x0
	s_ashr_i32 s4, s0, 31
	s_lshr_b32 s4, s4, 23
	s_add_i32 s0, s0, s4
	s_ashr_i32 s0, s0, 9
	s_mul_i32 s0, s7, s0
	v_lshlrev_b32_e32 v0, 3, v4
	v_mul_lo_u32 v7, v1, s6
	s_lshl_b32 s0, s0, 4
	v_and_b32_e32 v0, 8, v0
	v_mov_b32_e32 v5, 0
	s_mov_b64 s[4:5], 0
	v_mov_b32_e32 v3, 4.0
.LBB78_3:                               ; =>This Inner Loop Header: Depth=1
	v_add_u32_e32 v2, v7, v6
	s_waitcnt lgkmcnt(0)
	v_mad_i64_i32 v[8:9], s[14:15], v2, 18, s[8:9]
	v_add_u32_e32 v10, s0, v6
	v_add_co_u32_e32 v12, vcc, v8, v0
	v_mad_i64_i32 v[10:11], s[14:15], v10, 36, s[10:11]
	v_addc_co_u32_e32 v13, vcc, 0, v9, vcc
	v_add_co_u32_e32 v14, vcc, v10, v0
	v_addc_co_u32_e32 v15, vcc, 0, v11, vcc
	global_load_dwordx2 v[16:17], v[14:15], off offset:4
	global_load_dwordx2 v[18:19], v[14:15], off offset:20
	global_load_dword v2, v[12:13], off offset:2
	global_load_dword v20, v[12:13], off offset:6
	global_load_dword v21, v[10:11], off
	global_load_ushort v22, v[8:9], off
	v_mov_b32_e32 v10, 0
	v_add_u32_e32 v6, 32, v6
	v_cmp_le_u32_e32 vcc, s6, v6
	s_or_b64 s[4:5], vcc, s[4:5]
	s_waitcnt vmcnt(3)
	v_and_b32_e32 v11, 0xf0f0f0f, v2
	v_lshrrev_b32_e32 v2, 4, v2
	v_and_b32_e32 v2, 0xf0f0f0f, v2
	v_dot4c_i32_i8_e32 v10, v11, v16
	s_waitcnt vmcnt(2)
	v_and_b32_e32 v12, 0xf0f0f0f, v20
	v_lshrrev_b32_e32 v13, 4, v20
	v_dot4c_i32_i8_e32 v10, v2, v18
	v_and_b32_e32 v11, 0xf0f0f0f, v13
	v_dot4c_i32_i8_e32 v10, v12, v17
	v_dot4c_i32_i8_e32 v10, v11, v19
	s_waitcnt vmcnt(1)
	v_cvt_f32_f16_e32 v8, v21
	v_cvt_f32_f16_sdwa v9, v21 dst_sel:DWORD dst_unused:UNUSED_PAD src0_sel:WORD_1
	v_cvt_f32_i32_e32 v2, v10
	v_pk_mul_f32 v[8:9], v[2:3], v[8:9]
	v_sub_f32_e32 v2, v8, v9
	s_waitcnt vmcnt(0)
	v_fma_mix_f32 v5, v2, v22, v5 op_sel_hi:[0,1,0]
	s_andn2_b64 exec, exec, s[4:5]
	s_cbranch_execnz .LBB78_3
; %bb.4:
	s_or_b64 exec, exec, s[4:5]
.LBB78_5:
	s_or_b64 exec, exec, s[12:13]
	v_mbcnt_lo_u32_b32 v0, -1, 0
	v_mbcnt_hi_u32_b32 v2, -1, v0
	v_and_b32_e32 v0, 64, v2
	v_add_u32_e32 v3, 64, v0
	v_xor_b32_e32 v0, 32, v2
	v_cmp_lt_i32_e32 vcc, v0, v3
	v_cndmask_b32_e32 v0, v2, v0, vcc
	v_lshlrev_b32_e32 v0, 2, v0
	ds_bpermute_b32 v0, v0, v5
	v_xor_b32_e32 v6, 16, v2
	v_cmp_lt_i32_e32 vcc, v6, v3
	s_waitcnt lgkmcnt(0)
	v_add_f32_e32 v0, v5, v0
	v_cndmask_b32_e32 v5, v2, v6, vcc
	v_lshlrev_b32_e32 v5, 2, v5
	ds_bpermute_b32 v5, v5, v0
	v_xor_b32_e32 v6, 8, v2
	v_cmp_lt_i32_e32 vcc, v6, v3
	s_waitcnt lgkmcnt(0)
	v_add_f32_e32 v0, v0, v5
	v_cndmask_b32_e32 v5, v2, v6, vcc
	v_lshlrev_b32_e32 v5, 2, v5
	ds_bpermute_b32 v5, v5, v0
	v_xor_b32_e32 v6, 4, v2
	v_cmp_lt_i32_e32 vcc, v6, v3
	s_waitcnt lgkmcnt(0)
	v_add_f32_e32 v0, v0, v5
	v_cndmask_b32_e32 v5, v2, v6, vcc
	v_lshlrev_b32_e32 v5, 2, v5
	ds_bpermute_b32 v5, v5, v0
	v_xor_b32_e32 v6, 2, v2
	v_cmp_lt_i32_e32 vcc, v6, v3
	s_waitcnt lgkmcnt(0)
	v_add_f32_e32 v0, v0, v5
	v_cndmask_b32_e32 v5, v2, v6, vcc
	v_lshlrev_b32_e32 v5, 2, v5
	ds_bpermute_b32 v5, v5, v0
	v_xor_b32_e32 v6, 1, v2
	v_cmp_lt_i32_e32 vcc, v6, v3
	v_cndmask_b32_e32 v2, v2, v6, vcc
	v_lshlrev_b32_e32 v2, 2, v2
	s_waitcnt lgkmcnt(0)
	v_add_f32_e32 v0, v0, v5
	ds_bpermute_b32 v2, v2, v0
	v_cmp_eq_u32_e32 vcc, 0, v4
	s_and_b64 exec, exec, vcc
	s_cbranch_execz .LBB78_7
; %bb.6:
	s_waitcnt lgkmcnt(0)
	v_add_f32_e32 v0, v0, v2
	s_mul_i32 s7, s7, s1
	v_cvt_f16_f32_e32 v2, v0
	v_add_u32_e32 v0, s7, v1
	v_mov_b32_e32 v1, 0
	v_lshlrev_b64 v[0:1], 1, v[0:1]
	v_mov_b32_e32 v3, s3
	v_add_co_u32_e32 v0, vcc, s2, v0
	v_addc_co_u32_e32 v1, vcc, v3, v1, vcc
	global_store_short v[0:1], v2, off
.LBB78_7:
	s_endpgm
	.section	.rodata,"a",@progbits
	.p2align	6, 0x0
	.amdhsa_kernel _ZL13mul_mat_vec_qIN3c104HalfELi32ELi4E10block_q4_0Li2EXadL_ZL17vec_dot_q4_0_q8_1PKvPK10block_q8_1RKiEEEvS4_S4_PT_iii
		.amdhsa_group_segment_fixed_size 0
		.amdhsa_private_segment_fixed_size 0
		.amdhsa_kernarg_size 296
		.amdhsa_user_sgpr_count 6
		.amdhsa_user_sgpr_private_segment_buffer 1
		.amdhsa_user_sgpr_dispatch_ptr 0
		.amdhsa_user_sgpr_queue_ptr 0
		.amdhsa_user_sgpr_kernarg_segment_ptr 1
		.amdhsa_user_sgpr_dispatch_id 0
		.amdhsa_user_sgpr_flat_scratch_init 0
		.amdhsa_user_sgpr_kernarg_preload_length 0
		.amdhsa_user_sgpr_kernarg_preload_offset 0
		.amdhsa_user_sgpr_private_segment_size 0
		.amdhsa_uses_dynamic_stack 0
		.amdhsa_system_sgpr_private_segment_wavefront_offset 0
		.amdhsa_system_sgpr_workgroup_id_x 1
		.amdhsa_system_sgpr_workgroup_id_y 1
		.amdhsa_system_sgpr_workgroup_id_z 0
		.amdhsa_system_sgpr_workgroup_info 0
		.amdhsa_system_vgpr_workitem_id 1
		.amdhsa_next_free_vgpr 23
		.amdhsa_next_free_sgpr 16
		.amdhsa_accum_offset 24
		.amdhsa_reserve_vcc 1
		.amdhsa_reserve_flat_scratch 0
		.amdhsa_float_round_mode_32 0
		.amdhsa_float_round_mode_16_64 0
		.amdhsa_float_denorm_mode_32 3
		.amdhsa_float_denorm_mode_16_64 3
		.amdhsa_dx10_clamp 1
		.amdhsa_ieee_mode 1
		.amdhsa_fp16_overflow 0
		.amdhsa_tg_split 0
		.amdhsa_exception_fp_ieee_invalid_op 0
		.amdhsa_exception_fp_denorm_src 0
		.amdhsa_exception_fp_ieee_div_zero 0
		.amdhsa_exception_fp_ieee_overflow 0
		.amdhsa_exception_fp_ieee_underflow 0
		.amdhsa_exception_fp_ieee_inexact 0
		.amdhsa_exception_int_div_zero 0
	.end_amdhsa_kernel
	.section	.text._ZL13mul_mat_vec_qIN3c104HalfELi32ELi4E10block_q4_0Li2EXadL_ZL17vec_dot_q4_0_q8_1PKvPK10block_q8_1RKiEEEvS4_S4_PT_iii,"axG",@progbits,_ZL13mul_mat_vec_qIN3c104HalfELi32ELi4E10block_q4_0Li2EXadL_ZL17vec_dot_q4_0_q8_1PKvPK10block_q8_1RKiEEEvS4_S4_PT_iii,comdat
.Lfunc_end78:
	.size	_ZL13mul_mat_vec_qIN3c104HalfELi32ELi4E10block_q4_0Li2EXadL_ZL17vec_dot_q4_0_q8_1PKvPK10block_q8_1RKiEEEvS4_S4_PT_iii, .Lfunc_end78-_ZL13mul_mat_vec_qIN3c104HalfELi32ELi4E10block_q4_0Li2EXadL_ZL17vec_dot_q4_0_q8_1PKvPK10block_q8_1RKiEEEvS4_S4_PT_iii
                                        ; -- End function
	.section	.AMDGPU.csdata,"",@progbits
; Kernel info:
; codeLenInByte = 688
; NumSgprs: 20
; NumVgprs: 23
; NumAgprs: 0
; TotalNumVgprs: 23
; ScratchSize: 0
; MemoryBound: 0
; FloatMode: 240
; IeeeMode: 1
; LDSByteSize: 0 bytes/workgroup (compile time only)
; SGPRBlocks: 2
; VGPRBlocks: 2
; NumSGPRsForWavesPerEU: 20
; NumVGPRsForWavesPerEU: 23
; AccumOffset: 24
; Occupancy: 8
; WaveLimiterHint : 0
; COMPUTE_PGM_RSRC2:SCRATCH_EN: 0
; COMPUTE_PGM_RSRC2:USER_SGPR: 6
; COMPUTE_PGM_RSRC2:TRAP_HANDLER: 0
; COMPUTE_PGM_RSRC2:TGID_X_EN: 1
; COMPUTE_PGM_RSRC2:TGID_Y_EN: 1
; COMPUTE_PGM_RSRC2:TGID_Z_EN: 0
; COMPUTE_PGM_RSRC2:TIDIG_COMP_CNT: 1
; COMPUTE_PGM_RSRC3_GFX90A:ACCUM_OFFSET: 5
; COMPUTE_PGM_RSRC3_GFX90A:TG_SPLIT: 0
	.section	.text._ZL13mul_mat_vec_qIN3c104HalfELi32ELi4E10block_q4_1Li2EXadL_ZL17vec_dot_q4_1_q8_1PKvPK10block_q8_1RKiEEEvS4_S4_PT_iii,"axG",@progbits,_ZL13mul_mat_vec_qIN3c104HalfELi32ELi4E10block_q4_1Li2EXadL_ZL17vec_dot_q4_1_q8_1PKvPK10block_q8_1RKiEEEvS4_S4_PT_iii,comdat
	.globl	_ZL13mul_mat_vec_qIN3c104HalfELi32ELi4E10block_q4_1Li2EXadL_ZL17vec_dot_q4_1_q8_1PKvPK10block_q8_1RKiEEEvS4_S4_PT_iii ; -- Begin function _ZL13mul_mat_vec_qIN3c104HalfELi32ELi4E10block_q4_1Li2EXadL_ZL17vec_dot_q4_1_q8_1PKvPK10block_q8_1RKiEEEvS4_S4_PT_iii
	.p2align	8
	.type	_ZL13mul_mat_vec_qIN3c104HalfELi32ELi4E10block_q4_1Li2EXadL_ZL17vec_dot_q4_1_q8_1PKvPK10block_q8_1RKiEEEvS4_S4_PT_iii,@function
_ZL13mul_mat_vec_qIN3c104HalfELi32ELi4E10block_q4_1Li2EXadL_ZL17vec_dot_q4_1_q8_1PKvPK10block_q8_1RKiEEEvS4_S4_PT_iii: ; @_ZL13mul_mat_vec_qIN3c104HalfELi32ELi4E10block_q4_1Li2EXadL_ZL17vec_dot_q4_1_q8_1PKvPK10block_q8_1RKiEEEvS4_S4_PT_iii
; %bb.0:
	s_load_dword s8, s[4:5], 0x34
	s_load_dwordx4 s[0:3], s[4:5], 0x18
	v_bfe_u32 v1, v0, 10, 10
	s_waitcnt lgkmcnt(0)
	s_lshr_b32 s3, s8, 16
	s_mul_i32 s6, s6, s3
	v_add_u32_e32 v1, s6, v1
	s_cmp_lt_u32 s7, s2
	v_cmp_gt_u32_e32 vcc, s1, v1
	s_cselect_b64 s[2:3], -1, 0
	s_and_b64 s[2:3], s[2:3], vcc
	s_and_saveexec_b64 s[8:9], s[2:3]
	s_cbranch_execz .LBB79_7
; %bb.1:
	s_load_dwordx2 s[2:3], s[4:5], 0x10
	s_ashr_i32 s6, s0, 31
	s_lshr_b32 s6, s6, 27
	s_add_i32 s6, s0, s6
	v_and_b32_e32 v2, 0x3ff, v0
	s_ashr_i32 s6, s6, 5
	v_lshrrev_b32_e32 v4, 1, v2
	v_cmp_gt_u32_e32 vcc, s6, v4
	v_mov_b32_e32 v3, 0
	s_and_saveexec_b64 s[12:13], vcc
	s_cbranch_execz .LBB79_5
; %bb.2:
	s_addk_i32 s0, 0x1ff
	s_load_dwordx4 s[8:11], s[4:5], 0x0
	s_ashr_i32 s4, s0, 31
	s_lshr_b32 s4, s4, 23
	s_add_i32 s0, s0, s4
	s_ashr_i32 s0, s0, 9
	s_mul_i32 s0, s7, s0
	v_lshlrev_b32_e32 v0, 3, v2
	v_mul_lo_u32 v5, v1, s6
	s_lshl_b32 s0, s0, 4
	v_and_b32_e32 v0, 8, v0
	v_mov_b32_e32 v3, 0
	s_mov_b64 s[4:5], 0
	s_mov_b32 s14, 0.5
.LBB79_3:                               ; =>This Inner Loop Header: Depth=1
	v_add_u32_e32 v6, v5, v4
	s_waitcnt lgkmcnt(0)
	v_mad_i64_i32 v[6:7], s[16:17], v6, 20, s[8:9]
	v_add_u32_e32 v8, s0, v4
	v_add_co_u32_e32 v10, vcc, v6, v0
	v_mad_i64_i32 v[8:9], s[16:17], v8, 36, s[10:11]
	v_addc_co_u32_e32 v11, vcc, 0, v7, vcc
	v_add_co_u32_e32 v12, vcc, v8, v0
	v_addc_co_u32_e32 v13, vcc, 0, v9, vcc
	global_load_dword v20, v[6:7], off
	global_load_dwordx2 v[14:15], v[10:11], off offset:4
	global_load_dwordx2 v[16:17], v[12:13], off offset:4
	;; [unrolled: 1-line block ×3, first 2 shown]
	global_load_dword v21, v[8:9], off
	v_mov_b32_e32 v6, 0
	v_add_u32_e32 v4, 32, v4
	v_cmp_le_u32_e32 vcc, s6, v4
	s_or_b64 s[4:5], vcc, s[4:5]
	s_waitcnt vmcnt(3)
	v_and_b32_e32 v8, 0xf0f0f0f, v14
	v_lshrrev_b32_e32 v9, 4, v14
	v_and_b32_e32 v9, 0xf0f0f0f, v9
	s_waitcnt vmcnt(2)
	v_dot4c_i32_i8_e32 v6, v8, v16
	v_and_b32_e32 v10, 0xf0f0f0f, v15
	v_lshrrev_b32_e32 v11, 4, v15
	s_waitcnt vmcnt(1)
	v_dot4c_i32_i8_e32 v6, v9, v18
	v_and_b32_e32 v8, 0xf0f0f0f, v11
	v_dot4c_i32_i8_e32 v6, v10, v17
	s_waitcnt vmcnt(0)
	v_pk_mul_f16 v7, v20, v21
	v_dot4c_i32_i8_e32 v6, v8, v19
	v_cvt_f32_f16_e32 v12, v7
	s_nop 1
	v_cvt_f32_i32_e32 v6, v6
	v_mul_f32_e32 v6, v6, v12
	v_fma_mix_f32 v6, v7, s14, v6 op_sel:[1,0,0] op_sel_hi:[1,0,0]
	v_add_f32_e32 v3, v3, v6
	s_andn2_b64 exec, exec, s[4:5]
	s_cbranch_execnz .LBB79_3
; %bb.4:
	s_or_b64 exec, exec, s[4:5]
.LBB79_5:
	s_or_b64 exec, exec, s[12:13]
	v_mbcnt_lo_u32_b32 v0, -1, 0
	v_mbcnt_hi_u32_b32 v4, -1, v0
	v_and_b32_e32 v0, 64, v4
	v_add_u32_e32 v5, 64, v0
	v_xor_b32_e32 v0, 32, v4
	v_cmp_lt_i32_e32 vcc, v0, v5
	v_cndmask_b32_e32 v0, v4, v0, vcc
	v_lshlrev_b32_e32 v0, 2, v0
	ds_bpermute_b32 v0, v0, v3
	v_xor_b32_e32 v6, 16, v4
	v_cmp_lt_i32_e32 vcc, v6, v5
	s_waitcnt lgkmcnt(0)
	v_add_f32_e32 v0, v3, v0
	v_cndmask_b32_e32 v3, v4, v6, vcc
	v_lshlrev_b32_e32 v3, 2, v3
	ds_bpermute_b32 v3, v3, v0
	v_xor_b32_e32 v6, 8, v4
	v_cmp_lt_i32_e32 vcc, v6, v5
	s_waitcnt lgkmcnt(0)
	v_add_f32_e32 v0, v0, v3
	;; [unrolled: 7-line block ×5, first 2 shown]
	v_cndmask_b32_e32 v3, v4, v6, vcc
	v_lshlrev_b32_e32 v3, 2, v3
	ds_bpermute_b32 v3, v3, v0
	v_cmp_eq_u32_e32 vcc, 0, v2
	s_and_b64 exec, exec, vcc
	s_cbranch_execz .LBB79_7
; %bb.6:
	s_waitcnt lgkmcnt(0)
	v_add_f32_e32 v0, v0, v3
	s_mul_i32 s7, s7, s1
	v_cvt_f16_f32_e32 v2, v0
	v_add_u32_e32 v0, s7, v1
	v_mov_b32_e32 v1, 0
	v_lshlrev_b64 v[0:1], 1, v[0:1]
	v_mov_b32_e32 v3, s3
	v_add_co_u32_e32 v0, vcc, s2, v0
	v_addc_co_u32_e32 v1, vcc, v3, v1, vcc
	global_store_short v[0:1], v2, off
.LBB79_7:
	s_endpgm
	.section	.rodata,"a",@progbits
	.p2align	6, 0x0
	.amdhsa_kernel _ZL13mul_mat_vec_qIN3c104HalfELi32ELi4E10block_q4_1Li2EXadL_ZL17vec_dot_q4_1_q8_1PKvPK10block_q8_1RKiEEEvS4_S4_PT_iii
		.amdhsa_group_segment_fixed_size 0
		.amdhsa_private_segment_fixed_size 0
		.amdhsa_kernarg_size 296
		.amdhsa_user_sgpr_count 6
		.amdhsa_user_sgpr_private_segment_buffer 1
		.amdhsa_user_sgpr_dispatch_ptr 0
		.amdhsa_user_sgpr_queue_ptr 0
		.amdhsa_user_sgpr_kernarg_segment_ptr 1
		.amdhsa_user_sgpr_dispatch_id 0
		.amdhsa_user_sgpr_flat_scratch_init 0
		.amdhsa_user_sgpr_kernarg_preload_length 0
		.amdhsa_user_sgpr_kernarg_preload_offset 0
		.amdhsa_user_sgpr_private_segment_size 0
		.amdhsa_uses_dynamic_stack 0
		.amdhsa_system_sgpr_private_segment_wavefront_offset 0
		.amdhsa_system_sgpr_workgroup_id_x 1
		.amdhsa_system_sgpr_workgroup_id_y 1
		.amdhsa_system_sgpr_workgroup_id_z 0
		.amdhsa_system_sgpr_workgroup_info 0
		.amdhsa_system_vgpr_workitem_id 1
		.amdhsa_next_free_vgpr 22
		.amdhsa_next_free_sgpr 18
		.amdhsa_accum_offset 24
		.amdhsa_reserve_vcc 1
		.amdhsa_reserve_flat_scratch 0
		.amdhsa_float_round_mode_32 0
		.amdhsa_float_round_mode_16_64 0
		.amdhsa_float_denorm_mode_32 3
		.amdhsa_float_denorm_mode_16_64 3
		.amdhsa_dx10_clamp 1
		.amdhsa_ieee_mode 1
		.amdhsa_fp16_overflow 0
		.amdhsa_tg_split 0
		.amdhsa_exception_fp_ieee_invalid_op 0
		.amdhsa_exception_fp_denorm_src 0
		.amdhsa_exception_fp_ieee_div_zero 0
		.amdhsa_exception_fp_ieee_overflow 0
		.amdhsa_exception_fp_ieee_underflow 0
		.amdhsa_exception_fp_ieee_inexact 0
		.amdhsa_exception_int_div_zero 0
	.end_amdhsa_kernel
	.section	.text._ZL13mul_mat_vec_qIN3c104HalfELi32ELi4E10block_q4_1Li2EXadL_ZL17vec_dot_q4_1_q8_1PKvPK10block_q8_1RKiEEEvS4_S4_PT_iii,"axG",@progbits,_ZL13mul_mat_vec_qIN3c104HalfELi32ELi4E10block_q4_1Li2EXadL_ZL17vec_dot_q4_1_q8_1PKvPK10block_q8_1RKiEEEvS4_S4_PT_iii,comdat
.Lfunc_end79:
	.size	_ZL13mul_mat_vec_qIN3c104HalfELi32ELi4E10block_q4_1Li2EXadL_ZL17vec_dot_q4_1_q8_1PKvPK10block_q8_1RKiEEEvS4_S4_PT_iii, .Lfunc_end79-_ZL13mul_mat_vec_qIN3c104HalfELi32ELi4E10block_q4_1Li2EXadL_ZL17vec_dot_q4_1_q8_1PKvPK10block_q8_1RKiEEEvS4_S4_PT_iii
                                        ; -- End function
	.section	.AMDGPU.csdata,"",@progbits
; Kernel info:
; codeLenInByte = 680
; NumSgprs: 22
; NumVgprs: 22
; NumAgprs: 0
; TotalNumVgprs: 22
; ScratchSize: 0
; MemoryBound: 0
; FloatMode: 240
; IeeeMode: 1
; LDSByteSize: 0 bytes/workgroup (compile time only)
; SGPRBlocks: 2
; VGPRBlocks: 2
; NumSGPRsForWavesPerEU: 22
; NumVGPRsForWavesPerEU: 22
; AccumOffset: 24
; Occupancy: 8
; WaveLimiterHint : 0
; COMPUTE_PGM_RSRC2:SCRATCH_EN: 0
; COMPUTE_PGM_RSRC2:USER_SGPR: 6
; COMPUTE_PGM_RSRC2:TRAP_HANDLER: 0
; COMPUTE_PGM_RSRC2:TGID_X_EN: 1
; COMPUTE_PGM_RSRC2:TGID_Y_EN: 1
; COMPUTE_PGM_RSRC2:TGID_Z_EN: 0
; COMPUTE_PGM_RSRC2:TIDIG_COMP_CNT: 1
; COMPUTE_PGM_RSRC3_GFX90A:ACCUM_OFFSET: 5
; COMPUTE_PGM_RSRC3_GFX90A:TG_SPLIT: 0
	.section	.text._ZL13mul_mat_vec_qIN3c104HalfELi32ELi4E10block_q5_0Li2EXadL_ZL17vec_dot_q5_0_q8_1PKvPK10block_q8_1RKiEEEvS4_S4_PT_iii,"axG",@progbits,_ZL13mul_mat_vec_qIN3c104HalfELi32ELi4E10block_q5_0Li2EXadL_ZL17vec_dot_q5_0_q8_1PKvPK10block_q8_1RKiEEEvS4_S4_PT_iii,comdat
	.globl	_ZL13mul_mat_vec_qIN3c104HalfELi32ELi4E10block_q5_0Li2EXadL_ZL17vec_dot_q5_0_q8_1PKvPK10block_q8_1RKiEEEvS4_S4_PT_iii ; -- Begin function _ZL13mul_mat_vec_qIN3c104HalfELi32ELi4E10block_q5_0Li2EXadL_ZL17vec_dot_q5_0_q8_1PKvPK10block_q8_1RKiEEEvS4_S4_PT_iii
	.p2align	8
	.type	_ZL13mul_mat_vec_qIN3c104HalfELi32ELi4E10block_q5_0Li2EXadL_ZL17vec_dot_q5_0_q8_1PKvPK10block_q8_1RKiEEEvS4_S4_PT_iii,@function
_ZL13mul_mat_vec_qIN3c104HalfELi32ELi4E10block_q5_0Li2EXadL_ZL17vec_dot_q5_0_q8_1PKvPK10block_q8_1RKiEEEvS4_S4_PT_iii: ; @_ZL13mul_mat_vec_qIN3c104HalfELi32ELi4E10block_q5_0Li2EXadL_ZL17vec_dot_q5_0_q8_1PKvPK10block_q8_1RKiEEEvS4_S4_PT_iii
; %bb.0:
	s_load_dword s8, s[4:5], 0x34
	s_load_dwordx4 s[0:3], s[4:5], 0x18
	v_bfe_u32 v1, v0, 10, 10
	s_waitcnt lgkmcnt(0)
	s_lshr_b32 s3, s8, 16
	s_mul_i32 s6, s6, s3
	v_add_u32_e32 v1, s6, v1
	s_cmp_lt_u32 s7, s2
	v_cmp_gt_u32_e32 vcc, s1, v1
	s_cselect_b64 s[2:3], -1, 0
	s_and_b64 s[2:3], s[2:3], vcc
	s_and_saveexec_b64 s[8:9], s[2:3]
	s_cbranch_execz .LBB80_7
; %bb.1:
	s_load_dwordx2 s[2:3], s[4:5], 0x10
	s_ashr_i32 s6, s0, 31
	s_lshr_b32 s6, s6, 27
	s_add_i32 s6, s0, s6
	v_and_b32_e32 v4, 0x3ff, v0
	s_ashr_i32 s6, s6, 5
	v_lshrrev_b32_e32 v6, 1, v4
	v_cmp_gt_u32_e32 vcc, s6, v6
	v_mov_b32_e32 v5, 0
	s_and_saveexec_b64 s[12:13], vcc
	s_cbranch_execz .LBB80_5
; %bb.2:
	s_addk_i32 s0, 0x1ff
	s_load_dwordx4 s[8:11], s[4:5], 0x0
	s_ashr_i32 s4, s0, 31
	s_lshr_b32 s4, s4, 23
	s_add_i32 s0, s0, s4
	s_ashr_i32 s0, s0, 9
	v_lshlrev_b32_e32 v0, 3, v4
	s_mul_i32 s0, s7, s0
	v_and_b32_e32 v0, 8, v0
	v_mul_lo_u32 v7, v1, s6
	s_lshl_b32 s0, s0, 4
	v_mov_b32_e32 v5, 0
	v_or_b32_e32 v8, 4, v0
	s_mov_b64 s[4:5], 0
	s_mov_b32 s14, 0x1000706
	v_mov_b32_e32 v3, 0x41000000
.LBB80_3:                               ; =>This Inner Loop Header: Depth=1
	v_add_u32_e32 v2, v7, v6
	v_add_u32_e32 v9, s0, v6
	s_waitcnt lgkmcnt(0)
	v_mad_i64_i32 v[10:11], s[16:17], v2, 22, s[8:9]
	v_mad_i64_i32 v[12:13], s[16:17], v9, 36, s[10:11]
	global_load_dword v9, v[10:11], off
	global_load_ushort v2, v[10:11], off offset:4
	v_add_co_u32_e32 v10, vcc, v10, v0
	v_addc_co_u32_e32 v11, vcc, 0, v11, vcc
	v_add_co_u32_e32 v14, vcc, v12, v0
	v_addc_co_u32_e32 v15, vcc, 0, v13, vcc
	global_load_dwordx2 v[16:17], v[14:15], off offset:4
	global_load_dwordx2 v[18:19], v[14:15], off offset:20
	global_load_dword v20, v[10:11], off offset:6
	global_load_dword v21, v[10:11], off offset:10
	global_load_dword v22, v[12:13], off
	v_mov_b32_e32 v12, 0
	v_add_u32_e32 v6, 32, v6
	v_cmp_le_u32_e32 vcc, s6, v6
	s_or_b64 s[4:5], vcc, s[4:5]
	s_waitcnt vmcnt(5)
	v_perm_b32 v2, v9, v2, s14
	v_ashrrev_i32_e32 v13, v0, v2
	v_lshlrev_b32_e32 v23, 11, v13
	v_ashrrev_i32_e32 v2, v8, v2
	v_lshlrev_b32_e32 v24, 18, v13
	v_lshlrev_b32_e32 v25, 25, v13
	v_lshrrev_b32_e32 v26, 12, v13
	s_waitcnt vmcnt(2)
	v_and_b32_e32 v14, 0xf0f0f0f, v20
	v_lshrrev_b32_e32 v27, 5, v13
	s_waitcnt vmcnt(0)
	v_cvt_f32_f16_e32 v10, v22
	v_cvt_f32_f16_sdwa v11, v22 dst_sel:DWORD dst_unused:UNUSED_PAD src0_sel:WORD_1
	v_lshlrev_b32_e32 v22, 4, v13
	v_lshlrev_b32_e32 v28, 2, v13
	v_and_b32_e32 v22, 16, v22
	v_and_b32_e32 v23, 0x1000, v23
	v_lshrrev_b32_e32 v15, 4, v20
	v_lshlrev_b32_e32 v13, 9, v13
	v_lshlrev_b32_e32 v29, 4, v2
	;; [unrolled: 1-line block ×4, first 2 shown]
	v_and_b32_e32 v24, 0x100000, v24
	v_and_b32_e32 v25, 0x10000000, v25
	;; [unrolled: 1-line block ×5, first 2 shown]
	v_or3_b32 v14, v22, v14, v23
	v_and_b32_e32 v15, 0xf0f0f0f, v15
	v_lshlrev_b32_e32 v32, 25, v2
	v_lshrrev_b32_e32 v33, 12, v2
	v_lshrrev_b32_e32 v34, 5, v2
	v_lshlrev_b32_e32 v35, 2, v2
	v_and_b32_e32 v13, 0x10000000, v13
	v_and_b32_e32 v29, 16, v29
	;; [unrolled: 1-line block ×4, first 2 shown]
	v_or3_b32 v22, v27, v26, v28
	v_or3_b32 v14, v14, v24, v25
	v_and_b32_e32 v20, 0xf0f0f0f, v21
	v_lshrrev_b32_e32 v21, 4, v21
	v_lshlrev_b32_e32 v2, 9, v2
	v_and_b32_e32 v32, 0x10000000, v32
	v_and_b32_e32 v33, 16, v33
	;; [unrolled: 1-line block ×4, first 2 shown]
	v_or3_b32 v23, v30, v29, v31
	v_or3_b32 v13, v22, v13, v15
	v_dot4c_i32_i8_e32 v12, v14, v16
	v_and_b32_e32 v21, 0xf0f0f0f, v21
	v_and_b32_e32 v2, 0x10000000, v2
	v_or3_b32 v26, v34, v33, v35
	v_or3_b32 v15, v23, v32, v20
	v_dot4c_i32_i8_e32 v12, v13, v18
	v_or3_b32 v2, v26, v2, v21
	v_dot4c_i32_i8_e32 v12, v15, v17
	v_dot4c_i32_i8_e32 v12, v2, v19
	s_nop 2
	v_cvt_f32_i32_e32 v2, v12
	v_pk_mul_f32 v[10:11], v[2:3], v[10:11]
	v_sub_f32_e32 v2, v10, v11
	v_fma_mix_f32 v5, v2, v9, v5 op_sel_hi:[0,1,0]
	s_andn2_b64 exec, exec, s[4:5]
	s_cbranch_execnz .LBB80_3
; %bb.4:
	s_or_b64 exec, exec, s[4:5]
.LBB80_5:
	s_or_b64 exec, exec, s[12:13]
	v_mbcnt_lo_u32_b32 v0, -1, 0
	v_mbcnt_hi_u32_b32 v2, -1, v0
	v_and_b32_e32 v0, 64, v2
	v_add_u32_e32 v3, 64, v0
	v_xor_b32_e32 v0, 32, v2
	v_cmp_lt_i32_e32 vcc, v0, v3
	v_cndmask_b32_e32 v0, v2, v0, vcc
	v_lshlrev_b32_e32 v0, 2, v0
	ds_bpermute_b32 v0, v0, v5
	v_xor_b32_e32 v6, 16, v2
	v_cmp_lt_i32_e32 vcc, v6, v3
	s_waitcnt lgkmcnt(0)
	v_add_f32_e32 v0, v5, v0
	v_cndmask_b32_e32 v5, v2, v6, vcc
	v_lshlrev_b32_e32 v5, 2, v5
	ds_bpermute_b32 v5, v5, v0
	v_xor_b32_e32 v6, 8, v2
	v_cmp_lt_i32_e32 vcc, v6, v3
	s_waitcnt lgkmcnt(0)
	v_add_f32_e32 v0, v0, v5
	;; [unrolled: 7-line block ×4, first 2 shown]
	v_cndmask_b32_e32 v5, v2, v6, vcc
	v_lshlrev_b32_e32 v5, 2, v5
	ds_bpermute_b32 v5, v5, v0
	v_xor_b32_e32 v6, 1, v2
	v_cmp_lt_i32_e32 vcc, v6, v3
	v_cndmask_b32_e32 v2, v2, v6, vcc
	v_lshlrev_b32_e32 v2, 2, v2
	s_waitcnt lgkmcnt(0)
	v_add_f32_e32 v0, v0, v5
	ds_bpermute_b32 v2, v2, v0
	v_cmp_eq_u32_e32 vcc, 0, v4
	s_and_b64 exec, exec, vcc
	s_cbranch_execz .LBB80_7
; %bb.6:
	s_waitcnt lgkmcnt(0)
	v_add_f32_e32 v0, v0, v2
	s_mul_i32 s7, s7, s1
	v_cvt_f16_f32_e32 v2, v0
	v_add_u32_e32 v0, s7, v1
	v_mov_b32_e32 v1, 0
	v_lshlrev_b64 v[0:1], 1, v[0:1]
	v_mov_b32_e32 v3, s3
	v_add_co_u32_e32 v0, vcc, s2, v0
	v_addc_co_u32_e32 v1, vcc, v3, v1, vcc
	global_store_short v[0:1], v2, off
.LBB80_7:
	s_endpgm
	.section	.rodata,"a",@progbits
	.p2align	6, 0x0
	.amdhsa_kernel _ZL13mul_mat_vec_qIN3c104HalfELi32ELi4E10block_q5_0Li2EXadL_ZL17vec_dot_q5_0_q8_1PKvPK10block_q8_1RKiEEEvS4_S4_PT_iii
		.amdhsa_group_segment_fixed_size 0
		.amdhsa_private_segment_fixed_size 0
		.amdhsa_kernarg_size 296
		.amdhsa_user_sgpr_count 6
		.amdhsa_user_sgpr_private_segment_buffer 1
		.amdhsa_user_sgpr_dispatch_ptr 0
		.amdhsa_user_sgpr_queue_ptr 0
		.amdhsa_user_sgpr_kernarg_segment_ptr 1
		.amdhsa_user_sgpr_dispatch_id 0
		.amdhsa_user_sgpr_flat_scratch_init 0
		.amdhsa_user_sgpr_kernarg_preload_length 0
		.amdhsa_user_sgpr_kernarg_preload_offset 0
		.amdhsa_user_sgpr_private_segment_size 0
		.amdhsa_uses_dynamic_stack 0
		.amdhsa_system_sgpr_private_segment_wavefront_offset 0
		.amdhsa_system_sgpr_workgroup_id_x 1
		.amdhsa_system_sgpr_workgroup_id_y 1
		.amdhsa_system_sgpr_workgroup_id_z 0
		.amdhsa_system_sgpr_workgroup_info 0
		.amdhsa_system_vgpr_workitem_id 1
		.amdhsa_next_free_vgpr 36
		.amdhsa_next_free_sgpr 18
		.amdhsa_accum_offset 36
		.amdhsa_reserve_vcc 1
		.amdhsa_reserve_flat_scratch 0
		.amdhsa_float_round_mode_32 0
		.amdhsa_float_round_mode_16_64 0
		.amdhsa_float_denorm_mode_32 3
		.amdhsa_float_denorm_mode_16_64 3
		.amdhsa_dx10_clamp 1
		.amdhsa_ieee_mode 1
		.amdhsa_fp16_overflow 0
		.amdhsa_tg_split 0
		.amdhsa_exception_fp_ieee_invalid_op 0
		.amdhsa_exception_fp_denorm_src 0
		.amdhsa_exception_fp_ieee_div_zero 0
		.amdhsa_exception_fp_ieee_overflow 0
		.amdhsa_exception_fp_ieee_underflow 0
		.amdhsa_exception_fp_ieee_inexact 0
		.amdhsa_exception_int_div_zero 0
	.end_amdhsa_kernel
	.section	.text._ZL13mul_mat_vec_qIN3c104HalfELi32ELi4E10block_q5_0Li2EXadL_ZL17vec_dot_q5_0_q8_1PKvPK10block_q8_1RKiEEEvS4_S4_PT_iii,"axG",@progbits,_ZL13mul_mat_vec_qIN3c104HalfELi32ELi4E10block_q5_0Li2EXadL_ZL17vec_dot_q5_0_q8_1PKvPK10block_q8_1RKiEEEvS4_S4_PT_iii,comdat
.Lfunc_end80:
	.size	_ZL13mul_mat_vec_qIN3c104HalfELi32ELi4E10block_q5_0Li2EXadL_ZL17vec_dot_q5_0_q8_1PKvPK10block_q8_1RKiEEEvS4_S4_PT_iii, .Lfunc_end80-_ZL13mul_mat_vec_qIN3c104HalfELi32ELi4E10block_q5_0Li2EXadL_ZL17vec_dot_q5_0_q8_1PKvPK10block_q8_1RKiEEEvS4_S4_PT_iii
                                        ; -- End function
	.section	.AMDGPU.csdata,"",@progbits
; Kernel info:
; codeLenInByte = 968
; NumSgprs: 22
; NumVgprs: 36
; NumAgprs: 0
; TotalNumVgprs: 36
; ScratchSize: 0
; MemoryBound: 0
; FloatMode: 240
; IeeeMode: 1
; LDSByteSize: 0 bytes/workgroup (compile time only)
; SGPRBlocks: 2
; VGPRBlocks: 4
; NumSGPRsForWavesPerEU: 22
; NumVGPRsForWavesPerEU: 36
; AccumOffset: 36
; Occupancy: 8
; WaveLimiterHint : 0
; COMPUTE_PGM_RSRC2:SCRATCH_EN: 0
; COMPUTE_PGM_RSRC2:USER_SGPR: 6
; COMPUTE_PGM_RSRC2:TRAP_HANDLER: 0
; COMPUTE_PGM_RSRC2:TGID_X_EN: 1
; COMPUTE_PGM_RSRC2:TGID_Y_EN: 1
; COMPUTE_PGM_RSRC2:TGID_Z_EN: 0
; COMPUTE_PGM_RSRC2:TIDIG_COMP_CNT: 1
; COMPUTE_PGM_RSRC3_GFX90A:ACCUM_OFFSET: 8
; COMPUTE_PGM_RSRC3_GFX90A:TG_SPLIT: 0
	.section	.text._ZL13mul_mat_vec_qIN3c104HalfELi32ELi4E10block_q5_1Li2EXadL_ZL17vec_dot_q5_1_q8_1PKvPK10block_q8_1RKiEEEvS4_S4_PT_iii,"axG",@progbits,_ZL13mul_mat_vec_qIN3c104HalfELi32ELi4E10block_q5_1Li2EXadL_ZL17vec_dot_q5_1_q8_1PKvPK10block_q8_1RKiEEEvS4_S4_PT_iii,comdat
	.globl	_ZL13mul_mat_vec_qIN3c104HalfELi32ELi4E10block_q5_1Li2EXadL_ZL17vec_dot_q5_1_q8_1PKvPK10block_q8_1RKiEEEvS4_S4_PT_iii ; -- Begin function _ZL13mul_mat_vec_qIN3c104HalfELi32ELi4E10block_q5_1Li2EXadL_ZL17vec_dot_q5_1_q8_1PKvPK10block_q8_1RKiEEEvS4_S4_PT_iii
	.p2align	8
	.type	_ZL13mul_mat_vec_qIN3c104HalfELi32ELi4E10block_q5_1Li2EXadL_ZL17vec_dot_q5_1_q8_1PKvPK10block_q8_1RKiEEEvS4_S4_PT_iii,@function
_ZL13mul_mat_vec_qIN3c104HalfELi32ELi4E10block_q5_1Li2EXadL_ZL17vec_dot_q5_1_q8_1PKvPK10block_q8_1RKiEEEvS4_S4_PT_iii: ; @_ZL13mul_mat_vec_qIN3c104HalfELi32ELi4E10block_q5_1Li2EXadL_ZL17vec_dot_q5_1_q8_1PKvPK10block_q8_1RKiEEEvS4_S4_PT_iii
; %bb.0:
	s_load_dword s8, s[4:5], 0x34
	s_load_dwordx4 s[0:3], s[4:5], 0x18
	v_bfe_u32 v1, v0, 10, 10
	s_waitcnt lgkmcnt(0)
	s_lshr_b32 s3, s8, 16
	s_mul_i32 s6, s6, s3
	v_add_u32_e32 v1, s6, v1
	s_cmp_lt_u32 s7, s2
	v_cmp_gt_u32_e32 vcc, s1, v1
	s_cselect_b64 s[2:3], -1, 0
	s_and_b64 s[2:3], s[2:3], vcc
	s_and_saveexec_b64 s[8:9], s[2:3]
	s_cbranch_execz .LBB81_7
; %bb.1:
	s_load_dwordx2 s[2:3], s[4:5], 0x10
	s_ashr_i32 s6, s0, 31
	s_lshr_b32 s6, s6, 27
	s_add_i32 s6, s0, s6
	v_and_b32_e32 v2, 0x3ff, v0
	s_ashr_i32 s6, s6, 5
	v_lshrrev_b32_e32 v4, 1, v2
	v_cmp_gt_u32_e32 vcc, s6, v4
	v_mov_b32_e32 v3, 0
	s_and_saveexec_b64 s[12:13], vcc
	s_cbranch_execz .LBB81_5
; %bb.2:
	s_addk_i32 s0, 0x1ff
	s_load_dwordx4 s[8:11], s[4:5], 0x0
	s_ashr_i32 s4, s0, 31
	s_lshr_b32 s4, s4, 23
	s_add_i32 s0, s0, s4
	s_ashr_i32 s0, s0, 9
	v_lshlrev_b32_e32 v0, 3, v2
	s_mul_i32 s0, s7, s0
	v_and_b32_e32 v0, 8, v0
	v_mul_lo_u32 v5, v1, s6
	s_lshl_b32 s0, s0, 4
	v_mov_b32_e32 v3, 0
	v_or_b32_e32 v6, 4, v0
	s_mov_b64 s[4:5], 0
	s_mov_b32 s14, 0.5
.LBB81_3:                               ; =>This Inner Loop Header: Depth=1
	v_add_u32_e32 v7, v5, v4
	s_waitcnt lgkmcnt(0)
	v_mad_i64_i32 v[8:9], s[16:17], v7, 24, s[8:9]
	v_add_u32_e32 v10, s0, v4
	global_load_dwordx2 v[12:13], v[8:9], off
	v_add_co_u32_e32 v8, vcc, v8, v0
	v_mad_i64_i32 v[10:11], s[16:17], v10, 36, s[10:11]
	v_addc_co_u32_e32 v9, vcc, 0, v9, vcc
	v_add_co_u32_e32 v14, vcc, v10, v0
	v_addc_co_u32_e32 v15, vcc, 0, v11, vcc
	global_load_dwordx2 v[16:17], v[8:9], off offset:8
	global_load_dwordx2 v[18:19], v[14:15], off offset:4
	;; [unrolled: 1-line block ×3, first 2 shown]
	global_load_dword v7, v[10:11], off
	v_mov_b32_e32 v8, 0
	v_add_u32_e32 v4, 32, v4
	v_cmp_le_u32_e32 vcc, s6, v4
	s_or_b64 s[4:5], vcc, s[4:5]
	s_waitcnt vmcnt(4)
	v_ashrrev_i32_e32 v9, v0, v13
	v_ashrrev_i32_e32 v10, v6, v13
	v_lshlrev_b32_e32 v13, 11, v9
	v_lshlrev_b32_e32 v14, 18, v9
	;; [unrolled: 1-line block ×3, first 2 shown]
	v_lshrrev_b32_e32 v22, 12, v9
	v_lshrrev_b32_e32 v23, 5, v9
	v_lshlrev_b32_e32 v24, 2, v9
	s_waitcnt vmcnt(3)
	v_and_b32_e32 v11, 0xf0f0f0f, v16
	v_and_b32_e32 v13, 0x1000, v13
	v_lshrrev_b32_e32 v16, 4, v16
	s_waitcnt vmcnt(0)
	v_pk_mul_f16 v7, v12, v7
	v_lshlrev_b32_e32 v12, 4, v9
	v_and_b32_e32 v12, 16, v12
	v_lshlrev_b32_e32 v9, 9, v9
	v_lshlrev_b32_e32 v26, 4, v10
	;; [unrolled: 1-line block ×4, first 2 shown]
	v_and_b32_e32 v14, 0x100000, v14
	v_and_b32_e32 v15, 0x10000000, v15
	;; [unrolled: 1-line block ×5, first 2 shown]
	v_or3_b32 v11, v12, v11, v13
	v_lshlrev_b32_e32 v29, 25, v10
	v_lshrrev_b32_e32 v30, 12, v10
	v_lshrrev_b32_e32 v31, 5, v10
	v_lshlrev_b32_e32 v32, 2, v10
	v_and_b32_e32 v16, 0xf0f0f0f, v16
	v_and_b32_e32 v9, 0x10000000, v9
	;; [unrolled: 1-line block ×5, first 2 shown]
	v_or3_b32 v12, v23, v22, v24
	v_or3_b32 v11, v11, v14, v15
	v_and_b32_e32 v25, 0xf0f0f0f, v17
	v_lshrrev_b32_e32 v17, 4, v17
	v_lshlrev_b32_e32 v10, 9, v10
	v_and_b32_e32 v29, 0x10000000, v29
	v_and_b32_e32 v30, 16, v30
	;; [unrolled: 1-line block ×4, first 2 shown]
	v_or3_b32 v13, v27, v26, v28
	v_or3_b32 v9, v12, v9, v16
	v_dot4c_i32_i8_e32 v8, v11, v18
	v_and_b32_e32 v17, 0xf0f0f0f, v17
	v_and_b32_e32 v10, 0x10000000, v10
	v_or3_b32 v22, v31, v30, v32
	v_or3_b32 v12, v13, v29, v25
	v_dot4c_i32_i8_e32 v8, v9, v20
	v_or3_b32 v10, v22, v10, v17
	v_dot4c_i32_i8_e32 v8, v12, v19
	v_dot4c_i32_i8_e32 v8, v10, v21
	v_cvt_f32_f16_e32 v33, v7
	s_nop 1
	v_cvt_f32_i32_e32 v8, v8
	v_mul_f32_e32 v8, v33, v8
	v_fma_mix_f32 v7, v7, s14, v8 op_sel:[1,0,0] op_sel_hi:[1,0,0]
	v_add_f32_e32 v3, v3, v7
	s_andn2_b64 exec, exec, s[4:5]
	s_cbranch_execnz .LBB81_3
; %bb.4:
	s_or_b64 exec, exec, s[4:5]
.LBB81_5:
	s_or_b64 exec, exec, s[12:13]
	v_mbcnt_lo_u32_b32 v0, -1, 0
	v_mbcnt_hi_u32_b32 v4, -1, v0
	v_and_b32_e32 v0, 64, v4
	v_add_u32_e32 v5, 64, v0
	v_xor_b32_e32 v0, 32, v4
	v_cmp_lt_i32_e32 vcc, v0, v5
	v_cndmask_b32_e32 v0, v4, v0, vcc
	v_lshlrev_b32_e32 v0, 2, v0
	ds_bpermute_b32 v0, v0, v3
	v_xor_b32_e32 v6, 16, v4
	v_cmp_lt_i32_e32 vcc, v6, v5
	s_waitcnt lgkmcnt(0)
	v_add_f32_e32 v0, v3, v0
	v_cndmask_b32_e32 v3, v4, v6, vcc
	v_lshlrev_b32_e32 v3, 2, v3
	ds_bpermute_b32 v3, v3, v0
	v_xor_b32_e32 v6, 8, v4
	v_cmp_lt_i32_e32 vcc, v6, v5
	s_waitcnt lgkmcnt(0)
	v_add_f32_e32 v0, v0, v3
	;; [unrolled: 7-line block ×5, first 2 shown]
	v_cndmask_b32_e32 v3, v4, v6, vcc
	v_lshlrev_b32_e32 v3, 2, v3
	ds_bpermute_b32 v3, v3, v0
	v_cmp_eq_u32_e32 vcc, 0, v2
	s_and_b64 exec, exec, vcc
	s_cbranch_execz .LBB81_7
; %bb.6:
	s_waitcnt lgkmcnt(0)
	v_add_f32_e32 v0, v0, v3
	s_mul_i32 s7, s7, s1
	v_cvt_f16_f32_e32 v2, v0
	v_add_u32_e32 v0, s7, v1
	v_mov_b32_e32 v1, 0
	v_lshlrev_b64 v[0:1], 1, v[0:1]
	v_mov_b32_e32 v3, s3
	v_add_co_u32_e32 v0, vcc, s2, v0
	v_addc_co_u32_e32 v1, vcc, v3, v1, vcc
	global_store_short v[0:1], v2, off
.LBB81_7:
	s_endpgm
	.section	.rodata,"a",@progbits
	.p2align	6, 0x0
	.amdhsa_kernel _ZL13mul_mat_vec_qIN3c104HalfELi32ELi4E10block_q5_1Li2EXadL_ZL17vec_dot_q5_1_q8_1PKvPK10block_q8_1RKiEEEvS4_S4_PT_iii
		.amdhsa_group_segment_fixed_size 0
		.amdhsa_private_segment_fixed_size 0
		.amdhsa_kernarg_size 296
		.amdhsa_user_sgpr_count 6
		.amdhsa_user_sgpr_private_segment_buffer 1
		.amdhsa_user_sgpr_dispatch_ptr 0
		.amdhsa_user_sgpr_queue_ptr 0
		.amdhsa_user_sgpr_kernarg_segment_ptr 1
		.amdhsa_user_sgpr_dispatch_id 0
		.amdhsa_user_sgpr_flat_scratch_init 0
		.amdhsa_user_sgpr_kernarg_preload_length 0
		.amdhsa_user_sgpr_kernarg_preload_offset 0
		.amdhsa_user_sgpr_private_segment_size 0
		.amdhsa_uses_dynamic_stack 0
		.amdhsa_system_sgpr_private_segment_wavefront_offset 0
		.amdhsa_system_sgpr_workgroup_id_x 1
		.amdhsa_system_sgpr_workgroup_id_y 1
		.amdhsa_system_sgpr_workgroup_id_z 0
		.amdhsa_system_sgpr_workgroup_info 0
		.amdhsa_system_vgpr_workitem_id 1
		.amdhsa_next_free_vgpr 34
		.amdhsa_next_free_sgpr 18
		.amdhsa_accum_offset 36
		.amdhsa_reserve_vcc 1
		.amdhsa_reserve_flat_scratch 0
		.amdhsa_float_round_mode_32 0
		.amdhsa_float_round_mode_16_64 0
		.amdhsa_float_denorm_mode_32 3
		.amdhsa_float_denorm_mode_16_64 3
		.amdhsa_dx10_clamp 1
		.amdhsa_ieee_mode 1
		.amdhsa_fp16_overflow 0
		.amdhsa_tg_split 0
		.amdhsa_exception_fp_ieee_invalid_op 0
		.amdhsa_exception_fp_denorm_src 0
		.amdhsa_exception_fp_ieee_div_zero 0
		.amdhsa_exception_fp_ieee_overflow 0
		.amdhsa_exception_fp_ieee_underflow 0
		.amdhsa_exception_fp_ieee_inexact 0
		.amdhsa_exception_int_div_zero 0
	.end_amdhsa_kernel
	.section	.text._ZL13mul_mat_vec_qIN3c104HalfELi32ELi4E10block_q5_1Li2EXadL_ZL17vec_dot_q5_1_q8_1PKvPK10block_q8_1RKiEEEvS4_S4_PT_iii,"axG",@progbits,_ZL13mul_mat_vec_qIN3c104HalfELi32ELi4E10block_q5_1Li2EXadL_ZL17vec_dot_q5_1_q8_1PKvPK10block_q8_1RKiEEEvS4_S4_PT_iii,comdat
.Lfunc_end81:
	.size	_ZL13mul_mat_vec_qIN3c104HalfELi32ELi4E10block_q5_1Li2EXadL_ZL17vec_dot_q5_1_q8_1PKvPK10block_q8_1RKiEEEvS4_S4_PT_iii, .Lfunc_end81-_ZL13mul_mat_vec_qIN3c104HalfELi32ELi4E10block_q5_1Li2EXadL_ZL17vec_dot_q5_1_q8_1PKvPK10block_q8_1RKiEEEvS4_S4_PT_iii
                                        ; -- End function
	.section	.AMDGPU.csdata,"",@progbits
; Kernel info:
; codeLenInByte = 928
; NumSgprs: 22
; NumVgprs: 34
; NumAgprs: 0
; TotalNumVgprs: 34
; ScratchSize: 0
; MemoryBound: 0
; FloatMode: 240
; IeeeMode: 1
; LDSByteSize: 0 bytes/workgroup (compile time only)
; SGPRBlocks: 2
; VGPRBlocks: 4
; NumSGPRsForWavesPerEU: 22
; NumVGPRsForWavesPerEU: 34
; AccumOffset: 36
; Occupancy: 8
; WaveLimiterHint : 0
; COMPUTE_PGM_RSRC2:SCRATCH_EN: 0
; COMPUTE_PGM_RSRC2:USER_SGPR: 6
; COMPUTE_PGM_RSRC2:TRAP_HANDLER: 0
; COMPUTE_PGM_RSRC2:TGID_X_EN: 1
; COMPUTE_PGM_RSRC2:TGID_Y_EN: 1
; COMPUTE_PGM_RSRC2:TGID_Z_EN: 0
; COMPUTE_PGM_RSRC2:TIDIG_COMP_CNT: 1
; COMPUTE_PGM_RSRC3_GFX90A:ACCUM_OFFSET: 8
; COMPUTE_PGM_RSRC3_GFX90A:TG_SPLIT: 0
	.section	.text._ZL13mul_mat_vec_qIN3c104HalfELi32ELi8E10block_q8_0Li2EXadL_ZL17vec_dot_q8_0_q8_1PKvPK10block_q8_1RKiEEEvS4_S4_PT_iii,"axG",@progbits,_ZL13mul_mat_vec_qIN3c104HalfELi32ELi8E10block_q8_0Li2EXadL_ZL17vec_dot_q8_0_q8_1PKvPK10block_q8_1RKiEEEvS4_S4_PT_iii,comdat
	.globl	_ZL13mul_mat_vec_qIN3c104HalfELi32ELi8E10block_q8_0Li2EXadL_ZL17vec_dot_q8_0_q8_1PKvPK10block_q8_1RKiEEEvS4_S4_PT_iii ; -- Begin function _ZL13mul_mat_vec_qIN3c104HalfELi32ELi8E10block_q8_0Li2EXadL_ZL17vec_dot_q8_0_q8_1PKvPK10block_q8_1RKiEEEvS4_S4_PT_iii
	.p2align	8
	.type	_ZL13mul_mat_vec_qIN3c104HalfELi32ELi8E10block_q8_0Li2EXadL_ZL17vec_dot_q8_0_q8_1PKvPK10block_q8_1RKiEEEvS4_S4_PT_iii,@function
_ZL13mul_mat_vec_qIN3c104HalfELi32ELi8E10block_q8_0Li2EXadL_ZL17vec_dot_q8_0_q8_1PKvPK10block_q8_1RKiEEEvS4_S4_PT_iii: ; @_ZL13mul_mat_vec_qIN3c104HalfELi32ELi8E10block_q8_0Li2EXadL_ZL17vec_dot_q8_0_q8_1PKvPK10block_q8_1RKiEEEvS4_S4_PT_iii
; %bb.0:
	s_load_dword s8, s[4:5], 0x34
	s_load_dwordx4 s[0:3], s[4:5], 0x18
	v_bfe_u32 v1, v0, 10, 10
	s_waitcnt lgkmcnt(0)
	s_lshr_b32 s3, s8, 16
	s_mul_i32 s6, s6, s3
	v_add_u32_e32 v1, s6, v1
	s_cmp_lt_u32 s7, s2
	v_cmp_gt_u32_e32 vcc, s1, v1
	s_cselect_b64 s[2:3], -1, 0
	s_and_b64 s[2:3], s[2:3], vcc
	s_and_saveexec_b64 s[8:9], s[2:3]
	s_cbranch_execz .LBB82_7
; %bb.1:
	s_load_dwordx2 s[2:3], s[4:5], 0x10
	s_ashr_i32 s6, s0, 31
	s_lshr_b32 s6, s6, 27
	s_add_i32 s6, s0, s6
	v_and_b32_e32 v2, 0x3ff, v0
	s_ashr_i32 s6, s6, 5
	v_lshrrev_b32_e32 v4, 2, v2
	v_cmp_gt_u32_e32 vcc, s6, v4
	v_mov_b32_e32 v3, 0
	s_and_saveexec_b64 s[12:13], vcc
	s_cbranch_execz .LBB82_5
; %bb.2:
	s_addk_i32 s0, 0x1ff
	s_load_dwordx4 s[8:11], s[4:5], 0x0
	s_ashr_i32 s4, s0, 31
	s_lshr_b32 s4, s4, 23
	s_add_i32 s0, s0, s4
	s_ashr_i32 s0, s0, 9
	s_mul_i32 s0, s7, s0
	v_lshlrev_b32_e32 v0, 3, v2
	v_mul_lo_u32 v5, v1, s6
	s_lshl_b32 s0, s0, 4
	v_and_b32_e32 v0, 24, v0
	v_mov_b32_e32 v3, 0
	s_mov_b64 s[4:5], 0
.LBB82_3:                               ; =>This Inner Loop Header: Depth=1
	v_add_u32_e32 v6, v5, v4
	s_waitcnt lgkmcnt(0)
	v_mad_i64_i32 v[6:7], s[14:15], v6, 34, s[8:9]
	v_add_u32_e32 v8, s0, v4
	v_add_co_u32_e32 v10, vcc, v6, v0
	v_mad_i64_i32 v[8:9], s[14:15], v8, 36, s[10:11]
	v_addc_co_u32_e32 v11, vcc, 0, v7, vcc
	v_add_co_u32_e32 v12, vcc, v8, v0
	v_addc_co_u32_e32 v13, vcc, 0, v9, vcc
	global_load_ushort v18, v[6:7], off
	global_load_dwordx2 v[14:15], v[10:11], off offset:2
	global_load_dwordx2 v[16:17], v[12:13], off offset:4
	global_load_dword v19, v[8:9], off
	v_mov_b32_e32 v6, 0
	v_add_u32_e32 v4, 16, v4
	v_cmp_le_u32_e32 vcc, s6, v4
	s_or_b64 s[4:5], vcc, s[4:5]
	s_waitcnt vmcnt(3)
	v_cvt_f32_f16_e32 v7, v18
	s_waitcnt vmcnt(1)
	v_dot4c_i32_i8_e32 v6, v14, v16
	s_waitcnt vmcnt(0)
	v_cvt_f32_f16_e32 v8, v19
	v_dot4c_i32_i8_e32 v6, v15, v17
	v_mul_f32_e32 v7, v7, v8
	s_nop 1
	v_cvt_f32_i32_e32 v6, v6
	v_fmac_f32_e32 v3, v7, v6
	s_andn2_b64 exec, exec, s[4:5]
	s_cbranch_execnz .LBB82_3
; %bb.4:
	s_or_b64 exec, exec, s[4:5]
.LBB82_5:
	s_or_b64 exec, exec, s[12:13]
	v_mbcnt_lo_u32_b32 v0, -1, 0
	v_mbcnt_hi_u32_b32 v4, -1, v0
	v_and_b32_e32 v0, 64, v4
	v_add_u32_e32 v5, 64, v0
	v_xor_b32_e32 v0, 32, v4
	v_cmp_lt_i32_e32 vcc, v0, v5
	v_cndmask_b32_e32 v0, v4, v0, vcc
	v_lshlrev_b32_e32 v0, 2, v0
	ds_bpermute_b32 v0, v0, v3
	v_xor_b32_e32 v6, 16, v4
	v_cmp_lt_i32_e32 vcc, v6, v5
	s_waitcnt lgkmcnt(0)
	v_add_f32_e32 v0, v3, v0
	v_cndmask_b32_e32 v3, v4, v6, vcc
	v_lshlrev_b32_e32 v3, 2, v3
	ds_bpermute_b32 v3, v3, v0
	v_xor_b32_e32 v6, 8, v4
	v_cmp_lt_i32_e32 vcc, v6, v5
	s_waitcnt lgkmcnt(0)
	v_add_f32_e32 v0, v0, v3
	;; [unrolled: 7-line block ×5, first 2 shown]
	v_cndmask_b32_e32 v3, v4, v6, vcc
	v_lshlrev_b32_e32 v3, 2, v3
	ds_bpermute_b32 v3, v3, v0
	v_cmp_eq_u32_e32 vcc, 0, v2
	s_and_b64 exec, exec, vcc
	s_cbranch_execz .LBB82_7
; %bb.6:
	s_waitcnt lgkmcnt(0)
	v_add_f32_e32 v0, v0, v3
	s_mul_i32 s7, s7, s1
	v_cvt_f16_f32_e32 v2, v0
	v_add_u32_e32 v0, s7, v1
	v_mov_b32_e32 v1, 0
	v_lshlrev_b64 v[0:1], 1, v[0:1]
	v_mov_b32_e32 v3, s3
	v_add_co_u32_e32 v0, vcc, s2, v0
	v_addc_co_u32_e32 v1, vcc, v3, v1, vcc
	global_store_short v[0:1], v2, off
.LBB82_7:
	s_endpgm
	.section	.rodata,"a",@progbits
	.p2align	6, 0x0
	.amdhsa_kernel _ZL13mul_mat_vec_qIN3c104HalfELi32ELi8E10block_q8_0Li2EXadL_ZL17vec_dot_q8_0_q8_1PKvPK10block_q8_1RKiEEEvS4_S4_PT_iii
		.amdhsa_group_segment_fixed_size 0
		.amdhsa_private_segment_fixed_size 0
		.amdhsa_kernarg_size 296
		.amdhsa_user_sgpr_count 6
		.amdhsa_user_sgpr_private_segment_buffer 1
		.amdhsa_user_sgpr_dispatch_ptr 0
		.amdhsa_user_sgpr_queue_ptr 0
		.amdhsa_user_sgpr_kernarg_segment_ptr 1
		.amdhsa_user_sgpr_dispatch_id 0
		.amdhsa_user_sgpr_flat_scratch_init 0
		.amdhsa_user_sgpr_kernarg_preload_length 0
		.amdhsa_user_sgpr_kernarg_preload_offset 0
		.amdhsa_user_sgpr_private_segment_size 0
		.amdhsa_uses_dynamic_stack 0
		.amdhsa_system_sgpr_private_segment_wavefront_offset 0
		.amdhsa_system_sgpr_workgroup_id_x 1
		.amdhsa_system_sgpr_workgroup_id_y 1
		.amdhsa_system_sgpr_workgroup_id_z 0
		.amdhsa_system_sgpr_workgroup_info 0
		.amdhsa_system_vgpr_workitem_id 1
		.amdhsa_next_free_vgpr 20
		.amdhsa_next_free_sgpr 16
		.amdhsa_accum_offset 20
		.amdhsa_reserve_vcc 1
		.amdhsa_reserve_flat_scratch 0
		.amdhsa_float_round_mode_32 0
		.amdhsa_float_round_mode_16_64 0
		.amdhsa_float_denorm_mode_32 3
		.amdhsa_float_denorm_mode_16_64 3
		.amdhsa_dx10_clamp 1
		.amdhsa_ieee_mode 1
		.amdhsa_fp16_overflow 0
		.amdhsa_tg_split 0
		.amdhsa_exception_fp_ieee_invalid_op 0
		.amdhsa_exception_fp_denorm_src 0
		.amdhsa_exception_fp_ieee_div_zero 0
		.amdhsa_exception_fp_ieee_overflow 0
		.amdhsa_exception_fp_ieee_underflow 0
		.amdhsa_exception_fp_ieee_inexact 0
		.amdhsa_exception_int_div_zero 0
	.end_amdhsa_kernel
	.section	.text._ZL13mul_mat_vec_qIN3c104HalfELi32ELi8E10block_q8_0Li2EXadL_ZL17vec_dot_q8_0_q8_1PKvPK10block_q8_1RKiEEEvS4_S4_PT_iii,"axG",@progbits,_ZL13mul_mat_vec_qIN3c104HalfELi32ELi8E10block_q8_0Li2EXadL_ZL17vec_dot_q8_0_q8_1PKvPK10block_q8_1RKiEEEvS4_S4_PT_iii,comdat
.Lfunc_end82:
	.size	_ZL13mul_mat_vec_qIN3c104HalfELi32ELi8E10block_q8_0Li2EXadL_ZL17vec_dot_q8_0_q8_1PKvPK10block_q8_1RKiEEEvS4_S4_PT_iii, .Lfunc_end82-_ZL13mul_mat_vec_qIN3c104HalfELi32ELi8E10block_q8_0Li2EXadL_ZL17vec_dot_q8_0_q8_1PKvPK10block_q8_1RKiEEEvS4_S4_PT_iii
                                        ; -- End function
	.section	.AMDGPU.csdata,"",@progbits
; Kernel info:
; codeLenInByte = 604
; NumSgprs: 20
; NumVgprs: 20
; NumAgprs: 0
; TotalNumVgprs: 20
; ScratchSize: 0
; MemoryBound: 0
; FloatMode: 240
; IeeeMode: 1
; LDSByteSize: 0 bytes/workgroup (compile time only)
; SGPRBlocks: 2
; VGPRBlocks: 2
; NumSGPRsForWavesPerEU: 20
; NumVGPRsForWavesPerEU: 20
; AccumOffset: 20
; Occupancy: 8
; WaveLimiterHint : 0
; COMPUTE_PGM_RSRC2:SCRATCH_EN: 0
; COMPUTE_PGM_RSRC2:USER_SGPR: 6
; COMPUTE_PGM_RSRC2:TRAP_HANDLER: 0
; COMPUTE_PGM_RSRC2:TGID_X_EN: 1
; COMPUTE_PGM_RSRC2:TGID_Y_EN: 1
; COMPUTE_PGM_RSRC2:TGID_Z_EN: 0
; COMPUTE_PGM_RSRC2:TIDIG_COMP_CNT: 1
; COMPUTE_PGM_RSRC3_GFX90A:ACCUM_OFFSET: 4
; COMPUTE_PGM_RSRC3_GFX90A:TG_SPLIT: 0
	.section	.text._ZL13mul_mat_vec_qIN3c104HalfELi256ELi16E10block_q2_KLi1EXadL_ZL17vec_dot_q2_K_q8_1PKvPK10block_q8_1RKiEEEvS4_S4_PT_iii,"axG",@progbits,_ZL13mul_mat_vec_qIN3c104HalfELi256ELi16E10block_q2_KLi1EXadL_ZL17vec_dot_q2_K_q8_1PKvPK10block_q8_1RKiEEEvS4_S4_PT_iii,comdat
	.globl	_ZL13mul_mat_vec_qIN3c104HalfELi256ELi16E10block_q2_KLi1EXadL_ZL17vec_dot_q2_K_q8_1PKvPK10block_q8_1RKiEEEvS4_S4_PT_iii ; -- Begin function _ZL13mul_mat_vec_qIN3c104HalfELi256ELi16E10block_q2_KLi1EXadL_ZL17vec_dot_q2_K_q8_1PKvPK10block_q8_1RKiEEEvS4_S4_PT_iii
	.p2align	8
	.type	_ZL13mul_mat_vec_qIN3c104HalfELi256ELi16E10block_q2_KLi1EXadL_ZL17vec_dot_q2_K_q8_1PKvPK10block_q8_1RKiEEEvS4_S4_PT_iii,@function
_ZL13mul_mat_vec_qIN3c104HalfELi256ELi16E10block_q2_KLi1EXadL_ZL17vec_dot_q2_K_q8_1PKvPK10block_q8_1RKiEEEvS4_S4_PT_iii: ; @_ZL13mul_mat_vec_qIN3c104HalfELi256ELi16E10block_q2_KLi1EXadL_ZL17vec_dot_q2_K_q8_1PKvPK10block_q8_1RKiEEEvS4_S4_PT_iii
; %bb.0:
	s_load_dword s8, s[4:5], 0x34
	s_load_dwordx4 s[0:3], s[4:5], 0x18
	v_bfe_u32 v1, v0, 10, 10
	s_waitcnt lgkmcnt(0)
	s_lshr_b32 s3, s8, 16
	s_mul_i32 s6, s6, s3
	v_add_u32_e32 v10, s6, v1
	s_cmp_lt_u32 s7, s2
	v_cmp_gt_u32_e32 vcc, s1, v10
	s_cselect_b64 s[2:3], -1, 0
	s_and_b64 s[2:3], s[2:3], vcc
	s_and_saveexec_b64 s[8:9], s[2:3]
	s_cbranch_execz .LBB83_7
; %bb.1:
	s_load_dwordx2 s[2:3], s[4:5], 0x10
	s_ashr_i32 s6, s0, 31
	s_lshr_b32 s6, s6, 24
	s_add_i32 s6, s0, s6
	v_and_b32_e32 v11, 0x3ff, v0
	s_ashr_i32 s6, s6, 8
	v_lshrrev_b32_e32 v12, 4, v11
	v_cmp_gt_u32_e32 vcc, s6, v12
	v_mov_b32_e32 v1, 0
	s_and_saveexec_b64 s[8:9], vcc
	s_cbranch_execz .LBB83_5
; %bb.2:
	v_and_b32_e32 v3, 15, v11
	s_load_dwordx4 s[12:15], s[4:5], 0x0
	s_addk_i32 s0, 0x1ff
	v_cmp_lt_u32_e32 vcc, 7, v3
	s_ashr_i32 s4, s0, 31
	v_cndmask_b32_e64 v0, 0, 1, vcc
	s_lshr_b32 s4, s4, 23
	v_lshlrev_b32_e32 v6, 2, v0
	v_add_u32_e32 v0, -8, v3
	v_cmp_gt_u32_e32 vcc, 8, v3
	s_add_i32 s0, s0, s4
	v_cndmask_b32_e32 v0, v0, v3, vcc
	s_ashr_i32 s0, s0, 9
	v_lshlrev_b32_e32 v2, 2, v3
	v_mov_b32_e32 v1, 0
	v_sub_u32_e32 v3, v3, v0
	v_cmp_lt_u32_e32 vcc, 3, v0
	s_mul_i32 s0, s7, s0
	v_lshlrev_b64 v[4:5], 2, v[0:1]
	v_addc_co_u32_e32 v0, vcc, 0, v3, vcc
	s_waitcnt lgkmcnt(0)
	v_mad_u64_u32 v[6:7], s[4:5], v6, 36, s[14:15]
	v_lshlrev_b32_e32 v8, 3, v12
	v_mul_lo_u32 v13, v10, s6
	v_ashrrev_i32_e32 v3, 31, v0
	v_lshl_add_u32 v14, s0, 4, v8
	s_mov_b64 s[4:5], 0
	s_movk_i32 s0, 0x54
	v_pk_mov_b32 v[8:9], s[12:13], s[12:13] op_sel:[0,1]
	s_movk_i32 s10, 0x48
	s_movk_i32 s11, 0x6c
	s_mov_b32 s12, 0x1010101
.LBB83_3:                               ; =>This Inner Loop Header: Depth=1
	v_mad_i64_i32 v[16:17], s[14:15], v14, 36, v[6:7]
	v_add_co_u32_e32 v20, vcc, v16, v4
	v_add_u32_e32 v15, v13, v12
	v_addc_co_u32_e32 v21, vcc, v17, v5, vcc
	v_mad_i64_i32 v[18:19], s[14:15], v15, s0, v[8:9]
	v_add_co_u32_e32 v15, vcc, 36, v16
	v_addc_co_u32_e32 v25, vcc, 0, v17, vcc
	v_add_co_u32_e32 v26, vcc, s10, v16
	v_addc_co_u32_e32 v27, vcc, 0, v17, vcc
	v_add_co_u32_e32 v28, vcc, s11, v16
	v_addc_co_u32_e32 v29, vcc, 0, v17, vcc
	v_add_co_u32_e32 v22, vcc, v18, v2
	v_addc_co_u32_e32 v23, vcc, 0, v19, vcc
	v_add_co_u32_e32 v24, vcc, v15, v4
	v_addc_co_u32_e32 v25, vcc, v25, v5, vcc
	v_add_co_u32_e32 v26, vcc, v26, v4
	v_addc_co_u32_e32 v27, vcc, v27, v5, vcc
	v_add_co_u32_e32 v28, vcc, v28, v4
	global_load_dword v32, v[16:17], off
	global_load_dword v33, v[16:17], off offset:36
	global_load_dword v34, v[16:17], off offset:72
	v_addc_co_u32_e32 v29, vcc, v29, v5, vcc
	v_add_co_u32_e32 v30, vcc, v18, v0
	v_addc_co_u32_e32 v31, vcc, v19, v3, vcc
	global_load_dword v15, v[20:21], off offset:4
	global_load_dword v35, v[24:25], off offset:4
	global_load_dword v36, v[26:27], off offset:4
	global_load_dword v37, v[28:29], off offset:4
	global_load_dword v38, v[16:17], off offset:108
	global_load_dword v39, v[22:23], off offset:16
	global_load_ubyte v40, v[30:31], off
	global_load_ubyte v41, v[30:31], off offset:2
	global_load_ubyte v42, v[30:31], off offset:4
	;; [unrolled: 1-line block ×3, first 2 shown]
	global_load_dword v44, v[18:19], off offset:80
	v_mov_b32_e32 v17, 0
	v_mov_b32_e32 v19, 0
	;; [unrolled: 1-line block ×8, first 2 shown]
	v_add_u32_e32 v12, 4, v12
	v_cmp_le_u32_e32 vcc, s6, v12
	v_add_u32_e32 v14, 32, v14
	s_or_b64 s[4:5], vcc, s[4:5]
	s_waitcnt vmcnt(13)
	v_cvt_f32_f16_e32 v16, v32
	s_waitcnt vmcnt(12)
	v_cvt_f32_f16_e32 v18, v33
	;; [unrolled: 2-line block ×4, first 2 shown]
	s_waitcnt vmcnt(5)
	v_and_b32_e32 v29, 0x3030303, v39
	s_waitcnt vmcnt(4)
	v_and_b32_e32 v31, 15, v40
	v_lshrrev_b32_e32 v32, 4, v40
	v_lshrrev_b32_e32 v33, 2, v39
	s_waitcnt vmcnt(3)
	v_lshrrev_b32_e32 v38, 4, v41
	v_lshrrev_b32_e32 v40, 4, v39
	;; [unrolled: 1-line block ×3, first 2 shown]
	v_and_b32_e32 v34, 15, v41
	s_waitcnt vmcnt(2)
	v_and_b32_e32 v41, 15, v42
	v_lshrrev_b32_e32 v42, 4, v42
	v_dot4c_i32_i8_e32 v17, v29, v15
	v_mul_lo_u32 v29, v32, s12
	v_and_b32_e32 v32, 0x3030303, v33
	v_mul_lo_u32 v33, v38, s12
	v_and_b32_e32 v38, 0x3030303, v40
	v_and_b32_e32 v39, 0x3030303, v39
	s_waitcnt vmcnt(1)
	v_and_b32_e32 v45, 15, v43
	v_lshrrev_b32_e32 v43, 4, v43
	v_mul_lo_u32 v40, v42, s12
	v_mul_lo_u32 v17, v31, v17
	v_dot4c_i32_i8_e32 v19, v29, v15
	v_dot4c_i32_i8_e32 v21, v32, v35
	;; [unrolled: 1-line block ×4, first 2 shown]
	v_mul_lo_u32 v42, v43, s12
	v_dot4c_i32_i8_e32 v23, v33, v35
	v_dot4c_i32_i8_e32 v28, v40, v36
	v_mul_lo_u32 v15, v34, v21
	v_mul_lo_u32 v21, v41, v26
	;; [unrolled: 1-line block ×3, first 2 shown]
	v_cvt_f32_i32_e32 v27, v19
	v_cvt_f32_i32_e32 v26, v17
	v_dot4c_i32_i8_e32 v30, v42, v37
	v_cvt_f32_i32_e32 v29, v23
	v_cvt_f32_i32_e32 v31, v28
	;; [unrolled: 1-line block ×6, first 2 shown]
	s_waitcnt vmcnt(0)
	v_cvt_f32_f16_e32 v24, v44
	v_cvt_f32_f16_sdwa v25, v44 dst_sel:DWORD dst_unused:UNUSED_PAD src0_sel:WORD_1
	v_pk_fma_f32 v[16:17], v[16:17], v[26:27], 0 op_sel_hi:[0,1,0]
	v_pk_fma_f32 v[16:17], v[18:19], v[28:29], v[16:17] op_sel_hi:[0,1,1]
	;; [unrolled: 1-line block ×4, first 2 shown]
	v_pk_mul_f32 v[16:17], v[16:17], v[24:25]
	v_sub_f32_e32 v15, v16, v17
	v_add_f32_e32 v1, v1, v15
	s_andn2_b64 exec, exec, s[4:5]
	s_cbranch_execnz .LBB83_3
; %bb.4:
	s_or_b64 exec, exec, s[4:5]
.LBB83_5:
	s_or_b64 exec, exec, s[8:9]
	v_mbcnt_lo_u32_b32 v0, -1, 0
	v_mbcnt_hi_u32_b32 v2, -1, v0
	v_and_b32_e32 v0, 64, v2
	v_add_u32_e32 v3, 64, v0
	v_xor_b32_e32 v0, 32, v2
	v_cmp_lt_i32_e32 vcc, v0, v3
	v_cndmask_b32_e32 v0, v2, v0, vcc
	v_lshlrev_b32_e32 v0, 2, v0
	ds_bpermute_b32 v0, v0, v1
	v_xor_b32_e32 v4, 16, v2
	v_cmp_lt_i32_e32 vcc, v4, v3
	s_waitcnt lgkmcnt(0)
	v_add_f32_e32 v0, v1, v0
	v_cndmask_b32_e32 v1, v2, v4, vcc
	v_lshlrev_b32_e32 v1, 2, v1
	ds_bpermute_b32 v1, v1, v0
	v_xor_b32_e32 v4, 8, v2
	v_cmp_lt_i32_e32 vcc, v4, v3
	s_waitcnt lgkmcnt(0)
	v_add_f32_e32 v0, v0, v1
	;; [unrolled: 7-line block ×5, first 2 shown]
	v_cndmask_b32_e32 v1, v2, v4, vcc
	v_lshlrev_b32_e32 v1, 2, v1
	ds_bpermute_b32 v1, v1, v0
	v_cmp_eq_u32_e32 vcc, 0, v11
	s_and_b64 exec, exec, vcc
	s_cbranch_execz .LBB83_7
; %bb.6:
	s_waitcnt lgkmcnt(0)
	v_add_f32_e32 v0, v0, v1
	s_mul_i32 s7, s7, s1
	v_cvt_f16_f32_e32 v2, v0
	v_add_u32_e32 v0, s7, v10
	v_mov_b32_e32 v1, 0
	v_lshlrev_b64 v[0:1], 1, v[0:1]
	v_mov_b32_e32 v3, s3
	v_add_co_u32_e32 v0, vcc, s2, v0
	v_addc_co_u32_e32 v1, vcc, v3, v1, vcc
	global_store_short v[0:1], v2, off
.LBB83_7:
	s_endpgm
	.section	.rodata,"a",@progbits
	.p2align	6, 0x0
	.amdhsa_kernel _ZL13mul_mat_vec_qIN3c104HalfELi256ELi16E10block_q2_KLi1EXadL_ZL17vec_dot_q2_K_q8_1PKvPK10block_q8_1RKiEEEvS4_S4_PT_iii
		.amdhsa_group_segment_fixed_size 0
		.amdhsa_private_segment_fixed_size 0
		.amdhsa_kernarg_size 296
		.amdhsa_user_sgpr_count 6
		.amdhsa_user_sgpr_private_segment_buffer 1
		.amdhsa_user_sgpr_dispatch_ptr 0
		.amdhsa_user_sgpr_queue_ptr 0
		.amdhsa_user_sgpr_kernarg_segment_ptr 1
		.amdhsa_user_sgpr_dispatch_id 0
		.amdhsa_user_sgpr_flat_scratch_init 0
		.amdhsa_user_sgpr_kernarg_preload_length 0
		.amdhsa_user_sgpr_kernarg_preload_offset 0
		.amdhsa_user_sgpr_private_segment_size 0
		.amdhsa_uses_dynamic_stack 0
		.amdhsa_system_sgpr_private_segment_wavefront_offset 0
		.amdhsa_system_sgpr_workgroup_id_x 1
		.amdhsa_system_sgpr_workgroup_id_y 1
		.amdhsa_system_sgpr_workgroup_id_z 0
		.amdhsa_system_sgpr_workgroup_info 0
		.amdhsa_system_vgpr_workitem_id 1
		.amdhsa_next_free_vgpr 46
		.amdhsa_next_free_sgpr 16
		.amdhsa_accum_offset 48
		.amdhsa_reserve_vcc 1
		.amdhsa_reserve_flat_scratch 0
		.amdhsa_float_round_mode_32 0
		.amdhsa_float_round_mode_16_64 0
		.amdhsa_float_denorm_mode_32 3
		.amdhsa_float_denorm_mode_16_64 3
		.amdhsa_dx10_clamp 1
		.amdhsa_ieee_mode 1
		.amdhsa_fp16_overflow 0
		.amdhsa_tg_split 0
		.amdhsa_exception_fp_ieee_invalid_op 0
		.amdhsa_exception_fp_denorm_src 0
		.amdhsa_exception_fp_ieee_div_zero 0
		.amdhsa_exception_fp_ieee_overflow 0
		.amdhsa_exception_fp_ieee_underflow 0
		.amdhsa_exception_fp_ieee_inexact 0
		.amdhsa_exception_int_div_zero 0
	.end_amdhsa_kernel
	.section	.text._ZL13mul_mat_vec_qIN3c104HalfELi256ELi16E10block_q2_KLi1EXadL_ZL17vec_dot_q2_K_q8_1PKvPK10block_q8_1RKiEEEvS4_S4_PT_iii,"axG",@progbits,_ZL13mul_mat_vec_qIN3c104HalfELi256ELi16E10block_q2_KLi1EXadL_ZL17vec_dot_q2_K_q8_1PKvPK10block_q8_1RKiEEEvS4_S4_PT_iii,comdat
.Lfunc_end83:
	.size	_ZL13mul_mat_vec_qIN3c104HalfELi256ELi16E10block_q2_KLi1EXadL_ZL17vec_dot_q2_K_q8_1PKvPK10block_q8_1RKiEEEvS4_S4_PT_iii, .Lfunc_end83-_ZL13mul_mat_vec_qIN3c104HalfELi256ELi16E10block_q2_KLi1EXadL_ZL17vec_dot_q2_K_q8_1PKvPK10block_q8_1RKiEEEvS4_S4_PT_iii
                                        ; -- End function
	.section	.AMDGPU.csdata,"",@progbits
; Kernel info:
; codeLenInByte = 1140
; NumSgprs: 20
; NumVgprs: 46
; NumAgprs: 0
; TotalNumVgprs: 46
; ScratchSize: 0
; MemoryBound: 0
; FloatMode: 240
; IeeeMode: 1
; LDSByteSize: 0 bytes/workgroup (compile time only)
; SGPRBlocks: 2
; VGPRBlocks: 5
; NumSGPRsForWavesPerEU: 20
; NumVGPRsForWavesPerEU: 46
; AccumOffset: 48
; Occupancy: 8
; WaveLimiterHint : 0
; COMPUTE_PGM_RSRC2:SCRATCH_EN: 0
; COMPUTE_PGM_RSRC2:USER_SGPR: 6
; COMPUTE_PGM_RSRC2:TRAP_HANDLER: 0
; COMPUTE_PGM_RSRC2:TGID_X_EN: 1
; COMPUTE_PGM_RSRC2:TGID_Y_EN: 1
; COMPUTE_PGM_RSRC2:TGID_Z_EN: 0
; COMPUTE_PGM_RSRC2:TIDIG_COMP_CNT: 1
; COMPUTE_PGM_RSRC3_GFX90A:ACCUM_OFFSET: 11
; COMPUTE_PGM_RSRC3_GFX90A:TG_SPLIT: 0
	.section	.text._ZL13mul_mat_vec_qIN3c104HalfELi256ELi16E10block_q3_KLi1EXadL_ZL17vec_dot_q3_K_q8_1PKvPK10block_q8_1RKiEEEvS4_S4_PT_iii,"axG",@progbits,_ZL13mul_mat_vec_qIN3c104HalfELi256ELi16E10block_q3_KLi1EXadL_ZL17vec_dot_q3_K_q8_1PKvPK10block_q8_1RKiEEEvS4_S4_PT_iii,comdat
	.globl	_ZL13mul_mat_vec_qIN3c104HalfELi256ELi16E10block_q3_KLi1EXadL_ZL17vec_dot_q3_K_q8_1PKvPK10block_q8_1RKiEEEvS4_S4_PT_iii ; -- Begin function _ZL13mul_mat_vec_qIN3c104HalfELi256ELi16E10block_q3_KLi1EXadL_ZL17vec_dot_q3_K_q8_1PKvPK10block_q8_1RKiEEEvS4_S4_PT_iii
	.p2align	8
	.type	_ZL13mul_mat_vec_qIN3c104HalfELi256ELi16E10block_q3_KLi1EXadL_ZL17vec_dot_q3_K_q8_1PKvPK10block_q8_1RKiEEEvS4_S4_PT_iii,@function
_ZL13mul_mat_vec_qIN3c104HalfELi256ELi16E10block_q3_KLi1EXadL_ZL17vec_dot_q3_K_q8_1PKvPK10block_q8_1RKiEEEvS4_S4_PT_iii: ; @_ZL13mul_mat_vec_qIN3c104HalfELi256ELi16E10block_q3_KLi1EXadL_ZL17vec_dot_q3_K_q8_1PKvPK10block_q8_1RKiEEEvS4_S4_PT_iii
; %bb.0:
	s_load_dword s0, s[4:5], 0x34
	s_load_dwordx4 s[8:11], s[4:5], 0x18
	v_bfe_u32 v1, v0, 10, 10
	s_waitcnt lgkmcnt(0)
	s_lshr_b32 s0, s0, 16
	s_mul_i32 s6, s6, s0
	v_add_u32_e32 v26, s6, v1
	s_cmp_lt_u32 s7, s10
	v_cmp_gt_u32_e32 vcc, s9, v26
	s_cselect_b64 s[0:1], -1, 0
	s_and_b64 s[0:1], s[0:1], vcc
	s_and_saveexec_b64 s[2:3], s[0:1]
	s_cbranch_execz .LBB84_7
; %bb.1:
	s_load_dwordx2 s[2:3], s[4:5], 0x10
	s_ashr_i32 s0, s8, 31
	s_lshr_b32 s0, s0, 24
	s_add_i32 s0, s8, s0
	v_and_b32_e32 v27, 0x3ff, v0
	s_ashr_i32 s6, s0, 8
	v_lshrrev_b32_e32 v28, 4, v27
	v_cmp_gt_u32_e32 vcc, s6, v28
	v_mov_b32_e32 v1, 0
	s_and_saveexec_b64 s[10:11], vcc
	s_cbranch_execz .LBB84_5
; %bb.2:
	v_and_b32_e32 v3, 15, v27
	v_cmp_lt_u32_e32 vcc, 7, v3
	v_cndmask_b32_e64 v0, 0, 1, vcc
	v_lshlrev_b32_e32 v30, 2, v0
	v_add_u32_e32 v0, -8, v3
	v_cmp_gt_u32_e32 vcc, 8, v3
	v_cndmask_b32_e32 v0, v0, v3, vcc
	v_lshlrev_b32_e32 v2, 2, v3
	v_sub_u32_e32 v3, v3, v0
	v_cmp_lt_u32_e32 vcc, 3, v0
	v_addc_co_u32_e32 v16, vcc, 0, v3, vcc
	v_mov_b32_e32 v17, 7
	v_add_u16_e32 v10, 2, v16
	v_mov_b32_e32 v18, 5
	v_mov_b32_e32 v21, 6
	v_lshrrev_b16_sdwa v11, v17, sext(v10) dst_sel:DWORD dst_unused:UNUSED_PAD src0_sel:DWORD src1_sel:BYTE_0
	v_lshrrev_b16_sdwa v8, v18, v11 dst_sel:DWORD dst_unused:UNUSED_PAD src0_sel:DWORD src1_sel:BYTE_0
	v_lshrrev_b16_sdwa v11, v21, v11 dst_sel:DWORD dst_unused:UNUSED_PAD src0_sel:DWORD src1_sel:BYTE_0
	v_mov_b32_e32 v20, 2
	v_add_u16_e32 v11, v10, v11
	v_add_u16_e32 v14, 4, v16
	v_mov_b32_e32 v22, 1
	v_ashrrev_i16_sdwa v12, v20, sext(v11) dst_sel:DWORD dst_unused:UNUSED_PAD src0_sel:DWORD src1_sel:BYTE_0
	v_lshrrev_b16_sdwa v15, v17, sext(v14) dst_sel:DWORD dst_unused:UNUSED_PAD src0_sel:DWORD src1_sel:BYTE_0
	v_lshlrev_b32_sdwa v34, v22, sext(v12) dst_sel:DWORD dst_unused:UNUSED_PAD src0_sel:DWORD src1_sel:WORD_0
	v_lshrrev_b16_sdwa v12, v18, v15 dst_sel:DWORD dst_unused:UNUSED_PAD src0_sel:DWORD src1_sel:BYTE_0
	v_lshrrev_b16_sdwa v15, v21, v15 dst_sel:DWORD dst_unused:UNUSED_PAD src0_sel:DWORD src1_sel:BYTE_0
	v_mov_b32_e32 v1, 0
	v_lshrrev_b16_sdwa v6, v17, sext(v16) dst_sel:DWORD dst_unused:UNUSED_PAD src0_sel:DWORD src1_sel:BYTE_0
	v_add_u16_e32 v15, v14, v15
	v_lshlrev_b64 v[4:5], 2, v[0:1]
	v_lshrrev_b16_sdwa v0, v18, v6 dst_sel:DWORD dst_unused:UNUSED_PAD src0_sel:DWORD src1_sel:BYTE_0
	v_lshrrev_b16_sdwa v6, v21, v6 dst_sel:DWORD dst_unused:UNUSED_PAD src0_sel:DWORD src1_sel:BYTE_0
	v_lshrrev_b16_sdwa v23, v20, sext(v15) dst_sel:DWORD dst_unused:UNUSED_PAD src0_sel:DWORD src1_sel:BYTE_0
	v_add_u16_e32 v0, v16, v0
	v_mov_b32_e32 v19, 3
	v_add_u16_e32 v6, v16, v6
	v_lshlrev_b32_sdwa v36, v22, v23 dst_sel:DWORD dst_unused:UNUSED_PAD src0_sel:DWORD src1_sel:BYTE_0
	v_add_u16_e32 v23, 6, v16
	s_add_i32 s0, s8, 0x1ff
	v_lshrrev_b16_sdwa v3, v19, sext(v0) dst_sel:DWORD dst_unused:UNUSED_PAD src0_sel:DWORD src1_sel:BYTE_0
	v_and_b32_e32 v0, 0xf8, v0
	v_ashrrev_i16_sdwa v7, v20, sext(v6) dst_sel:DWORD dst_unused:UNUSED_PAD src0_sel:DWORD src1_sel:BYTE_0
	v_and_b32_e32 v6, 0xfc, v6
	v_lshrrev_b16_sdwa v24, v17, sext(v23) dst_sel:DWORD dst_unused:UNUSED_PAD src0_sel:DWORD src1_sel:BYTE_0
	s_load_dwordx4 s[12:15], s[4:5], 0x0
	s_ashr_i32 s1, s0, 31
	v_sub_u16_e32 v0, v16, v0
	v_sub_u16_e32 v6, v16, v6
	v_lshrrev_b16_sdwa v16, v18, v24 dst_sel:DWORD dst_unused:UNUSED_PAD src0_sel:DWORD src1_sel:BYTE_0
	v_lshrrev_b16_sdwa v18, v21, v24 dst_sel:DWORD dst_unused:UNUSED_PAD src0_sel:DWORD src1_sel:BYTE_0
	s_lshr_b32 s1, s1, 23
	v_add_u16_e32 v8, v10, v8
	v_add_u16_e32 v12, v14, v12
	;; [unrolled: 1-line block ×4, first 2 shown]
	s_add_i32 s0, s0, s1
	v_lshrrev_b16_sdwa v9, v19, sext(v8) dst_sel:DWORD dst_unused:UNUSED_PAD src0_sel:DWORD src1_sel:BYTE_0
	v_and_b32_e32 v8, 0xf8, v8
	v_and_b32_e32 v11, 0xfc, v11
	v_lshrrev_b16_sdwa v13, v19, sext(v12) dst_sel:DWORD dst_unused:UNUSED_PAD src0_sel:DWORD src1_sel:BYTE_0
	v_and_b32_e32 v12, 0xf8, v12
	v_and_b32_e32 v15, 0xfc, v15
	v_lshrrev_b16_sdwa v17, v19, sext(v16) dst_sel:DWORD dst_unused:UNUSED_PAD src0_sel:DWORD src1_sel:BYTE_0
	v_and_b32_e32 v16, 0xf8, v16
	v_lshrrev_b16_sdwa v19, v20, sext(v18) dst_sel:DWORD dst_unused:UNUSED_PAD src0_sel:DWORD src1_sel:BYTE_0
	v_and_b32_e32 v18, 0xfc, v18
	s_ashr_i32 s0, s0, 9
	v_sub_u16_e32 v8, v10, v8
	v_sub_u16_e32 v10, v10, v11
	;; [unrolled: 1-line block ×6, first 2 shown]
	s_mul_i32 s4, s7, s0
	v_bfe_i32 v0, v0, 0, 8
	v_lshlrev_b32_sdwa v32, v22, sext(v7) dst_sel:DWORD dst_unused:UNUSED_PAD src0_sel:DWORD src1_sel:WORD_0
	v_bfe_i32 v6, v6, 0, 8
	v_bfe_i32 v8, v8, 0, 8
	;; [unrolled: 1-line block ×6, first 2 shown]
	v_lshlrev_b32_sdwa v38, v22, v19 dst_sel:DWORD dst_unused:UNUSED_PAD src0_sel:DWORD src1_sel:BYTE_0
	v_bfe_i32 v18, v18, 0, 8
	v_lshlrev_b32_e32 v22, 3, v28
	v_mul_lo_u32 v29, v26, s6
	v_lshlrev_b32_sdwa v31, v20, v3 dst_sel:DWORD dst_unused:UNUSED_PAD src0_sel:DWORD src1_sel:BYTE_0
	v_ashrrev_i32_e32 v3, 31, v0
	v_ashrrev_i32_e32 v7, 31, v6
	v_lshlrev_b32_sdwa v33, v20, v9 dst_sel:DWORD dst_unused:UNUSED_PAD src0_sel:DWORD src1_sel:BYTE_0
	v_ashrrev_i32_e32 v9, 31, v8
	v_ashrrev_i32_e32 v11, 31, v10
	v_lshlrev_b32_sdwa v35, v20, v13 dst_sel:DWORD dst_unused:UNUSED_PAD src0_sel:DWORD src1_sel:BYTE_0
	v_ashrrev_i32_e32 v13, 31, v12
	v_ashrrev_i32_e32 v15, 31, v14
	v_lshlrev_b32_sdwa v37, v20, v17 dst_sel:DWORD dst_unused:UNUSED_PAD src0_sel:DWORD src1_sel:BYTE_0
	v_ashrrev_i32_e32 v17, 31, v16
	v_ashrrev_i32_e32 v19, 31, v18
	s_waitcnt lgkmcnt(0)
	v_mad_u64_u32 v[20:21], s[0:1], v30, 36, s[14:15]
	v_lshl_add_u32 v39, s4, 4, v22
	s_mov_b64 s[4:5], 0
	s_movk_i32 s8, 0x6e
	s_movk_i32 s14, 0x48
	;; [unrolled: 1-line block ×3, first 2 shown]
.LBB84_3:                               ; =>This Inner Loop Header: Depth=1
	v_add_u32_e32 v40, v29, v28
	v_pk_mov_b32 v[24:25], s[12:13], s[12:13] op_sel:[0,1]
	v_mad_i64_i32 v[22:23], s[0:1], v39, 36, v[20:21]
	v_mad_i64_i32 v[24:25], s[0:1], v40, s8, v[24:25]
	v_add_co_u32_e32 v40, vcc, s14, v22
	v_addc_co_u32_e32 v41, vcc, 0, v23, vcc
	v_add_co_u32_e32 v42, vcc, s15, v22
	v_addc_co_u32_e32 v43, vcc, 0, v23, vcc
	;; [unrolled: 2-line block ×4, first 2 shown]
	global_load_dword v46, v[44:45], off
	v_add_co_u32_e32 v44, vcc, v24, v2
	v_add_co_u32_e64 v40, s[0:1], v40, v4
	v_addc_co_u32_e32 v45, vcc, 0, v25, vcc
	v_addc_co_u32_e64 v41, s[0:1], v41, v5, s[0:1]
	global_load_dword v47, v[44:45], off offset:32
	global_load_dword v48, v[40:41], off offset:4
	global_load_dword v49, v[42:43], off offset:4
	v_mov_b32_e32 v56, 0
	v_mov_b32_e32 v57, 0
	;; [unrolled: 1-line block ×4, first 2 shown]
	v_add_u32_e32 v28, 4, v28
	v_add_u32_e32 v39, 32, v39
	global_load_dword v58, v[22:23], off offset:108
	s_waitcnt vmcnt(4)
	v_ashrrev_i32_e32 v40, v30, v46
	v_not_b32_e32 v42, v40
	v_and_b32_e32 v43, 0x4040404, v42
	s_waitcnt vmcnt(3)
	v_lshrrev_b32_e32 v40, 4, v47
	v_and_b32_e32 v41, 0x3030303, v40
	v_bfe_u32 v40, v40, 24, 2
	v_sub_u16_sdwa v40, v40, v43 dst_sel:BYTE_1 dst_unused:UNUSED_PAD src0_sel:DWORD src1_sel:BYTE_3
	v_sub_u16_e32 v44, v41, v43
	v_sub_u16_sdwa v45, v41, v43 dst_sel:BYTE_1 dst_unused:UNUSED_PAD src0_sel:BYTE_1 src1_sel:BYTE_1
	v_sub_u16_sdwa v41, v41, v43 dst_sel:DWORD dst_unused:UNUSED_PAD src0_sel:WORD_1 src1_sel:WORD_1
	v_or_b32_sdwa v43, v44, v45 dst_sel:DWORD dst_unused:UNUSED_PAD src0_sel:BYTE_0 src1_sel:DWORD
	v_or_b32_sdwa v40, v41, v40 dst_sel:WORD_1 dst_unused:UNUSED_PAD src0_sel:BYTE_0 src1_sel:DWORD
	v_or_b32_sdwa v40, v43, v40 dst_sel:DWORD dst_unused:UNUSED_PAD src0_sel:WORD_0 src1_sel:DWORD
	s_waitcnt vmcnt(2)
	v_dot4c_i32_i8_e32 v56, v40, v48
	v_add_co_u32_e32 v40, vcc, v22, v4
	v_addc_co_u32_e32 v41, vcc, v23, v5, vcc
	global_load_dword v43, v[40:41], off offset:4
	v_add_co_u32_e32 v40, vcc, 36, v22
	v_addc_co_u32_e32 v41, vcc, 0, v23, vcc
	v_add_co_u32_e32 v40, vcc, v40, v4
	v_addc_co_u32_e32 v41, vcc, v41, v5, vcc
	global_load_dword v40, v[40:41], off offset:4
	v_lshlrev_b32_e32 v41, 2, v42
	v_and_b32_e32 v41, 0x4040404, v41
	v_bfe_u32 v44, v47, 24, 2
	v_and_b32_e32 v45, 0x3030303, v47
	v_sub_u16_sdwa v44, v44, v41 dst_sel:BYTE_1 dst_unused:UNUSED_PAD src0_sel:DWORD src1_sel:BYTE_3
	v_sub_u16_e32 v46, v45, v41
	v_sub_u16_sdwa v48, v45, v41 dst_sel:BYTE_1 dst_unused:UNUSED_PAD src0_sel:BYTE_1 src1_sel:BYTE_1
	v_sub_u16_sdwa v41, v45, v41 dst_sel:DWORD dst_unused:UNUSED_PAD src0_sel:WORD_1 src1_sel:WORD_1
	v_or_b32_sdwa v45, v46, v48 dst_sel:DWORD dst_unused:UNUSED_PAD src0_sel:BYTE_0 src1_sel:DWORD
	v_or_b32_sdwa v41, v41, v44 dst_sel:WORD_1 dst_unused:UNUSED_PAD src0_sel:BYTE_0 src1_sel:DWORD
	v_or_b32_sdwa v41, v45, v41 dst_sel:DWORD dst_unused:UNUSED_PAD src0_sel:WORD_0 src1_sel:DWORD
	v_lshlrev_b32_e32 v44, 1, v42
	v_and_b32_e32 v44, 0x4040404, v44
	v_lshrrev_b32_e32 v42, 1, v42
	v_and_b32_e32 v42, 0x4040404, v42
	s_waitcnt vmcnt(1)
	v_dot4c_i32_i8_e32 v57, v41, v43
	v_lshrrev_b32_e32 v41, 2, v47
	v_and_b32_e32 v43, 0x3030303, v41
	v_bfe_u32 v41, v41, 24, 2
	v_sub_u16_sdwa v41, v41, v44 dst_sel:BYTE_1 dst_unused:UNUSED_PAD src0_sel:DWORD src1_sel:BYTE_3
	v_sub_u16_e32 v45, v43, v44
	v_sub_u16_sdwa v46, v43, v44 dst_sel:BYTE_1 dst_unused:UNUSED_PAD src0_sel:BYTE_1 src1_sel:BYTE_1
	v_sub_u16_sdwa v43, v43, v44 dst_sel:DWORD dst_unused:UNUSED_PAD src0_sel:WORD_1 src1_sel:WORD_1
	v_or_b32_sdwa v44, v45, v46 dst_sel:DWORD dst_unused:UNUSED_PAD src0_sel:BYTE_0 src1_sel:DWORD
	v_or_b32_sdwa v41, v43, v41 dst_sel:WORD_1 dst_unused:UNUSED_PAD src0_sel:BYTE_0 src1_sel:DWORD
	v_or_b32_sdwa v41, v44, v41 dst_sel:DWORD dst_unused:UNUSED_PAD src0_sel:WORD_0 src1_sel:DWORD
	s_waitcnt vmcnt(0)
	v_dot4c_i32_i8_e32 v59, v41, v40
	v_lshrrev_b32_e32 v40, 6, v47
	v_lshrrev_b32_e32 v41, 30, v47
	v_and_b32_e32 v40, 0x3030303, v40
	v_sub_u16_sdwa v41, v41, v42 dst_sel:BYTE_1 dst_unused:UNUSED_PAD src0_sel:DWORD src1_sel:BYTE_3
	v_sub_u16_e32 v43, v40, v42
	v_sub_u16_sdwa v44, v40, v42 dst_sel:BYTE_1 dst_unused:UNUSED_PAD src0_sel:BYTE_1 src1_sel:BYTE_1
	v_sub_u16_sdwa v40, v40, v42 dst_sel:DWORD dst_unused:UNUSED_PAD src0_sel:WORD_1 src1_sel:WORD_1
	v_or_b32_sdwa v42, v43, v44 dst_sel:DWORD dst_unused:UNUSED_PAD src0_sel:BYTE_0 src1_sel:DWORD
	v_or_b32_sdwa v40, v40, v41 dst_sel:WORD_1 dst_unused:UNUSED_PAD src0_sel:BYTE_0 src1_sel:DWORD
	v_or_b32_sdwa v40, v42, v40 dst_sel:DWORD dst_unused:UNUSED_PAD src0_sel:WORD_0 src1_sel:DWORD
	v_dot4c_i32_i8_e32 v60, v40, v49
	v_add_co_u32_e32 v40, vcc, v24, v0
	v_addc_co_u32_e32 v41, vcc, v25, v3, vcc
	v_add_co_u32_e32 v42, vcc, v24, v6
	v_addc_co_u32_e32 v43, vcc, v25, v7, vcc
	;; [unrolled: 2-line block ×8, first 2 shown]
	global_load_ushort v61, v[24:25], off offset:108
	global_load_ubyte v62, v[40:41], off offset:96
	global_load_ubyte v63, v[42:43], off offset:104
                                        ; kill: killed $vgpr40 killed $vgpr41
                                        ; kill: killed $vgpr24 killed $vgpr25
                                        ; kill: killed $vgpr42 killed $vgpr43
	s_nop 0
	global_load_ubyte v24, v[44:45], off offset:96
	global_load_ubyte v25, v[46:47], off offset:104
	;; [unrolled: 1-line block ×6, first 2 shown]
                                        ; kill: killed $vgpr44 killed $vgpr45
                                        ; kill: killed $vgpr48 killed $vgpr49
                                        ; kill: killed $vgpr46 killed $vgpr47
                                        ; kill: killed $vgpr50 killed $vgpr51
                                        ; kill: killed $vgpr52 killed $vgpr53
                                        ; kill: killed $vgpr54 killed $vgpr55
	global_load_dword v44, v[22:23], off
	global_load_dword v45, v[22:23], off offset:36
	global_load_dword v46, v[22:23], off offset:72
	v_cmp_le_u32_e32 vcc, s6, v28
	s_or_b64 s[4:5], vcc, s[4:5]
	s_waitcnt vmcnt(10)
	v_bfe_u32 v22, v62, v31, 4
	s_waitcnt vmcnt(9)
	v_lshrrev_b32_e32 v23, v32, v63
	v_lshlrev_b32_e32 v23, 4, v23
	v_and_or_b32 v22, v23, 48, v22
	v_subrev_u32_e32 v22, 32, v22
	s_waitcnt vmcnt(8)
	v_bfe_u32 v23, v24, v33, 4
	s_waitcnt vmcnt(7)
	v_lshrrev_b32_e32 v24, v34, v25
	v_lshlrev_b32_e32 v24, 4, v24
	s_waitcnt vmcnt(5)
	v_lshrrev_b32_e32 v25, v36, v41
	v_and_or_b32 v23, v24, 48, v23
	v_bfe_u32 v24, v40, v35, 4
	v_lshlrev_b32_e32 v25, 4, v25
	s_waitcnt vmcnt(3)
	v_lshrrev_b32_e32 v40, v38, v43
	v_and_or_b32 v24, v25, 48, v24
	v_bfe_u32 v25, v42, v37, 4
	v_lshlrev_b32_e32 v40, 4, v40
	v_mul_lo_u32 v22, v22, v57
	v_subrev_u32_e32 v23, 32, v23
	v_and_or_b32 v25, v40, 48, v25
	v_subrev_u32_e32 v24, 32, v24
	v_mul_lo_u32 v23, v23, v59
	v_cvt_f32_i32_e32 v22, v22
	v_mul_lo_u32 v24, v24, v56
	v_subrev_u32_e32 v25, 32, v25
	v_cvt_f32_i32_e32 v23, v23
	v_mul_lo_u32 v25, v25, v60
	v_cvt_f32_i32_e32 v24, v24
	v_cvt_f32_i32_e32 v25, v25
	s_waitcnt vmcnt(2)
	v_fma_mix_f32 v22, v44, v22, 0 op_sel_hi:[1,0,0]
	s_waitcnt vmcnt(1)
	v_fma_mix_f32 v22, v45, v23, v22 op_sel_hi:[1,0,0]
	;; [unrolled: 2-line block ×3, first 2 shown]
	v_fma_mix_f32 v22, v58, v25, v22 op_sel_hi:[1,0,0]
	v_fma_mix_f32 v1, v22, v61, v1 op_sel_hi:[0,1,0]
	s_andn2_b64 exec, exec, s[4:5]
	s_cbranch_execnz .LBB84_3
; %bb.4:
	s_or_b64 exec, exec, s[4:5]
.LBB84_5:
	s_or_b64 exec, exec, s[10:11]
	v_mbcnt_lo_u32_b32 v0, -1, 0
	v_mbcnt_hi_u32_b32 v2, -1, v0
	v_and_b32_e32 v0, 64, v2
	v_add_u32_e32 v3, 64, v0
	v_xor_b32_e32 v0, 32, v2
	v_cmp_lt_i32_e32 vcc, v0, v3
	v_cndmask_b32_e32 v0, v2, v0, vcc
	v_lshlrev_b32_e32 v0, 2, v0
	ds_bpermute_b32 v0, v0, v1
	v_xor_b32_e32 v4, 16, v2
	v_cmp_lt_i32_e32 vcc, v4, v3
	s_waitcnt lgkmcnt(0)
	v_add_f32_e32 v0, v1, v0
	v_cndmask_b32_e32 v1, v2, v4, vcc
	v_lshlrev_b32_e32 v1, 2, v1
	ds_bpermute_b32 v1, v1, v0
	v_xor_b32_e32 v4, 8, v2
	v_cmp_lt_i32_e32 vcc, v4, v3
	s_waitcnt lgkmcnt(0)
	v_add_f32_e32 v0, v0, v1
	;; [unrolled: 7-line block ×5, first 2 shown]
	v_cndmask_b32_e32 v1, v2, v4, vcc
	v_lshlrev_b32_e32 v1, 2, v1
	ds_bpermute_b32 v1, v1, v0
	v_cmp_eq_u32_e32 vcc, 0, v27
	s_and_b64 exec, exec, vcc
	s_cbranch_execz .LBB84_7
; %bb.6:
	s_waitcnt lgkmcnt(0)
	v_add_f32_e32 v0, v0, v1
	s_mul_i32 s7, s7, s9
	v_cvt_f16_f32_e32 v2, v0
	v_add_u32_e32 v0, s7, v26
	v_mov_b32_e32 v1, 0
	v_lshlrev_b64 v[0:1], 1, v[0:1]
	v_mov_b32_e32 v3, s3
	v_add_co_u32_e32 v0, vcc, s2, v0
	v_addc_co_u32_e32 v1, vcc, v3, v1, vcc
	global_store_short v[0:1], v2, off
.LBB84_7:
	s_endpgm
	.section	.rodata,"a",@progbits
	.p2align	6, 0x0
	.amdhsa_kernel _ZL13mul_mat_vec_qIN3c104HalfELi256ELi16E10block_q3_KLi1EXadL_ZL17vec_dot_q3_K_q8_1PKvPK10block_q8_1RKiEEEvS4_S4_PT_iii
		.amdhsa_group_segment_fixed_size 0
		.amdhsa_private_segment_fixed_size 0
		.amdhsa_kernarg_size 296
		.amdhsa_user_sgpr_count 6
		.amdhsa_user_sgpr_private_segment_buffer 1
		.amdhsa_user_sgpr_dispatch_ptr 0
		.amdhsa_user_sgpr_queue_ptr 0
		.amdhsa_user_sgpr_kernarg_segment_ptr 1
		.amdhsa_user_sgpr_dispatch_id 0
		.amdhsa_user_sgpr_flat_scratch_init 0
		.amdhsa_user_sgpr_kernarg_preload_length 0
		.amdhsa_user_sgpr_kernarg_preload_offset 0
		.amdhsa_user_sgpr_private_segment_size 0
		.amdhsa_uses_dynamic_stack 0
		.amdhsa_system_sgpr_private_segment_wavefront_offset 0
		.amdhsa_system_sgpr_workgroup_id_x 1
		.amdhsa_system_sgpr_workgroup_id_y 1
		.amdhsa_system_sgpr_workgroup_id_z 0
		.amdhsa_system_sgpr_workgroup_info 0
		.amdhsa_system_vgpr_workitem_id 1
		.amdhsa_next_free_vgpr 64
		.amdhsa_next_free_sgpr 16
		.amdhsa_accum_offset 64
		.amdhsa_reserve_vcc 1
		.amdhsa_reserve_flat_scratch 0
		.amdhsa_float_round_mode_32 0
		.amdhsa_float_round_mode_16_64 0
		.amdhsa_float_denorm_mode_32 3
		.amdhsa_float_denorm_mode_16_64 3
		.amdhsa_dx10_clamp 1
		.amdhsa_ieee_mode 1
		.amdhsa_fp16_overflow 0
		.amdhsa_tg_split 0
		.amdhsa_exception_fp_ieee_invalid_op 0
		.amdhsa_exception_fp_denorm_src 0
		.amdhsa_exception_fp_ieee_div_zero 0
		.amdhsa_exception_fp_ieee_overflow 0
		.amdhsa_exception_fp_ieee_underflow 0
		.amdhsa_exception_fp_ieee_inexact 0
		.amdhsa_exception_int_div_zero 0
	.end_amdhsa_kernel
	.section	.text._ZL13mul_mat_vec_qIN3c104HalfELi256ELi16E10block_q3_KLi1EXadL_ZL17vec_dot_q3_K_q8_1PKvPK10block_q8_1RKiEEEvS4_S4_PT_iii,"axG",@progbits,_ZL13mul_mat_vec_qIN3c104HalfELi256ELi16E10block_q3_KLi1EXadL_ZL17vec_dot_q3_K_q8_1PKvPK10block_q8_1RKiEEEvS4_S4_PT_iii,comdat
.Lfunc_end84:
	.size	_ZL13mul_mat_vec_qIN3c104HalfELi256ELi16E10block_q3_KLi1EXadL_ZL17vec_dot_q3_K_q8_1PKvPK10block_q8_1RKiEEEvS4_S4_PT_iii, .Lfunc_end84-_ZL13mul_mat_vec_qIN3c104HalfELi256ELi16E10block_q3_KLi1EXadL_ZL17vec_dot_q3_K_q8_1PKvPK10block_q8_1RKiEEEvS4_S4_PT_iii
                                        ; -- End function
	.section	.AMDGPU.csdata,"",@progbits
; Kernel info:
; codeLenInByte = 2000
; NumSgprs: 20
; NumVgprs: 64
; NumAgprs: 0
; TotalNumVgprs: 64
; ScratchSize: 0
; MemoryBound: 0
; FloatMode: 240
; IeeeMode: 1
; LDSByteSize: 0 bytes/workgroup (compile time only)
; SGPRBlocks: 2
; VGPRBlocks: 7
; NumSGPRsForWavesPerEU: 20
; NumVGPRsForWavesPerEU: 64
; AccumOffset: 64
; Occupancy: 8
; WaveLimiterHint : 0
; COMPUTE_PGM_RSRC2:SCRATCH_EN: 0
; COMPUTE_PGM_RSRC2:USER_SGPR: 6
; COMPUTE_PGM_RSRC2:TRAP_HANDLER: 0
; COMPUTE_PGM_RSRC2:TGID_X_EN: 1
; COMPUTE_PGM_RSRC2:TGID_Y_EN: 1
; COMPUTE_PGM_RSRC2:TGID_Z_EN: 0
; COMPUTE_PGM_RSRC2:TIDIG_COMP_CNT: 1
; COMPUTE_PGM_RSRC3_GFX90A:ACCUM_OFFSET: 15
; COMPUTE_PGM_RSRC3_GFX90A:TG_SPLIT: 0
	.section	.text._ZL13mul_mat_vec_qIN3c104HalfELi256ELi32E10block_q4_KLi2EXadL_ZL17vec_dot_q4_K_q8_1PKvPK10block_q8_1RKiEEEvS4_S4_PT_iii,"axG",@progbits,_ZL13mul_mat_vec_qIN3c104HalfELi256ELi32E10block_q4_KLi2EXadL_ZL17vec_dot_q4_K_q8_1PKvPK10block_q8_1RKiEEEvS4_S4_PT_iii,comdat
	.globl	_ZL13mul_mat_vec_qIN3c104HalfELi256ELi32E10block_q4_KLi2EXadL_ZL17vec_dot_q4_K_q8_1PKvPK10block_q8_1RKiEEEvS4_S4_PT_iii ; -- Begin function _ZL13mul_mat_vec_qIN3c104HalfELi256ELi32E10block_q4_KLi2EXadL_ZL17vec_dot_q4_K_q8_1PKvPK10block_q8_1RKiEEEvS4_S4_PT_iii
	.p2align	8
	.type	_ZL13mul_mat_vec_qIN3c104HalfELi256ELi32E10block_q4_KLi2EXadL_ZL17vec_dot_q4_K_q8_1PKvPK10block_q8_1RKiEEEvS4_S4_PT_iii,@function
_ZL13mul_mat_vec_qIN3c104HalfELi256ELi32E10block_q4_KLi2EXadL_ZL17vec_dot_q4_K_q8_1PKvPK10block_q8_1RKiEEEvS4_S4_PT_iii: ; @_ZL13mul_mat_vec_qIN3c104HalfELi256ELi32E10block_q4_KLi2EXadL_ZL17vec_dot_q4_K_q8_1PKvPK10block_q8_1RKiEEEvS4_S4_PT_iii
; %bb.0:
	s_load_dword s0, s[4:5], 0x34
	s_load_dwordx4 s[8:11], s[4:5], 0x18
	v_bfe_u32 v1, v0, 10, 10
	s_waitcnt lgkmcnt(0)
	s_lshr_b32 s0, s0, 16
	s_mul_i32 s6, s6, s0
	v_add_u32_e32 v1, s6, v1
	s_cmp_lt_u32 s7, s10
	v_cmp_gt_u32_e32 vcc, s9, v1
	s_cselect_b64 s[0:1], -1, 0
	s_and_b64 s[0:1], s[0:1], vcc
	s_and_saveexec_b64 s[2:3], s[0:1]
	s_cbranch_execz .LBB85_11
; %bb.1:
	s_load_dwordx2 s[2:3], s[4:5], 0x10
	s_ashr_i32 s0, s8, 31
	s_lshr_b32 s0, s0, 24
	s_add_i32 s0, s8, s0
	v_and_b32_e32 v3, 0x3ff, v0
	s_ashr_i32 s6, s0, 8
	v_lshrrev_b32_e32 v13, 4, v3
	v_cmp_gt_u32_e32 vcc, s6, v13
	v_mov_b32_e32 v12, 0
	s_and_saveexec_b64 s[10:11], vcc
	s_cbranch_execz .LBB85_9
; %bb.2:
	s_add_i32 s0, s8, 0x1ff
	s_load_dwordx4 s[12:15], s[4:5], 0x0
	s_ashr_i32 s1, s0, 31
	s_lshr_b32 s1, s1, 23
	s_add_i32 s0, s0, s1
	v_lshlrev_b32_e32 v0, 1, v3
	s_ashr_i32 s0, s0, 9
	v_and_b32_e32 v4, 30, v0
	v_bfe_u32 v8, v0, 3, 2
	s_mul_i32 s4, s7, s0
	v_and_b32_e32 v10, 3, v3
	v_cmp_lt_u32_e32 vcc, 15, v4
	v_lshlrev_b32_e32 v4, 1, v8
	v_lshlrev_b32_e32 v6, 3, v13
	v_mul_lo_u32 v14, v1, s6
	v_lshlrev_b32_e32 v0, 5, v8
	v_mov_b32_e32 v12, 0
	v_lshlrev_b32_e32 v2, 2, v10
	s_waitcnt lgkmcnt(0)
	v_mad_u64_u32 v[4:5], s[0:1], v4, 36, s[14:15]
	v_lshl_add_u32 v15, s4, 4, v6
	s_mov_b64 s[4:5], 0
	s_movk_i32 s8, 0x90
	v_pk_mov_b32 v[6:7], s[12:13], s[12:13] op_sel:[0,1]
	v_lshlrev_b32_e32 v16, 1, v8
	s_mov_b32 s12, 0x5040100
	s_mov_b32 s13, 0x30303030
	v_lshlrev_b32_e32 v17, 2, v10
	s_branch .LBB85_4
.LBB85_3:                               ;   in Loop: Header=BB85_4 Depth=1
	s_or_b64 exec, exec, s[0:1]
	v_mad_i64_i32 v[10:11], s[0:1], v15, 36, v[4:5]
	v_add_co_u32_e64 v22, s[0:1], v10, v17
	global_load_dword v21, v[10:11], off
	v_addc_co_u32_e64 v23, s[0:1], 0, v11, s[0:1]
	global_load_dword v24, v[8:9], off
	global_load_dword v25, v[22:23], off offset:20
	global_load_dword v26, v[22:23], off offset:40
	;; [unrolled: 1-line block ×5, first 2 shown]
	s_waitcnt vmcnt(8)
	v_and_b32_e32 v11, 0xf0f0f0f, v19
	v_mov_b32_e32 v23, 0
	v_mov_b32_e32 v30, 0
	v_lshrrev_b32_e32 v10, 4, v19
	v_pk_lshrrev_b16 v8, 8, v20 op_sel_hi:[0,1]
	s_waitcnt vmcnt(7)
	v_and_b32_e32 v22, 0xf0f0f0f, v18
	v_and_b32_e32 v9, 0xff00ff, v20
	v_lshrrev_b32_e32 v18, 4, v18
	v_mov_b32_e32 v19, 0
	v_mov_b32_e32 v20, 0
	v_and_b32_e32 v31, 0xf0f0f0f, v10
	v_and_b32_e32 v32, 0xf0f0f0f, v18
	v_lshrrev_b32_e32 v34, 16, v9
	v_and_b32_e32 v35, 0xff, v9
	v_lshrrev_b32_e32 v33, 16, v8
	v_and_b32_e32 v8, 0xff, v8
	v_add_u32_e32 v13, 4, v13
	v_cmp_le_u32_e64 s[0:1], s6, v13
	s_or_b64 s[4:5], s[0:1], s[4:5]
	v_add_u32_e32 v15, 32, v15
	s_waitcnt vmcnt(5)
	v_cvt_f32_f16_sdwa v9, v24 dst_sel:DWORD dst_unused:UNUSED_PAD src0_sel:WORD_1
	s_waitcnt vmcnt(3)
	v_dot4c_i32_i8_e32 v19, v31, v26
	v_dot4c_i32_i8_e32 v20, 0x1010101, v26
	v_cvt_f32_f16_e32 v10, v21
	s_waitcnt vmcnt(0)
	v_dot4c_i32_i8_e32 v23, v11, v29
	v_dot4c_i32_i8_e32 v30, 0x1010101, v29
	;; [unrolled: 1-line block ×6, first 2 shown]
	v_mul_lo_u32 v11, v23, v35
	v_mul_lo_u32 v21, v30, v34
	v_mul_lo_u32 v8, v19, v8
	v_mul_lo_u32 v19, v20, v33
	v_cvt_f32_i32_e32 v21, v21
	v_cvt_f32_i32_e32 v20, v11
	v_cvt_f32_f16_e32 v18, v28
	v_cvt_f32_i32_e32 v23, v19
	v_cvt_f32_i32_e32 v22, v8
	v_cvt_f32_f16_e32 v8, v24
	v_pk_fma_f32 v[10:11], v[10:11], v[20:21], 0 op_sel_hi:[0,1,0]
	v_pk_fma_f32 v[10:11], v[18:19], v[22:23], v[10:11] op_sel_hi:[0,1,1]
	v_pk_mul_f32 v[8:9], v[10:11], v[8:9]
	v_sub_f32_e32 v8, v8, v9
	v_add_f32_e32 v12, v12, v8
	s_andn2_b64 exec, exec, s[4:5]
	s_cbranch_execz .LBB85_8
.LBB85_4:                               ; =>This Inner Loop Header: Depth=1
	v_add_u32_e32 v8, v14, v13
	v_mad_i64_i32 v[8:9], s[0:1], v8, s8, v[6:7]
	v_add_co_u32_e64 v10, s[0:1], v8, v0
	v_addc_co_u32_e64 v11, s[0:1], 0, v9, s[0:1]
	v_add_co_u32_e64 v10, s[0:1], v10, v2
	v_addc_co_u32_e64 v11, s[0:1], 0, v11, s[0:1]
	global_load_dword v19, v[10:11], off offset:16
	global_load_dword v18, v[10:11], off offset:32
	v_add_co_u32_e64 v10, s[0:1], v8, v16
	v_addc_co_u32_e64 v11, s[0:1], 0, v9, s[0:1]
                                        ; implicit-def: $vgpr20
	s_and_saveexec_b64 s[0:1], vcc
	s_xor_b64 s[0:1], exec, s[0:1]
	s_cbranch_execz .LBB85_6
; %bb.5:                                ;   in Loop: Header=BB85_4 Depth=1
	global_load_ushort v20, v[10:11], off
	global_load_ushort v21, v[10:11], off offset:8
	global_load_ushort v22, v[10:11], off offset:4
	s_waitcnt vmcnt(1)
	v_lshrrev_b16_e32 v10, 4, v21
	s_waitcnt vmcnt(0)
	v_perm_b32 v11, v22, v20, s12
	v_perm_b32 v10, v10, v21, s12
	v_and_b32_e32 v10, 0xf0f0f0f, v10
	v_pk_lshrrev_b16 v11, 2, v11 op_sel_hi:[0,1]
	v_and_or_b32 v20, v11, s13, v10
                                        ; implicit-def: $vgpr10_vgpr11
.LBB85_6:                               ;   in Loop: Header=BB85_4 Depth=1
	s_andn2_saveexec_b64 s[0:1], s[0:1]
	s_cbranch_execz .LBB85_3
; %bb.7:                                ;   in Loop: Header=BB85_4 Depth=1
	global_load_ushort v20, v[10:11], off offset:4
	global_load_ushort v21, v[10:11], off offset:8
	s_waitcnt vmcnt(0)
	v_perm_b32 v10, v21, v20, s12
	v_and_b32_e32 v20, 0x3f3f3f3f, v10
	s_branch .LBB85_3
.LBB85_8:
	s_or_b64 exec, exec, s[4:5]
.LBB85_9:
	s_or_b64 exec, exec, s[10:11]
	v_mbcnt_lo_u32_b32 v0, -1, 0
	v_mbcnt_hi_u32_b32 v2, -1, v0
	v_and_b32_e32 v0, 64, v2
	v_add_u32_e32 v4, 64, v0
	v_xor_b32_e32 v0, 32, v2
	v_cmp_lt_i32_e32 vcc, v0, v4
	v_cndmask_b32_e32 v0, v2, v0, vcc
	v_lshlrev_b32_e32 v0, 2, v0
	ds_bpermute_b32 v0, v0, v12
	v_xor_b32_e32 v5, 16, v2
	v_cmp_lt_i32_e32 vcc, v5, v4
	v_cndmask_b32_e32 v5, v2, v5, vcc
	v_lshlrev_b32_e32 v5, 2, v5
	s_waitcnt lgkmcnt(0)
	v_add_f32_e32 v0, v12, v0
	ds_bpermute_b32 v5, v5, v0
	v_xor_b32_e32 v6, 8, v2
	v_cmp_lt_i32_e32 vcc, v6, v4
	s_waitcnt lgkmcnt(0)
	v_add_f32_e32 v0, v0, v5
	v_cndmask_b32_e32 v5, v2, v6, vcc
	v_lshlrev_b32_e32 v5, 2, v5
	ds_bpermute_b32 v5, v5, v0
	v_xor_b32_e32 v6, 4, v2
	v_cmp_lt_i32_e32 vcc, v6, v4
	s_waitcnt lgkmcnt(0)
	v_add_f32_e32 v0, v0, v5
	v_cndmask_b32_e32 v5, v2, v6, vcc
	v_lshlrev_b32_e32 v5, 2, v5
	;; [unrolled: 7-line block ×3, first 2 shown]
	ds_bpermute_b32 v5, v5, v0
	v_xor_b32_e32 v6, 1, v2
	v_cmp_lt_i32_e32 vcc, v6, v4
	v_cndmask_b32_e32 v2, v2, v6, vcc
	v_lshlrev_b32_e32 v2, 2, v2
	s_waitcnt lgkmcnt(0)
	v_add_f32_e32 v0, v0, v5
	ds_bpermute_b32 v2, v2, v0
	v_cmp_eq_u32_e32 vcc, 0, v3
	s_and_b64 exec, exec, vcc
	s_cbranch_execz .LBB85_11
; %bb.10:
	s_waitcnt lgkmcnt(0)
	v_add_f32_e32 v0, v0, v2
	s_mul_i32 s7, s7, s9
	v_cvt_f16_f32_e32 v2, v0
	v_add_u32_e32 v0, s7, v1
	v_mov_b32_e32 v1, 0
	v_lshlrev_b64 v[0:1], 1, v[0:1]
	v_mov_b32_e32 v3, s3
	v_add_co_u32_e32 v0, vcc, s2, v0
	v_addc_co_u32_e32 v1, vcc, v3, v1, vcc
	global_store_short v[0:1], v2, off
.LBB85_11:
	s_endpgm
	.section	.rodata,"a",@progbits
	.p2align	6, 0x0
	.amdhsa_kernel _ZL13mul_mat_vec_qIN3c104HalfELi256ELi32E10block_q4_KLi2EXadL_ZL17vec_dot_q4_K_q8_1PKvPK10block_q8_1RKiEEEvS4_S4_PT_iii
		.amdhsa_group_segment_fixed_size 0
		.amdhsa_private_segment_fixed_size 0
		.amdhsa_kernarg_size 296
		.amdhsa_user_sgpr_count 6
		.amdhsa_user_sgpr_private_segment_buffer 1
		.amdhsa_user_sgpr_dispatch_ptr 0
		.amdhsa_user_sgpr_queue_ptr 0
		.amdhsa_user_sgpr_kernarg_segment_ptr 1
		.amdhsa_user_sgpr_dispatch_id 0
		.amdhsa_user_sgpr_flat_scratch_init 0
		.amdhsa_user_sgpr_kernarg_preload_length 0
		.amdhsa_user_sgpr_kernarg_preload_offset 0
		.amdhsa_user_sgpr_private_segment_size 0
		.amdhsa_uses_dynamic_stack 0
		.amdhsa_system_sgpr_private_segment_wavefront_offset 0
		.amdhsa_system_sgpr_workgroup_id_x 1
		.amdhsa_system_sgpr_workgroup_id_y 1
		.amdhsa_system_sgpr_workgroup_id_z 0
		.amdhsa_system_sgpr_workgroup_info 0
		.amdhsa_system_vgpr_workitem_id 1
		.amdhsa_next_free_vgpr 36
		.amdhsa_next_free_sgpr 16
		.amdhsa_accum_offset 36
		.amdhsa_reserve_vcc 1
		.amdhsa_reserve_flat_scratch 0
		.amdhsa_float_round_mode_32 0
		.amdhsa_float_round_mode_16_64 0
		.amdhsa_float_denorm_mode_32 3
		.amdhsa_float_denorm_mode_16_64 3
		.amdhsa_dx10_clamp 1
		.amdhsa_ieee_mode 1
		.amdhsa_fp16_overflow 0
		.amdhsa_tg_split 0
		.amdhsa_exception_fp_ieee_invalid_op 0
		.amdhsa_exception_fp_denorm_src 0
		.amdhsa_exception_fp_ieee_div_zero 0
		.amdhsa_exception_fp_ieee_overflow 0
		.amdhsa_exception_fp_ieee_underflow 0
		.amdhsa_exception_fp_ieee_inexact 0
		.amdhsa_exception_int_div_zero 0
	.end_amdhsa_kernel
	.section	.text._ZL13mul_mat_vec_qIN3c104HalfELi256ELi32E10block_q4_KLi2EXadL_ZL17vec_dot_q4_K_q8_1PKvPK10block_q8_1RKiEEEvS4_S4_PT_iii,"axG",@progbits,_ZL13mul_mat_vec_qIN3c104HalfELi256ELi32E10block_q4_KLi2EXadL_ZL17vec_dot_q4_K_q8_1PKvPK10block_q8_1RKiEEEvS4_S4_PT_iii,comdat
.Lfunc_end85:
	.size	_ZL13mul_mat_vec_qIN3c104HalfELi256ELi32E10block_q4_KLi2EXadL_ZL17vec_dot_q4_K_q8_1PKvPK10block_q8_1RKiEEEvS4_S4_PT_iii, .Lfunc_end85-_ZL13mul_mat_vec_qIN3c104HalfELi256ELi32E10block_q4_KLi2EXadL_ZL17vec_dot_q4_K_q8_1PKvPK10block_q8_1RKiEEEvS4_S4_PT_iii
                                        ; -- End function
	.section	.AMDGPU.csdata,"",@progbits
; Kernel info:
; codeLenInByte = 1140
; NumSgprs: 20
; NumVgprs: 36
; NumAgprs: 0
; TotalNumVgprs: 36
; ScratchSize: 0
; MemoryBound: 0
; FloatMode: 240
; IeeeMode: 1
; LDSByteSize: 0 bytes/workgroup (compile time only)
; SGPRBlocks: 2
; VGPRBlocks: 4
; NumSGPRsForWavesPerEU: 20
; NumVGPRsForWavesPerEU: 36
; AccumOffset: 36
; Occupancy: 8
; WaveLimiterHint : 0
; COMPUTE_PGM_RSRC2:SCRATCH_EN: 0
; COMPUTE_PGM_RSRC2:USER_SGPR: 6
; COMPUTE_PGM_RSRC2:TRAP_HANDLER: 0
; COMPUTE_PGM_RSRC2:TGID_X_EN: 1
; COMPUTE_PGM_RSRC2:TGID_Y_EN: 1
; COMPUTE_PGM_RSRC2:TGID_Z_EN: 0
; COMPUTE_PGM_RSRC2:TIDIG_COMP_CNT: 1
; COMPUTE_PGM_RSRC3_GFX90A:ACCUM_OFFSET: 8
; COMPUTE_PGM_RSRC3_GFX90A:TG_SPLIT: 0
	.section	.text._ZL13mul_mat_vec_qIN3c104HalfELi256ELi32E10block_q5_KLi2EXadL_ZL17vec_dot_q5_K_q8_1PKvPK10block_q8_1RKiEEEvS4_S4_PT_iii,"axG",@progbits,_ZL13mul_mat_vec_qIN3c104HalfELi256ELi32E10block_q5_KLi2EXadL_ZL17vec_dot_q5_K_q8_1PKvPK10block_q8_1RKiEEEvS4_S4_PT_iii,comdat
	.globl	_ZL13mul_mat_vec_qIN3c104HalfELi256ELi32E10block_q5_KLi2EXadL_ZL17vec_dot_q5_K_q8_1PKvPK10block_q8_1RKiEEEvS4_S4_PT_iii ; -- Begin function _ZL13mul_mat_vec_qIN3c104HalfELi256ELi32E10block_q5_KLi2EXadL_ZL17vec_dot_q5_K_q8_1PKvPK10block_q8_1RKiEEEvS4_S4_PT_iii
	.p2align	8
	.type	_ZL13mul_mat_vec_qIN3c104HalfELi256ELi32E10block_q5_KLi2EXadL_ZL17vec_dot_q5_K_q8_1PKvPK10block_q8_1RKiEEEvS4_S4_PT_iii,@function
_ZL13mul_mat_vec_qIN3c104HalfELi256ELi32E10block_q5_KLi2EXadL_ZL17vec_dot_q5_K_q8_1PKvPK10block_q8_1RKiEEEvS4_S4_PT_iii: ; @_ZL13mul_mat_vec_qIN3c104HalfELi256ELi32E10block_q5_KLi2EXadL_ZL17vec_dot_q5_K_q8_1PKvPK10block_q8_1RKiEEEvS4_S4_PT_iii
; %bb.0:
	s_load_dword s0, s[4:5], 0x34
	s_load_dwordx4 s[8:11], s[4:5], 0x18
	v_bfe_u32 v1, v0, 10, 10
	s_waitcnt lgkmcnt(0)
	s_lshr_b32 s0, s0, 16
	s_mul_i32 s6, s6, s0
	v_add_u32_e32 v1, s6, v1
	s_cmp_lt_u32 s7, s10
	v_cmp_gt_u32_e32 vcc, s9, v1
	s_cselect_b64 s[0:1], -1, 0
	s_and_b64 s[0:1], s[0:1], vcc
	s_and_saveexec_b64 s[2:3], s[0:1]
	s_cbranch_execz .LBB86_11
; %bb.1:
	s_load_dwordx2 s[2:3], s[4:5], 0x10
	s_ashr_i32 s0, s8, 31
	s_lshr_b32 s0, s0, 24
	s_add_i32 s0, s8, s0
	v_and_b32_e32 v3, 0x3ff, v0
	s_ashr_i32 s6, s0, 8
	v_lshrrev_b32_e32 v13, 4, v3
	v_cmp_gt_u32_e32 vcc, s6, v13
	v_mov_b32_e32 v12, 0
	s_and_saveexec_b64 s[10:11], vcc
	s_cbranch_execz .LBB86_9
; %bb.2:
	s_add_i32 s0, s8, 0x1ff
	s_load_dwordx4 s[12:15], s[4:5], 0x0
	s_ashr_i32 s1, s0, 31
	s_lshr_b32 s1, s1, 23
	s_add_i32 s0, s0, s1
	v_lshlrev_b32_e32 v0, 1, v3
	s_ashr_i32 s0, s0, 9
	v_bfe_u32 v8, v0, 3, 2
	s_mul_i32 s4, s7, s0
	v_and_b32_e32 v4, 30, v0
	v_and_b32_e32 v10, 3, v3
	v_lshlrev_b32_e32 v15, 1, v8
	v_lshlrev_b32_e32 v6, 3, v13
	v_mul_lo_u32 v14, v1, s6
	v_lshlrev_b32_e32 v0, 5, v8
	v_mov_b32_e32 v12, 0
	v_lshlrev_b32_e32 v2, 2, v10
	v_cmp_lt_u32_e32 vcc, 15, v4
	s_waitcnt lgkmcnt(0)
	v_mad_u64_u32 v[4:5], s[0:1], v15, 36, s[14:15]
	v_lshl_add_u32 v16, s4, 4, v6
	s_mov_b64 s[4:5], 0
	s_movk_i32 s8, 0xb0
	v_pk_mov_b32 v[6:7], s[12:13], s[12:13] op_sel:[0,1]
	v_lshlrev_b32_e32 v17, 1, v8
	s_mov_b32 s12, 0x5040100
	s_mov_b32 s13, 0x30303030
	v_lshlrev_b32_e32 v18, 2, v10
	s_mov_b32 s14, 0x10101010
	s_branch .LBB86_4
.LBB86_3:                               ;   in Loop: Header=BB86_4 Depth=1
	s_or_b64 exec, exec, s[0:1]
	v_mad_i64_i32 v[10:11], s[0:1], v16, 36, v[4:5]
	v_add_co_u32_e64 v24, s[0:1], v10, v18
	global_load_dword v26, v[10:11], off
	v_addc_co_u32_e64 v25, s[0:1], 0, v11, s[0:1]
	global_load_dword v27, v[8:9], off
	global_load_dword v28, v[24:25], off offset:20
	global_load_dword v29, v[24:25], off offset:40
	;; [unrolled: 1-line block ×5, first 2 shown]
	s_waitcnt vmcnt(7)
	v_ashrrev_i32_e32 v9, v15, v22
	v_ashrrev_i32_e32 v10, v15, v21
	v_and_b32_e32 v21, 0xf0f0f0f, v19
	v_lshrrev_b32_e32 v19, 4, v19
	v_lshlrev_b32_e32 v35, 4, v9
	v_and_b32_e32 v11, 0xf0f0f0f, v20
	v_mov_b32_e32 v22, 0
	v_mov_b32_e32 v24, 0
	v_lshrrev_b32_e32 v20, 4, v20
	v_lshlrev_b32_e32 v34, 4, v10
	v_and_b32_e32 v19, 0xf0f0f0f, v19
	v_lshlrev_b32_e32 v9, 3, v9
	v_and_or_b32 v21, v35, s14, v21
	v_pk_lshrrev_b16 v8, 8, v23 op_sel_hi:[0,1]
	v_and_b32_e32 v23, 0xff00ff, v23
	v_mov_b32_e32 v25, 0
	v_mov_b32_e32 v33, 0
	v_and_b32_e32 v20, 0xf0f0f0f, v20
	v_lshlrev_b32_e32 v10, 3, v10
	v_and_or_b32 v11, v34, s14, v11
	v_and_or_b32 v19, v9, s14, v19
	v_lshrrev_b32_e32 v37, 16, v23
	v_and_b32_e32 v23, 0xff, v23
	v_and_or_b32 v34, v10, s14, v20
	v_lshrrev_b32_e32 v36, 16, v8
	v_and_b32_e32 v8, 0xff, v8
	v_add_u32_e32 v13, 4, v13
	v_cmp_le_u32_e64 s[0:1], s6, v13
	s_or_b64 s[4:5], s[0:1], s[4:5]
	v_add_u32_e32 v16, 32, v16
	s_waitcnt vmcnt(5)
	v_cvt_f32_f16_sdwa v9, v27 dst_sel:DWORD dst_unused:UNUSED_PAD src0_sel:WORD_1
	s_waitcnt vmcnt(4)
	v_dot4c_i32_i8_e32 v22, v21, v28
	v_dot4c_i32_i8_e32 v24, 0x1010101, v28
	s_waitcnt vmcnt(2)
	v_dot4c_i32_i8_e32 v25, v19, v30
	v_dot4c_i32_i8_e32 v33, 0x1010101, v30
	;; [unrolled: 3-line block ×3, first 2 shown]
	v_dot4c_i32_i8_e32 v25, v34, v29
	v_dot4c_i32_i8_e32 v33, 0x1010101, v29
	v_mul_lo_u32 v11, v22, v23
	v_mul_lo_u32 v19, v24, v37
	v_cvt_f32_f16_e32 v10, v26
	v_mul_lo_u32 v8, v25, v8
	v_mul_lo_u32 v21, v33, v36
	v_cvt_f32_i32_e32 v23, v19
	v_cvt_f32_i32_e32 v22, v11
	v_cvt_f32_f16_e32 v20, v31
	v_cvt_f32_i32_e32 v25, v21
	v_cvt_f32_i32_e32 v24, v8
	v_cvt_f32_f16_e32 v8, v27
	v_pk_fma_f32 v[10:11], v[10:11], v[22:23], 0 op_sel_hi:[0,1,0]
	v_pk_fma_f32 v[10:11], v[20:21], v[24:25], v[10:11] op_sel_hi:[0,1,1]
	v_pk_mul_f32 v[8:9], v[10:11], v[8:9]
	v_sub_f32_e32 v8, v8, v9
	v_add_f32_e32 v12, v12, v8
	s_andn2_b64 exec, exec, s[4:5]
	s_cbranch_execz .LBB86_8
.LBB86_4:                               ; =>This Inner Loop Header: Depth=1
	v_add_u32_e32 v8, v14, v13
	v_mad_i64_i32 v[8:9], s[0:1], v8, s8, v[6:7]
	v_add_co_u32_e64 v10, s[0:1], v8, v2
	v_addc_co_u32_e64 v11, s[0:1], 0, v9, s[0:1]
	v_add_co_u32_e64 v24, s[0:1], v10, v0
	v_addc_co_u32_e64 v25, s[0:1], 0, v11, s[0:1]
	global_load_dword v19, v[24:25], off offset:64
	global_load_dword v21, v[10:11], off offset:16
	;; [unrolled: 1-line block ×4, first 2 shown]
	v_add_co_u32_e64 v10, s[0:1], v8, v17
	v_addc_co_u32_e64 v11, s[0:1], 0, v9, s[0:1]
                                        ; implicit-def: $vgpr23
	s_and_saveexec_b64 s[0:1], vcc
	s_xor_b64 s[0:1], exec, s[0:1]
	s_cbranch_execz .LBB86_6
; %bb.5:                                ;   in Loop: Header=BB86_4 Depth=1
	global_load_ushort v23, v[10:11], off
	global_load_ushort v24, v[10:11], off offset:8
	global_load_ushort v25, v[10:11], off offset:4
	s_waitcnt vmcnt(1)
	v_lshrrev_b16_e32 v10, 4, v24
	s_waitcnt vmcnt(0)
	v_perm_b32 v11, v25, v23, s12
	v_perm_b32 v10, v10, v24, s12
	v_and_b32_e32 v10, 0xf0f0f0f, v10
	v_pk_lshrrev_b16 v11, 2, v11 op_sel_hi:[0,1]
	v_and_or_b32 v23, v11, s13, v10
                                        ; implicit-def: $vgpr10_vgpr11
.LBB86_6:                               ;   in Loop: Header=BB86_4 Depth=1
	s_andn2_saveexec_b64 s[0:1], s[0:1]
	s_cbranch_execz .LBB86_3
; %bb.7:                                ;   in Loop: Header=BB86_4 Depth=1
	global_load_ushort v23, v[10:11], off offset:4
	global_load_ushort v24, v[10:11], off offset:8
	s_waitcnt vmcnt(0)
	v_perm_b32 v10, v24, v23, s12
	v_and_b32_e32 v23, 0x3f3f3f3f, v10
	s_branch .LBB86_3
.LBB86_8:
	s_or_b64 exec, exec, s[4:5]
.LBB86_9:
	s_or_b64 exec, exec, s[10:11]
	v_mbcnt_lo_u32_b32 v0, -1, 0
	v_mbcnt_hi_u32_b32 v2, -1, v0
	v_and_b32_e32 v0, 64, v2
	v_add_u32_e32 v4, 64, v0
	v_xor_b32_e32 v0, 32, v2
	v_cmp_lt_i32_e32 vcc, v0, v4
	v_cndmask_b32_e32 v0, v2, v0, vcc
	v_lshlrev_b32_e32 v0, 2, v0
	ds_bpermute_b32 v0, v0, v12
	v_xor_b32_e32 v5, 16, v2
	v_cmp_lt_i32_e32 vcc, v5, v4
	v_cndmask_b32_e32 v5, v2, v5, vcc
	v_lshlrev_b32_e32 v5, 2, v5
	s_waitcnt lgkmcnt(0)
	v_add_f32_e32 v0, v12, v0
	ds_bpermute_b32 v5, v5, v0
	v_xor_b32_e32 v6, 8, v2
	v_cmp_lt_i32_e32 vcc, v6, v4
	s_waitcnt lgkmcnt(0)
	v_add_f32_e32 v0, v0, v5
	v_cndmask_b32_e32 v5, v2, v6, vcc
	v_lshlrev_b32_e32 v5, 2, v5
	ds_bpermute_b32 v5, v5, v0
	v_xor_b32_e32 v6, 4, v2
	v_cmp_lt_i32_e32 vcc, v6, v4
	s_waitcnt lgkmcnt(0)
	v_add_f32_e32 v0, v0, v5
	v_cndmask_b32_e32 v5, v2, v6, vcc
	v_lshlrev_b32_e32 v5, 2, v5
	;; [unrolled: 7-line block ×3, first 2 shown]
	ds_bpermute_b32 v5, v5, v0
	v_xor_b32_e32 v6, 1, v2
	v_cmp_lt_i32_e32 vcc, v6, v4
	v_cndmask_b32_e32 v2, v2, v6, vcc
	v_lshlrev_b32_e32 v2, 2, v2
	s_waitcnt lgkmcnt(0)
	v_add_f32_e32 v0, v0, v5
	ds_bpermute_b32 v2, v2, v0
	v_cmp_eq_u32_e32 vcc, 0, v3
	s_and_b64 exec, exec, vcc
	s_cbranch_execz .LBB86_11
; %bb.10:
	s_waitcnt lgkmcnt(0)
	v_add_f32_e32 v0, v0, v2
	s_mul_i32 s7, s7, s9
	v_cvt_f16_f32_e32 v2, v0
	v_add_u32_e32 v0, s7, v1
	v_mov_b32_e32 v1, 0
	v_lshlrev_b64 v[0:1], 1, v[0:1]
	v_mov_b32_e32 v3, s3
	v_add_co_u32_e32 v0, vcc, s2, v0
	v_addc_co_u32_e32 v1, vcc, v3, v1, vcc
	global_store_short v[0:1], v2, off
.LBB86_11:
	s_endpgm
	.section	.rodata,"a",@progbits
	.p2align	6, 0x0
	.amdhsa_kernel _ZL13mul_mat_vec_qIN3c104HalfELi256ELi32E10block_q5_KLi2EXadL_ZL17vec_dot_q5_K_q8_1PKvPK10block_q8_1RKiEEEvS4_S4_PT_iii
		.amdhsa_group_segment_fixed_size 0
		.amdhsa_private_segment_fixed_size 0
		.amdhsa_kernarg_size 296
		.amdhsa_user_sgpr_count 6
		.amdhsa_user_sgpr_private_segment_buffer 1
		.amdhsa_user_sgpr_dispatch_ptr 0
		.amdhsa_user_sgpr_queue_ptr 0
		.amdhsa_user_sgpr_kernarg_segment_ptr 1
		.amdhsa_user_sgpr_dispatch_id 0
		.amdhsa_user_sgpr_flat_scratch_init 0
		.amdhsa_user_sgpr_kernarg_preload_length 0
		.amdhsa_user_sgpr_kernarg_preload_offset 0
		.amdhsa_user_sgpr_private_segment_size 0
		.amdhsa_uses_dynamic_stack 0
		.amdhsa_system_sgpr_private_segment_wavefront_offset 0
		.amdhsa_system_sgpr_workgroup_id_x 1
		.amdhsa_system_sgpr_workgroup_id_y 1
		.amdhsa_system_sgpr_workgroup_id_z 0
		.amdhsa_system_sgpr_workgroup_info 0
		.amdhsa_system_vgpr_workitem_id 1
		.amdhsa_next_free_vgpr 38
		.amdhsa_next_free_sgpr 16
		.amdhsa_accum_offset 40
		.amdhsa_reserve_vcc 1
		.amdhsa_reserve_flat_scratch 0
		.amdhsa_float_round_mode_32 0
		.amdhsa_float_round_mode_16_64 0
		.amdhsa_float_denorm_mode_32 3
		.amdhsa_float_denorm_mode_16_64 3
		.amdhsa_dx10_clamp 1
		.amdhsa_ieee_mode 1
		.amdhsa_fp16_overflow 0
		.amdhsa_tg_split 0
		.amdhsa_exception_fp_ieee_invalid_op 0
		.amdhsa_exception_fp_denorm_src 0
		.amdhsa_exception_fp_ieee_div_zero 0
		.amdhsa_exception_fp_ieee_overflow 0
		.amdhsa_exception_fp_ieee_underflow 0
		.amdhsa_exception_fp_ieee_inexact 0
		.amdhsa_exception_int_div_zero 0
	.end_amdhsa_kernel
	.section	.text._ZL13mul_mat_vec_qIN3c104HalfELi256ELi32E10block_q5_KLi2EXadL_ZL17vec_dot_q5_K_q8_1PKvPK10block_q8_1RKiEEEvS4_S4_PT_iii,"axG",@progbits,_ZL13mul_mat_vec_qIN3c104HalfELi256ELi32E10block_q5_KLi2EXadL_ZL17vec_dot_q5_K_q8_1PKvPK10block_q8_1RKiEEEvS4_S4_PT_iii,comdat
.Lfunc_end86:
	.size	_ZL13mul_mat_vec_qIN3c104HalfELi256ELi32E10block_q5_KLi2EXadL_ZL17vec_dot_q5_K_q8_1PKvPK10block_q8_1RKiEEEvS4_S4_PT_iii, .Lfunc_end86-_ZL13mul_mat_vec_qIN3c104HalfELi256ELi32E10block_q5_KLi2EXadL_ZL17vec_dot_q5_K_q8_1PKvPK10block_q8_1RKiEEEvS4_S4_PT_iii
                                        ; -- End function
	.section	.AMDGPU.csdata,"",@progbits
; Kernel info:
; codeLenInByte = 1220
; NumSgprs: 20
; NumVgprs: 38
; NumAgprs: 0
; TotalNumVgprs: 38
; ScratchSize: 0
; MemoryBound: 0
; FloatMode: 240
; IeeeMode: 1
; LDSByteSize: 0 bytes/workgroup (compile time only)
; SGPRBlocks: 2
; VGPRBlocks: 4
; NumSGPRsForWavesPerEU: 20
; NumVGPRsForWavesPerEU: 38
; AccumOffset: 40
; Occupancy: 8
; WaveLimiterHint : 0
; COMPUTE_PGM_RSRC2:SCRATCH_EN: 0
; COMPUTE_PGM_RSRC2:USER_SGPR: 6
; COMPUTE_PGM_RSRC2:TRAP_HANDLER: 0
; COMPUTE_PGM_RSRC2:TGID_X_EN: 1
; COMPUTE_PGM_RSRC2:TGID_Y_EN: 1
; COMPUTE_PGM_RSRC2:TGID_Z_EN: 0
; COMPUTE_PGM_RSRC2:TIDIG_COMP_CNT: 1
; COMPUTE_PGM_RSRC3_GFX90A:ACCUM_OFFSET: 9
; COMPUTE_PGM_RSRC3_GFX90A:TG_SPLIT: 0
	.section	.text._ZL13mul_mat_vec_qIN3c104HalfELi256ELi32E10block_q6_KLi1EXadL_ZL17vec_dot_q6_K_q8_1PKvPK10block_q8_1RKiEEEvS4_S4_PT_iii,"axG",@progbits,_ZL13mul_mat_vec_qIN3c104HalfELi256ELi32E10block_q6_KLi1EXadL_ZL17vec_dot_q6_K_q8_1PKvPK10block_q8_1RKiEEEvS4_S4_PT_iii,comdat
	.globl	_ZL13mul_mat_vec_qIN3c104HalfELi256ELi32E10block_q6_KLi1EXadL_ZL17vec_dot_q6_K_q8_1PKvPK10block_q8_1RKiEEEvS4_S4_PT_iii ; -- Begin function _ZL13mul_mat_vec_qIN3c104HalfELi256ELi32E10block_q6_KLi1EXadL_ZL17vec_dot_q6_K_q8_1PKvPK10block_q8_1RKiEEEvS4_S4_PT_iii
	.p2align	8
	.type	_ZL13mul_mat_vec_qIN3c104HalfELi256ELi32E10block_q6_KLi1EXadL_ZL17vec_dot_q6_K_q8_1PKvPK10block_q8_1RKiEEEvS4_S4_PT_iii,@function
_ZL13mul_mat_vec_qIN3c104HalfELi256ELi32E10block_q6_KLi1EXadL_ZL17vec_dot_q6_K_q8_1PKvPK10block_q8_1RKiEEEvS4_S4_PT_iii: ; @_ZL13mul_mat_vec_qIN3c104HalfELi256ELi32E10block_q6_KLi1EXadL_ZL17vec_dot_q6_K_q8_1PKvPK10block_q8_1RKiEEEvS4_S4_PT_iii
; %bb.0:
	s_load_dword s8, s[4:5], 0x34
	s_load_dwordx4 s[0:3], s[4:5], 0x18
	v_bfe_u32 v1, v0, 10, 10
	s_waitcnt lgkmcnt(0)
	s_lshr_b32 s3, s8, 16
	s_mul_i32 s6, s6, s3
	v_add_u32_e32 v1, s6, v1
	s_cmp_lt_u32 s7, s2
	v_cmp_gt_u32_e32 vcc, s1, v1
	s_cselect_b64 s[2:3], -1, 0
	s_and_b64 s[2:3], s[2:3], vcc
	s_and_saveexec_b64 s[8:9], s[2:3]
	s_cbranch_execz .LBB87_7
; %bb.1:
	s_load_dwordx2 s[2:3], s[4:5], 0x10
	s_ashr_i32 s6, s0, 31
	s_lshr_b32 s6, s6, 24
	s_add_i32 s6, s0, s6
	v_and_b32_e32 v3, 0x3ff, v0
	s_ashr_i32 s6, s6, 8
	v_lshrrev_b32_e32 v5, 5, v3
	v_cmp_gt_u32_e32 vcc, s6, v5
	v_mov_b32_e32 v9, 0
	s_and_saveexec_b64 s[8:9], vcc
	s_cbranch_execz .LBB87_5
; %bb.2:
	v_and_b32_e32 v0, 31, v3
	v_add_u32_e32 v2, 0xf0, v0
	v_cmp_gt_u32_e32 vcc, 16, v0
	v_cndmask_b32_e32 v8, v2, v0, vcc
	s_load_dwordx4 s[12:15], s[4:5], 0x0
	s_addk_i32 s0, 0x1ff
	v_and_b32_e32 v2, 0xf8, v8
	s_ashr_i32 s4, s0, 31
	v_cmp_ne_u32_e32 vcc, 0, v2
	s_lshr_b32 s4, s4, 23
	v_cndmask_b32_e64 v10, 0, 1, vcc
	v_cmp_lt_u32_e32 vcc, 15, v0
	s_add_i32 s0, s0, s4
	v_cndmask_b32_e64 v2, 0, 1, vcc
	s_ashr_i32 s0, s0, 9
	v_lshl_or_b32 v6, v2, 2, v10
	v_lshlrev_b32_e32 v11, 3, v2
	v_and_b32_e32 v4, 7, v3
	s_mul_i32 s0, s7, s0
	v_or_b32_e32 v2, v11, v4
	s_waitcnt lgkmcnt(0)
	v_mad_u64_u32 v[6:7], s[4:5], v6, 36, s[14:15]
	v_lshlrev_b32_e32 v13, 1, v10
	v_bfe_u32 v8, v8, 2, 6
	v_lshlrev_b32_e32 v10, 3, v5
	v_mul_lo_u32 v12, v1, s6
	v_lshlrev_b32_e32 v0, 2, v0
	v_mov_b32_e32 v9, 0
	v_lshlrev_b32_e32 v2, 2, v2
	v_lshlrev_b32_e32 v4, 2, v4
	v_add_u32_e32 v8, v8, v11
	v_lshl_add_u32 v14, s0, 4, v10
	s_mov_b64 s[4:5], 0
	s_movk_i32 s0, 0xd2
	v_pk_mov_b32 v[10:11], s[12:13], s[12:13] op_sel:[0,1]
	s_mov_b32 s10, 0xf0f0f0f
	s_mov_b32 s11, 0x30303030
	s_movk_i32 s12, 0x3f00
	s_movk_i32 s13, 0xe000
	v_mov_b32_e32 v15, 8
.LBB87_3:                               ; =>This Inner Loop Header: Depth=1
	v_mad_i64_i32 v[16:17], s[14:15], v14, 36, v[6:7]
	v_add_u32_e32 v18, v12, v5
	v_add_co_u32_e32 v20, vcc, v16, v4
	v_mad_i64_i32 v[18:19], s[14:15], v18, s0, v[10:11]
	v_addc_co_u32_e32 v21, vcc, 0, v17, vcc
	v_add_co_u32_e32 v22, vcc, v18, v0
	v_addc_co_u32_e32 v23, vcc, 0, v19, vcc
	v_add_co_u32_e32 v24, vcc, v18, v2
	v_addc_co_u32_e32 v25, vcc, 0, v19, vcc
	global_load_dword v26, v[24:25], off offset:128
	global_load_dword v27, v[22:23], off
	global_load_dword v28, v[20:21], off offset:4
	global_load_dword v29, v[20:21], off offset:76
	v_add_co_u32_e32 v20, vcc, v18, v8
	v_addc_co_u32_e32 v21, vcc, 0, v19, vcc
	global_load_sbyte v22, v[20:21], off offset:192
	global_load_sbyte v23, v[20:21], off offset:196
	global_load_dword v24, v[16:17], off
	global_load_dword v25, v[16:17], off offset:72
	global_load_ushort v30, v[18:19], off offset:208
	v_mov_b32_e32 v16, 0
	v_mov_b32_e32 v17, 0
	v_add_u32_e32 v5, 2, v5
	v_cmp_le_u32_e32 vcc, s6, v5
	v_add_u32_e32 v14, 16, v14
	s_or_b64 s[4:5], vcc, s[4:5]
	s_waitcnt vmcnt(8)
	v_ashrrev_i32_e32 v18, v13, v26
	s_waitcnt vmcnt(7)
	v_and_b32_e32 v19, 0xf0f0f0f, v27
	v_lshlrev_b32_e32 v21, 4, v18
	v_lshrrev_b32_e32 v20, 4, v27
	v_and_b32_e32 v18, 0x30303030, v18
	v_and_or_b32 v19, v21, s11, v19
	v_and_or_b32 v18, v20, s10, v18
	v_and_b32_e32 v20, 0x3f00, v19
	v_lshlrev_b16_e32 v21, 8, v19
	v_and_b32_sdwa v26, v19, s12 dst_sel:DWORD dst_unused:UNUSED_PAD src0_sel:WORD_1 src1_sel:DWORD
	v_lshlrev_b16_sdwa v19, v15, v19 dst_sel:DWORD dst_unused:UNUSED_PAD src0_sel:DWORD src1_sel:WORD_1
	v_and_b32_e32 v27, 0x3f00, v18
	v_lshlrev_b16_e32 v31, 8, v18
	v_and_b32_sdwa v32, v18, s12 dst_sel:DWORD dst_unused:UNUSED_PAD src0_sel:WORD_1 src1_sel:DWORD
	v_lshlrev_b16_sdwa v18, v15, v18 dst_sel:DWORD dst_unused:UNUSED_PAD src0_sel:DWORD src1_sel:WORD_1
	v_add_u16_e32 v21, 0xe000, v21
	v_add_u16_e32 v19, 0xe000, v19
	;; [unrolled: 1-line block ×4, first 2 shown]
	v_or_b32_sdwa v20, v20, v21 dst_sel:DWORD dst_unused:UNUSED_PAD src0_sel:DWORD src1_sel:BYTE_1
	v_or_b32_sdwa v19, v26, v19 dst_sel:DWORD dst_unused:UNUSED_PAD src0_sel:DWORD src1_sel:BYTE_1
	;; [unrolled: 1-line block ×4, first 2 shown]
	v_add_u16_e32 v20, 0xe000, v20
	v_add_u16_sdwa v19, v19, s13 dst_sel:WORD_1 dst_unused:UNUSED_PAD src0_sel:DWORD src1_sel:DWORD
	v_add_u16_e32 v21, 0xe000, v21
	v_add_u16_sdwa v18, v18, s13 dst_sel:WORD_1 dst_unused:UNUSED_PAD src0_sel:DWORD src1_sel:DWORD
	v_or_b32_e32 v19, v20, v19
	v_or_b32_e32 v18, v21, v18
	s_waitcnt vmcnt(6)
	v_dot4c_i32_i8_e32 v16, v19, v28
	s_waitcnt vmcnt(5)
	v_dot4c_i32_i8_e32 v17, v18, v29
	s_waitcnt vmcnt(4)
	v_mul_lo_u32 v16, v16, v22
	s_waitcnt vmcnt(3)
	v_mul_lo_u32 v17, v17, v23
	v_cvt_f32_i32_e32 v16, v16
	v_cvt_f32_i32_e32 v17, v17
	s_waitcnt vmcnt(2)
	v_fma_mix_f32 v16, v24, v16, 0 op_sel_hi:[1,0,0]
	s_waitcnt vmcnt(1)
	v_fma_mix_f32 v16, v25, v17, v16 op_sel_hi:[1,0,0]
	;; [unrolled: 2-line block ×3, first 2 shown]
	s_andn2_b64 exec, exec, s[4:5]
	s_cbranch_execnz .LBB87_3
; %bb.4:
	s_or_b64 exec, exec, s[4:5]
.LBB87_5:
	s_or_b64 exec, exec, s[8:9]
	v_mbcnt_lo_u32_b32 v0, -1, 0
	v_mbcnt_hi_u32_b32 v2, -1, v0
	v_and_b32_e32 v0, 64, v2
	v_add_u32_e32 v4, 64, v0
	v_xor_b32_e32 v0, 32, v2
	v_cmp_lt_i32_e32 vcc, v0, v4
	v_cndmask_b32_e32 v0, v2, v0, vcc
	v_lshlrev_b32_e32 v0, 2, v0
	ds_bpermute_b32 v0, v0, v9
	v_xor_b32_e32 v5, 16, v2
	v_cmp_lt_i32_e32 vcc, v5, v4
	v_cndmask_b32_e32 v5, v2, v5, vcc
	v_lshlrev_b32_e32 v5, 2, v5
	s_waitcnt lgkmcnt(0)
	v_add_f32_e32 v0, v9, v0
	ds_bpermute_b32 v5, v5, v0
	v_xor_b32_e32 v6, 8, v2
	v_cmp_lt_i32_e32 vcc, v6, v4
	s_waitcnt lgkmcnt(0)
	v_add_f32_e32 v0, v0, v5
	v_cndmask_b32_e32 v5, v2, v6, vcc
	v_lshlrev_b32_e32 v5, 2, v5
	ds_bpermute_b32 v5, v5, v0
	v_xor_b32_e32 v6, 4, v2
	v_cmp_lt_i32_e32 vcc, v6, v4
	s_waitcnt lgkmcnt(0)
	v_add_f32_e32 v0, v0, v5
	v_cndmask_b32_e32 v5, v2, v6, vcc
	v_lshlrev_b32_e32 v5, 2, v5
	;; [unrolled: 7-line block ×3, first 2 shown]
	ds_bpermute_b32 v5, v5, v0
	v_xor_b32_e32 v6, 1, v2
	v_cmp_lt_i32_e32 vcc, v6, v4
	v_cndmask_b32_e32 v2, v2, v6, vcc
	v_lshlrev_b32_e32 v2, 2, v2
	s_waitcnt lgkmcnt(0)
	v_add_f32_e32 v0, v0, v5
	ds_bpermute_b32 v2, v2, v0
	v_cmp_eq_u32_e32 vcc, 0, v3
	s_and_b64 exec, exec, vcc
	s_cbranch_execz .LBB87_7
; %bb.6:
	s_waitcnt lgkmcnt(0)
	v_add_f32_e32 v0, v0, v2
	s_mul_i32 s7, s7, s1
	v_cvt_f16_f32_e32 v2, v0
	v_add_u32_e32 v0, s7, v1
	v_mov_b32_e32 v1, 0
	v_lshlrev_b64 v[0:1], 1, v[0:1]
	v_mov_b32_e32 v3, s3
	v_add_co_u32_e32 v0, vcc, s2, v0
	v_addc_co_u32_e32 v1, vcc, v3, v1, vcc
	global_store_short v[0:1], v2, off
.LBB87_7:
	s_endpgm
	.section	.rodata,"a",@progbits
	.p2align	6, 0x0
	.amdhsa_kernel _ZL13mul_mat_vec_qIN3c104HalfELi256ELi32E10block_q6_KLi1EXadL_ZL17vec_dot_q6_K_q8_1PKvPK10block_q8_1RKiEEEvS4_S4_PT_iii
		.amdhsa_group_segment_fixed_size 0
		.amdhsa_private_segment_fixed_size 0
		.amdhsa_kernarg_size 296
		.amdhsa_user_sgpr_count 6
		.amdhsa_user_sgpr_private_segment_buffer 1
		.amdhsa_user_sgpr_dispatch_ptr 0
		.amdhsa_user_sgpr_queue_ptr 0
		.amdhsa_user_sgpr_kernarg_segment_ptr 1
		.amdhsa_user_sgpr_dispatch_id 0
		.amdhsa_user_sgpr_flat_scratch_init 0
		.amdhsa_user_sgpr_kernarg_preload_length 0
		.amdhsa_user_sgpr_kernarg_preload_offset 0
		.amdhsa_user_sgpr_private_segment_size 0
		.amdhsa_uses_dynamic_stack 0
		.amdhsa_system_sgpr_private_segment_wavefront_offset 0
		.amdhsa_system_sgpr_workgroup_id_x 1
		.amdhsa_system_sgpr_workgroup_id_y 1
		.amdhsa_system_sgpr_workgroup_id_z 0
		.amdhsa_system_sgpr_workgroup_info 0
		.amdhsa_system_vgpr_workitem_id 1
		.amdhsa_next_free_vgpr 33
		.amdhsa_next_free_sgpr 16
		.amdhsa_accum_offset 36
		.amdhsa_reserve_vcc 1
		.amdhsa_reserve_flat_scratch 0
		.amdhsa_float_round_mode_32 0
		.amdhsa_float_round_mode_16_64 0
		.amdhsa_float_denorm_mode_32 3
		.amdhsa_float_denorm_mode_16_64 3
		.amdhsa_dx10_clamp 1
		.amdhsa_ieee_mode 1
		.amdhsa_fp16_overflow 0
		.amdhsa_tg_split 0
		.amdhsa_exception_fp_ieee_invalid_op 0
		.amdhsa_exception_fp_denorm_src 0
		.amdhsa_exception_fp_ieee_div_zero 0
		.amdhsa_exception_fp_ieee_overflow 0
		.amdhsa_exception_fp_ieee_underflow 0
		.amdhsa_exception_fp_ieee_inexact 0
		.amdhsa_exception_int_div_zero 0
	.end_amdhsa_kernel
	.section	.text._ZL13mul_mat_vec_qIN3c104HalfELi256ELi32E10block_q6_KLi1EXadL_ZL17vec_dot_q6_K_q8_1PKvPK10block_q8_1RKiEEEvS4_S4_PT_iii,"axG",@progbits,_ZL13mul_mat_vec_qIN3c104HalfELi256ELi32E10block_q6_KLi1EXadL_ZL17vec_dot_q6_K_q8_1PKvPK10block_q8_1RKiEEEvS4_S4_PT_iii,comdat
.Lfunc_end87:
	.size	_ZL13mul_mat_vec_qIN3c104HalfELi256ELi32E10block_q6_KLi1EXadL_ZL17vec_dot_q6_K_q8_1PKvPK10block_q8_1RKiEEEvS4_S4_PT_iii, .Lfunc_end87-_ZL13mul_mat_vec_qIN3c104HalfELi256ELi32E10block_q6_KLi1EXadL_ZL17vec_dot_q6_K_q8_1PKvPK10block_q8_1RKiEEEvS4_S4_PT_iii
                                        ; -- End function
	.section	.AMDGPU.csdata,"",@progbits
; Kernel info:
; codeLenInByte = 1064
; NumSgprs: 20
; NumVgprs: 33
; NumAgprs: 0
; TotalNumVgprs: 33
; ScratchSize: 0
; MemoryBound: 0
; FloatMode: 240
; IeeeMode: 1
; LDSByteSize: 0 bytes/workgroup (compile time only)
; SGPRBlocks: 2
; VGPRBlocks: 4
; NumSGPRsForWavesPerEU: 20
; NumVGPRsForWavesPerEU: 33
; AccumOffset: 36
; Occupancy: 8
; WaveLimiterHint : 0
; COMPUTE_PGM_RSRC2:SCRATCH_EN: 0
; COMPUTE_PGM_RSRC2:USER_SGPR: 6
; COMPUTE_PGM_RSRC2:TRAP_HANDLER: 0
; COMPUTE_PGM_RSRC2:TGID_X_EN: 1
; COMPUTE_PGM_RSRC2:TGID_Y_EN: 1
; COMPUTE_PGM_RSRC2:TGID_Z_EN: 0
; COMPUTE_PGM_RSRC2:TIDIG_COMP_CNT: 1
; COMPUTE_PGM_RSRC3_GFX90A:ACCUM_OFFSET: 8
; COMPUTE_PGM_RSRC3_GFX90A:TG_SPLIT: 0
	.section	.text._ZL13mul_mat_vec_qIN3c104HalfELi256ELi8E13block_iq2_xxsLi1EXadL_ZL20vec_dot_iq2_xxs_q8_1PKvPK10block_q8_1RKiEEEvS4_S4_PT_iii,"axG",@progbits,_ZL13mul_mat_vec_qIN3c104HalfELi256ELi8E13block_iq2_xxsLi1EXadL_ZL20vec_dot_iq2_xxs_q8_1PKvPK10block_q8_1RKiEEEvS4_S4_PT_iii,comdat
	.globl	_ZL13mul_mat_vec_qIN3c104HalfELi256ELi8E13block_iq2_xxsLi1EXadL_ZL20vec_dot_iq2_xxs_q8_1PKvPK10block_q8_1RKiEEEvS4_S4_PT_iii ; -- Begin function _ZL13mul_mat_vec_qIN3c104HalfELi256ELi8E13block_iq2_xxsLi1EXadL_ZL20vec_dot_iq2_xxs_q8_1PKvPK10block_q8_1RKiEEEvS4_S4_PT_iii
	.p2align	8
	.type	_ZL13mul_mat_vec_qIN3c104HalfELi256ELi8E13block_iq2_xxsLi1EXadL_ZL20vec_dot_iq2_xxs_q8_1PKvPK10block_q8_1RKiEEEvS4_S4_PT_iii,@function
_ZL13mul_mat_vec_qIN3c104HalfELi256ELi8E13block_iq2_xxsLi1EXadL_ZL20vec_dot_iq2_xxs_q8_1PKvPK10block_q8_1RKiEEEvS4_S4_PT_iii: ; @_ZL13mul_mat_vec_qIN3c104HalfELi256ELi8E13block_iq2_xxsLi1EXadL_ZL20vec_dot_iq2_xxs_q8_1PKvPK10block_q8_1RKiEEEvS4_S4_PT_iii
; %bb.0:
	s_load_dword s8, s[4:5], 0x34
	s_load_dwordx4 s[0:3], s[4:5], 0x18
	v_bfe_u32 v1, v0, 10, 10
	s_waitcnt lgkmcnt(0)
	s_lshr_b32 s3, s8, 16
	s_mul_i32 s6, s6, s3
	v_add_u32_e32 v8, s6, v1
	s_cmp_lt_u32 s7, s2
	v_cmp_gt_u32_e32 vcc, s1, v8
	s_cselect_b64 s[2:3], -1, 0
	s_and_b64 s[2:3], s[2:3], vcc
	s_and_saveexec_b64 s[8:9], s[2:3]
	s_cbranch_execz .LBB88_7
; %bb.1:
	s_load_dwordx2 s[2:3], s[4:5], 0x10
	s_ashr_i32 s6, s0, 31
	s_lshr_b32 s6, s6, 24
	s_add_i32 s6, s0, s6
	v_and_b32_e32 v9, 0x3ff, v0
	s_ashr_i32 s6, s6, 8
	v_lshrrev_b32_e32 v11, 3, v9
	v_cmp_gt_u32_e32 vcc, s6, v11
	v_mov_b32_e32 v10, 0
	s_and_saveexec_b64 s[8:9], vcc
	s_cbranch_execz .LBB88_5
; %bb.2:
	s_load_dwordx4 s[12:15], s[4:5], 0x0
	s_addk_i32 s0, 0x1ff
	s_ashr_i32 s4, s0, 31
	s_lshr_b32 s4, s4, 23
	s_add_i32 s0, s0, s4
	s_ashr_i32 s0, s0, 9
	v_and_b32_e32 v0, 7, v9
	s_mul_i32 s0, s7, s0
	v_lshlrev_b32_e32 v4, 2, v0
	s_waitcnt lgkmcnt(0)
	v_mad_u64_u32 v[0:1], s[4:5], v0, 36, s[14:15]
	v_lshlrev_b32_e32 v2, 3, v11
	v_mul_lo_u32 v12, v8, s6
	v_mov_b32_e32 v10, 0
	v_lshl_add_u32 v13, s0, 4, v2
	s_mov_b64 s[4:5], 0
	s_movk_i32 s0, 0x42
	v_pk_mov_b32 v[2:3], s[12:13], s[12:13] op_sel:[0,1]
	v_lshlrev_b32_e32 v14, 1, v4
	s_mov_b32 s14, 0xffff
	v_mov_b32_e32 v15, 3
	s_getpc_b64 s[12:13]
	s_add_u32 s12, s12, _ZL12ksigns_iq2xs@rel32@lo+4
	s_addc_u32 s13, s13, _ZL12ksigns_iq2xs@rel32@hi+12
.LBB88_3:                               ; =>This Inner Loop Header: Depth=1
	v_add_u32_e32 v4, v12, v11
	v_mad_i64_i32 v[6:7], s[10:11], v4, s0, v[2:3]
	v_add_co_u32_e32 v18, vcc, v6, v14
	v_addc_co_u32_e32 v19, vcc, 0, v7, vcc
	global_load_dword v16, v[18:19], off offset:6
	global_load_dword v24, v[18:19], off offset:2
	v_mad_i64_i32 v[4:5], s[10:11], v13, 36, v[0:1]
	s_getpc_b64 s[10:11]
	s_add_u32 s10, s10, _ZL11iq2xxs_grid@rel32@lo+4
	s_addc_u32 s11, s11, _ZL11iq2xxs_grid@rel32@hi+12
	v_add_u32_e32 v11, 8, v11
	v_add_u32_e32 v13, 64, v13
	s_waitcnt vmcnt(1)
	v_and_b32_e32 v26, 0x7f, v16
	s_waitcnt vmcnt(0)
	v_lshlrev_b32_sdwa v25, v15, v24 dst_sel:DWORD dst_unused:UNUSED_PAD src0_sel:DWORD src1_sel:BYTE_0
	global_load_sbyte v27, v26, s[12:13]
	global_load_dwordx4 v[18:21], v[4:5], off offset:4
	global_load_dwordx2 v[22:23], v25, s[10:11]
	v_and_b32_e32 v17, 0xffff0000, v16
	v_and_or_b32 v17, v16, s14, v17
	v_bfe_u32 v17, v17, 14, 7
	s_waitcnt vmcnt(2)
	v_and_b32_e32 v28, 1, v27
	v_cmp_eq_u16_e32 vcc, 0, v28
	s_waitcnt vmcnt(0)
	v_mul_i32_i24_sdwa v25, v22, sext(v18) dst_sel:DWORD dst_unused:UNUSED_PAD src0_sel:BYTE_0 src1_sel:BYTE_0
	v_sub_u32_e32 v28, 0, v25
	v_cndmask_b32_e32 v25, v28, v25, vcc
	v_mul_i32_i24_sdwa v28, v22, sext(v18) dst_sel:DWORD dst_unused:UNUSED_PAD src0_sel:BYTE_1 src1_sel:BYTE_1
	v_and_b32_e32 v29, 2, v27
	v_cmp_eq_u16_e32 vcc, 0, v29
	v_sub_u32_e32 v29, 0, v28
	v_cndmask_b32_e32 v28, v29, v28, vcc
	v_add_u32_e32 v25, v28, v25
	v_mul_i32_i24_sdwa v28, v22, sext(v18) dst_sel:DWORD dst_unused:UNUSED_PAD src0_sel:BYTE_2 src1_sel:BYTE_2
	v_and_b32_e32 v29, 4, v27
	v_cmp_eq_u16_e32 vcc, 0, v29
	v_sub_u32_e32 v29, 0, v28
	v_mul_i32_i24_sdwa v18, v22, sext(v18) dst_sel:DWORD dst_unused:UNUSED_PAD src0_sel:BYTE_3 src1_sel:BYTE_3
	v_and_b32_e32 v22, 8, v27
	v_cndmask_b32_e32 v28, v29, v28, vcc
	v_cmp_eq_u16_e32 vcc, 0, v22
	v_sub_u32_e32 v22, 0, v18
	v_cndmask_b32_e32 v18, v22, v18, vcc
	v_add3_u32 v18, v25, v28, v18
	v_mul_i32_i24_sdwa v22, v23, sext(v19) dst_sel:DWORD dst_unused:UNUSED_PAD src0_sel:BYTE_0 src1_sel:BYTE_0
	v_and_b32_e32 v25, 16, v27
	v_cmp_eq_u16_e32 vcc, 0, v25
	v_sub_u32_e32 v25, 0, v22
	v_cndmask_b32_e32 v22, v25, v22, vcc
	v_mul_i32_i24_sdwa v25, v23, sext(v19) dst_sel:DWORD dst_unused:UNUSED_PAD src0_sel:BYTE_1 src1_sel:BYTE_1
	v_and_b32_e32 v28, 32, v27
	v_cmp_eq_u16_e32 vcc, 0, v28
	v_sub_u32_e32 v28, 0, v25
	v_cndmask_b32_e32 v25, v28, v25, vcc
	v_add3_u32 v18, v18, v22, v25
	v_mul_i32_i24_sdwa v22, v23, sext(v19) dst_sel:DWORD dst_unused:UNUSED_PAD src0_sel:BYTE_2 src1_sel:BYTE_2
	v_cmp_gt_u32_e32 vcc, 64, v26
	v_sub_u32_e32 v25, 0, v22
	v_mul_i32_i24_sdwa v19, v23, sext(v19) dst_sel:DWORD dst_unused:UNUSED_PAD src0_sel:BYTE_3 src1_sel:BYTE_3
	v_cndmask_b32_e32 v22, v25, v22, vcc
	v_sub_u32_e32 v23, 0, v19
	v_cmp_gt_i16_e32 vcc, 0, v27
	v_cndmask_b32_e32 v19, v19, v23, vcc
	v_bfe_u32 v25, v16, 7, 7
	v_add3_u32 v22, v18, v22, v19
	v_lshlrev_b32_sdwa v23, v15, v24 dst_sel:DWORD dst_unused:UNUSED_PAD src0_sel:DWORD src1_sel:BYTE_1
	global_load_sbyte v26, v25, s[12:13]
	global_load_dwordx2 v[18:19], v23, s[10:11]
	s_waitcnt vmcnt(1)
	v_and_b32_e32 v27, 1, v26
	s_waitcnt vmcnt(0)
	v_mul_i32_i24_sdwa v23, v18, sext(v20) dst_sel:DWORD dst_unused:UNUSED_PAD src0_sel:BYTE_0 src1_sel:BYTE_0
	v_cmp_eq_u16_e32 vcc, 0, v27
	v_sub_u32_e32 v27, 0, v23
	v_cndmask_b32_e32 v23, v27, v23, vcc
	v_mul_i32_i24_sdwa v27, v18, sext(v20) dst_sel:DWORD dst_unused:UNUSED_PAD src0_sel:BYTE_1 src1_sel:BYTE_1
	v_and_b32_e32 v28, 2, v26
	v_cmp_eq_u16_e32 vcc, 0, v28
	v_sub_u32_e32 v28, 0, v27
	v_cndmask_b32_e32 v27, v28, v27, vcc
	v_add3_u32 v22, v22, v23, v27
	v_mul_i32_i24_sdwa v23, v18, sext(v20) dst_sel:DWORD dst_unused:UNUSED_PAD src0_sel:BYTE_2 src1_sel:BYTE_2
	v_and_b32_e32 v27, 4, v26
	v_cmp_eq_u16_e32 vcc, 0, v27
	v_sub_u32_e32 v27, 0, v23
	v_mul_i32_i24_sdwa v18, v18, sext(v20) dst_sel:DWORD dst_unused:UNUSED_PAD src0_sel:BYTE_3 src1_sel:BYTE_3
	v_and_b32_e32 v20, 8, v26
	v_cndmask_b32_e32 v23, v27, v23, vcc
	v_cmp_eq_u16_e32 vcc, 0, v20
	v_sub_u32_e32 v20, 0, v18
	v_cndmask_b32_e32 v18, v20, v18, vcc
	v_add3_u32 v18, v22, v23, v18
	v_mul_i32_i24_sdwa v20, v19, sext(v21) dst_sel:DWORD dst_unused:UNUSED_PAD src0_sel:BYTE_0 src1_sel:BYTE_0
	v_and_b32_e32 v22, 16, v26
	v_cmp_eq_u16_e32 vcc, 0, v22
	v_sub_u32_e32 v22, 0, v20
	v_cndmask_b32_e32 v20, v22, v20, vcc
	v_mul_i32_i24_sdwa v22, v19, sext(v21) dst_sel:DWORD dst_unused:UNUSED_PAD src0_sel:BYTE_1 src1_sel:BYTE_1
	v_and_b32_e32 v23, 32, v26
	v_cmp_eq_u16_e32 vcc, 0, v23
	v_sub_u32_e32 v23, 0, v22
	v_cndmask_b32_e32 v22, v23, v22, vcc
	v_add3_u32 v18, v18, v20, v22
	v_mul_i32_i24_sdwa v20, v19, sext(v21) dst_sel:DWORD dst_unused:UNUSED_PAD src0_sel:BYTE_2 src1_sel:BYTE_2
	v_cmp_gt_u32_e32 vcc, 64, v25
	v_sub_u32_e32 v22, 0, v20
	v_mul_i32_i24_sdwa v19, v19, sext(v21) dst_sel:DWORD dst_unused:UNUSED_PAD src0_sel:BYTE_3 src1_sel:BYTE_3
	v_cndmask_b32_e32 v20, v22, v20, vcc
	v_sub_u32_e32 v21, 0, v19
	v_cmp_gt_i16_e32 vcc, 0, v26
	v_cndmask_b32_e32 v19, v19, v21, vcc
	v_add3_u32 v25, v18, v20, v19
	v_lshlrev_b32_sdwa v26, v15, v24 dst_sel:DWORD dst_unused:UNUSED_PAD src0_sel:DWORD src1_sel:BYTE_2
	global_load_sbyte v27, v17, s[12:13]
	global_load_dwordx4 v[18:21], v[4:5], off offset:20
	global_load_dwordx2 v[22:23], v26, s[10:11]
	s_waitcnt vmcnt(2)
	v_and_b32_e32 v28, 1, v27
	v_cmp_eq_u16_e32 vcc, 0, v28
	s_waitcnt vmcnt(0)
	v_mul_i32_i24_sdwa v26, v22, sext(v18) dst_sel:DWORD dst_unused:UNUSED_PAD src0_sel:BYTE_0 src1_sel:BYTE_0
	v_sub_u32_e32 v28, 0, v26
	v_cndmask_b32_e32 v26, v28, v26, vcc
	v_mul_i32_i24_sdwa v28, v22, sext(v18) dst_sel:DWORD dst_unused:UNUSED_PAD src0_sel:BYTE_1 src1_sel:BYTE_1
	v_and_b32_e32 v29, 2, v27
	v_cmp_eq_u16_e32 vcc, 0, v29
	v_sub_u32_e32 v29, 0, v28
	v_cndmask_b32_e32 v28, v29, v28, vcc
	v_add3_u32 v25, v25, v26, v28
	v_mul_i32_i24_sdwa v26, v22, sext(v18) dst_sel:DWORD dst_unused:UNUSED_PAD src0_sel:BYTE_2 src1_sel:BYTE_2
	v_and_b32_e32 v28, 4, v27
	v_cmp_eq_u16_e32 vcc, 0, v28
	v_sub_u32_e32 v28, 0, v26
	v_mul_i32_i24_sdwa v18, v22, sext(v18) dst_sel:DWORD dst_unused:UNUSED_PAD src0_sel:BYTE_3 src1_sel:BYTE_3
	v_and_b32_e32 v22, 8, v27
	v_cndmask_b32_e32 v26, v28, v26, vcc
	v_cmp_eq_u16_e32 vcc, 0, v22
	v_sub_u32_e32 v22, 0, v18
	v_cndmask_b32_e32 v18, v22, v18, vcc
	v_add3_u32 v18, v25, v26, v18
	v_mul_i32_i24_sdwa v22, v23, sext(v19) dst_sel:DWORD dst_unused:UNUSED_PAD src0_sel:BYTE_0 src1_sel:BYTE_0
	v_and_b32_e32 v25, 16, v27
	v_cmp_eq_u16_e32 vcc, 0, v25
	v_sub_u32_e32 v25, 0, v22
	v_cndmask_b32_e32 v22, v25, v22, vcc
	v_mul_i32_i24_sdwa v25, v23, sext(v19) dst_sel:DWORD dst_unused:UNUSED_PAD src0_sel:BYTE_1 src1_sel:BYTE_1
	v_and_b32_e32 v26, 32, v27
	v_cmp_eq_u16_e32 vcc, 0, v26
	v_sub_u32_e32 v26, 0, v25
	v_cndmask_b32_e32 v25, v26, v25, vcc
	v_add3_u32 v18, v18, v22, v25
	v_mul_i32_i24_sdwa v22, v23, sext(v19) dst_sel:DWORD dst_unused:UNUSED_PAD src0_sel:BYTE_2 src1_sel:BYTE_2
	v_cmp_gt_u32_e32 vcc, 64, v17
	v_sub_u32_e32 v17, 0, v22
	v_mul_i32_i24_sdwa v19, v23, sext(v19) dst_sel:DWORD dst_unused:UNUSED_PAD src0_sel:BYTE_3 src1_sel:BYTE_3
	v_cndmask_b32_e32 v17, v17, v22, vcc
	v_sub_u32_e32 v22, 0, v19
	v_cmp_gt_i16_e32 vcc, 0, v27
	v_cndmask_b32_e32 v19, v19, v22, vcc
	v_bfe_u32 v23, v16, 21, 7
	v_add3_u32 v17, v18, v17, v19
	v_lshlrev_b32_sdwa v22, v15, v24 dst_sel:DWORD dst_unused:UNUSED_PAD src0_sel:DWORD src1_sel:BYTE_3
	global_load_sbyte v24, v23, s[12:13]
	global_load_dwordx2 v[18:19], v22, s[10:11]
	v_lshrrev_b32_e32 v16, 28, v16
	global_load_ushort v6, v[6:7], off
	v_cvt_f32_ubyte0_e32 v7, v16
	global_load_ushort v4, v[4:5], off
	v_add_f32_e32 v7, 0.5, v7
	s_waitcnt vmcnt(3)
	v_and_b32_e32 v25, 1, v24
	s_waitcnt vmcnt(2)
	v_mul_i32_i24_sdwa v22, v18, sext(v20) dst_sel:DWORD dst_unused:UNUSED_PAD src0_sel:BYTE_0 src1_sel:BYTE_0
	v_cmp_eq_u16_e32 vcc, 0, v25
	v_sub_u32_e32 v25, 0, v22
	v_cndmask_b32_e32 v22, v25, v22, vcc
	v_mul_i32_i24_sdwa v25, v18, sext(v20) dst_sel:DWORD dst_unused:UNUSED_PAD src0_sel:BYTE_1 src1_sel:BYTE_1
	v_and_b32_e32 v26, 2, v24
	v_cmp_eq_u16_e32 vcc, 0, v26
	v_sub_u32_e32 v26, 0, v25
	v_cndmask_b32_e32 v25, v26, v25, vcc
	v_add3_u32 v17, v17, v22, v25
	v_mul_i32_i24_sdwa v22, v18, sext(v20) dst_sel:DWORD dst_unused:UNUSED_PAD src0_sel:BYTE_2 src1_sel:BYTE_2
	v_and_b32_e32 v25, 4, v24
	v_cmp_eq_u16_e32 vcc, 0, v25
	v_sub_u32_e32 v25, 0, v22
	v_mul_i32_i24_sdwa v18, v18, sext(v20) dst_sel:DWORD dst_unused:UNUSED_PAD src0_sel:BYTE_3 src1_sel:BYTE_3
	v_and_b32_e32 v20, 8, v24
	v_cndmask_b32_e32 v22, v25, v22, vcc
	v_cmp_eq_u16_e32 vcc, 0, v20
	v_sub_u32_e32 v20, 0, v18
	v_cndmask_b32_e32 v18, v20, v18, vcc
	v_add3_u32 v17, v17, v22, v18
	v_mul_i32_i24_sdwa v18, v19, sext(v21) dst_sel:DWORD dst_unused:UNUSED_PAD src0_sel:BYTE_0 src1_sel:BYTE_0
	v_and_b32_e32 v20, 16, v24
	v_cmp_eq_u16_e32 vcc, 0, v20
	v_sub_u32_e32 v20, 0, v18
	v_cndmask_b32_e32 v18, v20, v18, vcc
	v_mul_i32_i24_sdwa v20, v19, sext(v21) dst_sel:DWORD dst_unused:UNUSED_PAD src0_sel:BYTE_1 src1_sel:BYTE_1
	v_and_b32_e32 v22, 32, v24
	v_cmp_eq_u16_e32 vcc, 0, v22
	v_sub_u32_e32 v22, 0, v20
	v_cndmask_b32_e32 v20, v22, v20, vcc
	v_add3_u32 v17, v17, v18, v20
	v_mul_i32_i24_sdwa v18, v19, sext(v21) dst_sel:DWORD dst_unused:UNUSED_PAD src0_sel:BYTE_2 src1_sel:BYTE_2
	v_cmp_gt_u32_e32 vcc, 64, v23
	v_sub_u32_e32 v20, 0, v18
	v_mul_i32_i24_sdwa v19, v19, sext(v21) dst_sel:DWORD dst_unused:UNUSED_PAD src0_sel:BYTE_3 src1_sel:BYTE_3
	v_cndmask_b32_e32 v18, v20, v18, vcc
	v_sub_u32_e32 v20, 0, v19
	v_cmp_gt_i16_e32 vcc, 0, v24
	s_waitcnt vmcnt(1)
	v_cvt_f32_f16_e32 v6, v6
	v_cndmask_b32_e32 v19, v19, v20, vcc
	s_waitcnt vmcnt(0)
	v_cvt_f32_f16_e32 v4, v4
	v_add3_u32 v17, v17, v18, v19
	v_cvt_f32_i32_e32 v5, v17
	v_mul_f32_e32 v6, v7, v6
	v_mul_f32_e32 v4, v6, v4
	;; [unrolled: 1-line block ×3, first 2 shown]
	v_cmp_le_u32_e32 vcc, s6, v11
	v_fmac_f32_e32 v10, v4, v5
	s_or_b64 s[4:5], vcc, s[4:5]
	s_andn2_b64 exec, exec, s[4:5]
	s_cbranch_execnz .LBB88_3
; %bb.4:
	s_or_b64 exec, exec, s[4:5]
.LBB88_5:
	s_or_b64 exec, exec, s[8:9]
	v_mbcnt_lo_u32_b32 v0, -1, 0
	v_mbcnt_hi_u32_b32 v1, -1, v0
	v_and_b32_e32 v0, 64, v1
	v_add_u32_e32 v2, 64, v0
	v_xor_b32_e32 v0, 32, v1
	v_cmp_lt_i32_e32 vcc, v0, v2
	v_cndmask_b32_e32 v0, v1, v0, vcc
	v_lshlrev_b32_e32 v0, 2, v0
	ds_bpermute_b32 v0, v0, v10
	v_xor_b32_e32 v3, 16, v1
	v_cmp_lt_i32_e32 vcc, v3, v2
	v_cndmask_b32_e32 v3, v1, v3, vcc
	v_lshlrev_b32_e32 v3, 2, v3
	s_waitcnt lgkmcnt(0)
	v_add_f32_e32 v0, v10, v0
	ds_bpermute_b32 v3, v3, v0
	v_xor_b32_e32 v4, 8, v1
	v_cmp_lt_i32_e32 vcc, v4, v2
	s_waitcnt lgkmcnt(0)
	v_add_f32_e32 v0, v0, v3
	v_cndmask_b32_e32 v3, v1, v4, vcc
	v_lshlrev_b32_e32 v3, 2, v3
	ds_bpermute_b32 v3, v3, v0
	v_xor_b32_e32 v4, 4, v1
	v_cmp_lt_i32_e32 vcc, v4, v2
	s_waitcnt lgkmcnt(0)
	v_add_f32_e32 v0, v0, v3
	v_cndmask_b32_e32 v3, v1, v4, vcc
	v_lshlrev_b32_e32 v3, 2, v3
	;; [unrolled: 7-line block ×3, first 2 shown]
	ds_bpermute_b32 v3, v3, v0
	v_xor_b32_e32 v4, 1, v1
	v_cmp_lt_i32_e32 vcc, v4, v2
	v_cndmask_b32_e32 v1, v1, v4, vcc
	v_lshlrev_b32_e32 v1, 2, v1
	s_waitcnt lgkmcnt(0)
	v_add_f32_e32 v0, v0, v3
	ds_bpermute_b32 v1, v1, v0
	v_cmp_eq_u32_e32 vcc, 0, v9
	s_and_b64 exec, exec, vcc
	s_cbranch_execz .LBB88_7
; %bb.6:
	s_waitcnt lgkmcnt(0)
	v_add_f32_e32 v0, v0, v1
	s_mul_i32 s7, s7, s1
	v_cvt_f16_f32_e32 v2, v0
	v_add_u32_e32 v0, s7, v8
	v_mov_b32_e32 v1, 0
	v_lshlrev_b64 v[0:1], 1, v[0:1]
	v_mov_b32_e32 v3, s3
	v_add_co_u32_e32 v0, vcc, s2, v0
	v_addc_co_u32_e32 v1, vcc, v3, v1, vcc
	global_store_short v[0:1], v2, off
.LBB88_7:
	s_endpgm
	.section	.rodata,"a",@progbits
	.p2align	6, 0x0
	.amdhsa_kernel _ZL13mul_mat_vec_qIN3c104HalfELi256ELi8E13block_iq2_xxsLi1EXadL_ZL20vec_dot_iq2_xxs_q8_1PKvPK10block_q8_1RKiEEEvS4_S4_PT_iii
		.amdhsa_group_segment_fixed_size 0
		.amdhsa_private_segment_fixed_size 0
		.amdhsa_kernarg_size 296
		.amdhsa_user_sgpr_count 6
		.amdhsa_user_sgpr_private_segment_buffer 1
		.amdhsa_user_sgpr_dispatch_ptr 0
		.amdhsa_user_sgpr_queue_ptr 0
		.amdhsa_user_sgpr_kernarg_segment_ptr 1
		.amdhsa_user_sgpr_dispatch_id 0
		.amdhsa_user_sgpr_flat_scratch_init 0
		.amdhsa_user_sgpr_kernarg_preload_length 0
		.amdhsa_user_sgpr_kernarg_preload_offset 0
		.amdhsa_user_sgpr_private_segment_size 0
		.amdhsa_uses_dynamic_stack 0
		.amdhsa_system_sgpr_private_segment_wavefront_offset 0
		.amdhsa_system_sgpr_workgroup_id_x 1
		.amdhsa_system_sgpr_workgroup_id_y 1
		.amdhsa_system_sgpr_workgroup_id_z 0
		.amdhsa_system_sgpr_workgroup_info 0
		.amdhsa_system_vgpr_workitem_id 1
		.amdhsa_next_free_vgpr 30
		.amdhsa_next_free_sgpr 16
		.amdhsa_accum_offset 32
		.amdhsa_reserve_vcc 1
		.amdhsa_reserve_flat_scratch 0
		.amdhsa_float_round_mode_32 0
		.amdhsa_float_round_mode_16_64 0
		.amdhsa_float_denorm_mode_32 3
		.amdhsa_float_denorm_mode_16_64 3
		.amdhsa_dx10_clamp 1
		.amdhsa_ieee_mode 1
		.amdhsa_fp16_overflow 0
		.amdhsa_tg_split 0
		.amdhsa_exception_fp_ieee_invalid_op 0
		.amdhsa_exception_fp_denorm_src 0
		.amdhsa_exception_fp_ieee_div_zero 0
		.amdhsa_exception_fp_ieee_overflow 0
		.amdhsa_exception_fp_ieee_underflow 0
		.amdhsa_exception_fp_ieee_inexact 0
		.amdhsa_exception_int_div_zero 0
	.end_amdhsa_kernel
	.section	.text._ZL13mul_mat_vec_qIN3c104HalfELi256ELi8E13block_iq2_xxsLi1EXadL_ZL20vec_dot_iq2_xxs_q8_1PKvPK10block_q8_1RKiEEEvS4_S4_PT_iii,"axG",@progbits,_ZL13mul_mat_vec_qIN3c104HalfELi256ELi8E13block_iq2_xxsLi1EXadL_ZL20vec_dot_iq2_xxs_q8_1PKvPK10block_q8_1RKiEEEvS4_S4_PT_iii,comdat
.Lfunc_end88:
	.size	_ZL13mul_mat_vec_qIN3c104HalfELi256ELi8E13block_iq2_xxsLi1EXadL_ZL20vec_dot_iq2_xxs_q8_1PKvPK10block_q8_1RKiEEEvS4_S4_PT_iii, .Lfunc_end88-_ZL13mul_mat_vec_qIN3c104HalfELi256ELi8E13block_iq2_xxsLi1EXadL_ZL20vec_dot_iq2_xxs_q8_1PKvPK10block_q8_1RKiEEEvS4_S4_PT_iii
                                        ; -- End function
	.section	.AMDGPU.csdata,"",@progbits
; Kernel info:
; codeLenInByte = 1744
; NumSgprs: 20
; NumVgprs: 30
; NumAgprs: 0
; TotalNumVgprs: 30
; ScratchSize: 0
; MemoryBound: 0
; FloatMode: 240
; IeeeMode: 1
; LDSByteSize: 0 bytes/workgroup (compile time only)
; SGPRBlocks: 2
; VGPRBlocks: 3
; NumSGPRsForWavesPerEU: 20
; NumVGPRsForWavesPerEU: 30
; AccumOffset: 32
; Occupancy: 8
; WaveLimiterHint : 0
; COMPUTE_PGM_RSRC2:SCRATCH_EN: 0
; COMPUTE_PGM_RSRC2:USER_SGPR: 6
; COMPUTE_PGM_RSRC2:TRAP_HANDLER: 0
; COMPUTE_PGM_RSRC2:TGID_X_EN: 1
; COMPUTE_PGM_RSRC2:TGID_Y_EN: 1
; COMPUTE_PGM_RSRC2:TGID_Z_EN: 0
; COMPUTE_PGM_RSRC2:TIDIG_COMP_CNT: 1
; COMPUTE_PGM_RSRC3_GFX90A:ACCUM_OFFSET: 7
; COMPUTE_PGM_RSRC3_GFX90A:TG_SPLIT: 0
	.section	.text._ZL13mul_mat_vec_qIN3c104HalfELi256ELi8E12block_iq2_xsLi1EXadL_ZL19vec_dot_iq2_xs_q8_1PKvPK10block_q8_1RKiEEEvS4_S4_PT_iii,"axG",@progbits,_ZL13mul_mat_vec_qIN3c104HalfELi256ELi8E12block_iq2_xsLi1EXadL_ZL19vec_dot_iq2_xs_q8_1PKvPK10block_q8_1RKiEEEvS4_S4_PT_iii,comdat
	.globl	_ZL13mul_mat_vec_qIN3c104HalfELi256ELi8E12block_iq2_xsLi1EXadL_ZL19vec_dot_iq2_xs_q8_1PKvPK10block_q8_1RKiEEEvS4_S4_PT_iii ; -- Begin function _ZL13mul_mat_vec_qIN3c104HalfELi256ELi8E12block_iq2_xsLi1EXadL_ZL19vec_dot_iq2_xs_q8_1PKvPK10block_q8_1RKiEEEvS4_S4_PT_iii
	.p2align	8
	.type	_ZL13mul_mat_vec_qIN3c104HalfELi256ELi8E12block_iq2_xsLi1EXadL_ZL19vec_dot_iq2_xs_q8_1PKvPK10block_q8_1RKiEEEvS4_S4_PT_iii,@function
_ZL13mul_mat_vec_qIN3c104HalfELi256ELi8E12block_iq2_xsLi1EXadL_ZL19vec_dot_iq2_xs_q8_1PKvPK10block_q8_1RKiEEEvS4_S4_PT_iii: ; @_ZL13mul_mat_vec_qIN3c104HalfELi256ELi8E12block_iq2_xsLi1EXadL_ZL19vec_dot_iq2_xs_q8_1PKvPK10block_q8_1RKiEEEvS4_S4_PT_iii
; %bb.0:
	s_load_dword s8, s[4:5], 0x34
	s_load_dwordx4 s[0:3], s[4:5], 0x18
	v_bfe_u32 v1, v0, 10, 10
	s_waitcnt lgkmcnt(0)
	s_lshr_b32 s3, s8, 16
	s_mul_i32 s6, s6, s3
	v_add_u32_e32 v1, s6, v1
	s_cmp_lt_u32 s7, s2
	v_cmp_gt_u32_e32 vcc, s1, v1
	s_cselect_b64 s[2:3], -1, 0
	s_and_b64 s[2:3], s[2:3], vcc
	s_and_saveexec_b64 s[8:9], s[2:3]
	s_cbranch_execz .LBB89_7
; %bb.1:
	s_load_dwordx2 s[2:3], s[4:5], 0x10
	s_ashr_i32 s6, s0, 31
	s_lshr_b32 s6, s6, 24
	s_add_i32 s6, s0, s6
	v_and_b32_e32 v12, 0x3ff, v0
	s_ashr_i32 s6, s6, 8
	v_lshrrev_b32_e32 v13, 3, v12
	v_cmp_gt_u32_e32 vcc, s6, v13
	v_mov_b32_e32 v14, 0
	s_and_saveexec_b64 s[8:9], vcc
	s_cbranch_execz .LBB89_5
; %bb.2:
	s_load_dwordx4 s[12:15], s[4:5], 0x0
	s_addk_i32 s0, 0x1ff
	s_ashr_i32 s4, s0, 31
	s_lshr_b32 s4, s4, 23
	s_add_i32 s0, s0, s4
	s_ashr_i32 s0, s0, 9
	v_and_b32_e32 v0, 7, v12
	s_mul_i32 s0, s7, s0
	v_lshlrev_b32_e32 v6, 2, v0
	s_waitcnt lgkmcnt(0)
	v_mad_u64_u32 v[2:3], s[4:5], v0, 36, s[14:15]
	v_lshlrev_b32_e32 v4, 3, v13
	v_mul_lo_u32 v15, v1, s6
	v_mov_b32_e32 v16, 0
	v_lshl_add_u32 v17, s0, 4, v4
	s_mov_b64 s[4:5], 0
	s_movk_i32 s0, 0x4a
	v_pk_mov_b32 v[4:5], s[12:13], s[12:13] op_sel:[0,1]
	v_lshlrev_b32_e32 v18, 1, v6
	v_mov_b32_e32 v14, 0
	s_getpc_b64 s[12:13]
	s_add_u32 s12, s12, _ZL12ksigns_iq2xs@rel32@lo+4
	s_addc_u32 s13, s13, _ZL12ksigns_iq2xs@rel32@hi+12
.LBB89_3:                               ; =>This Inner Loop Header: Depth=1
	v_add_u32_e32 v6, v15, v13
	v_mad_i64_i32 v[8:9], s[10:11], v6, s0, v[4:5]
	v_add_co_u32_e32 v20, vcc, v8, v18
	v_addc_co_u32_e32 v21, vcc, 0, v9, vcc
	v_add_co_u32_e32 v22, vcc, v8, v0
	v_addc_co_u32_e32 v23, vcc, 0, v9, vcc
	global_load_ubyte v19, v[22:23], off offset:66
	global_load_dwordx2 v[10:11], v[20:21], off offset:2
	v_mad_i64_i32 v[6:7], s[10:11], v17, 36, v[2:3]
	s_getpc_b64 s[10:11]
	s_add_u32 s10, s10, _ZL10iq2xs_grid@rel32@lo+4
	s_addc_u32 s11, s11, _ZL10iq2xs_grid@rel32@hi+12
	v_add_u32_e32 v13, 8, v13
	v_add_u32_e32 v17, 64, v17
	s_waitcnt vmcnt(0)
	v_and_b32_e32 v20, 0x1ff, v10
	v_bfe_u32 v27, v10, 9, 7
	v_lshlrev_b32_e32 v26, 3, v20
	global_load_sbyte v28, v27, s[12:13]
	global_load_dwordx4 v[20:23], v[6:7], off offset:4
	global_load_dwordx2 v[24:25], v26, s[10:11]
	v_bfe_u32 v35, v11, 9, 7
	s_waitcnt vmcnt(2)
	v_and_b32_e32 v27, 1, v28
	v_cmp_eq_u16_e32 vcc, 0, v27
	s_waitcnt vmcnt(0)
	v_mul_i32_i24_sdwa v26, v24, sext(v20) dst_sel:DWORD dst_unused:UNUSED_PAD src0_sel:BYTE_0 src1_sel:BYTE_0
	v_sub_u32_e32 v27, 0, v26
	v_cndmask_b32_e32 v26, v27, v26, vcc
	v_mul_i32_i24_sdwa v27, v24, sext(v20) dst_sel:DWORD dst_unused:UNUSED_PAD src0_sel:BYTE_1 src1_sel:BYTE_1
	v_and_b32_e32 v29, 2, v28
	v_cmp_eq_u16_e32 vcc, 0, v29
	v_sub_u32_e32 v29, 0, v27
	v_cndmask_b32_e32 v27, v29, v27, vcc
	v_add_u32_e32 v26, v27, v26
	v_mul_i32_i24_sdwa v27, v24, sext(v20) dst_sel:DWORD dst_unused:UNUSED_PAD src0_sel:BYTE_2 src1_sel:BYTE_2
	v_and_b32_e32 v29, 4, v28
	v_cmp_eq_u16_e32 vcc, 0, v29
	v_sub_u32_e32 v29, 0, v27
	v_mul_i32_i24_sdwa v20, v24, sext(v20) dst_sel:DWORD dst_unused:UNUSED_PAD src0_sel:BYTE_3 src1_sel:BYTE_3
	v_and_b32_e32 v24, 8, v28
	v_cndmask_b32_e32 v27, v29, v27, vcc
	v_cmp_eq_u16_e32 vcc, 0, v24
	v_sub_u32_e32 v24, 0, v20
	v_cndmask_b32_e32 v20, v24, v20, vcc
	v_add3_u32 v20, v26, v27, v20
	v_mul_i32_i24_sdwa v24, v25, sext(v21) dst_sel:DWORD dst_unused:UNUSED_PAD src0_sel:BYTE_0 src1_sel:BYTE_0
	v_and_b32_e32 v26, 16, v28
	v_cmp_eq_u16_e32 vcc, 0, v26
	v_sub_u32_e32 v26, 0, v24
	v_cndmask_b32_e32 v24, v26, v24, vcc
	v_mul_i32_i24_sdwa v26, v25, sext(v21) dst_sel:DWORD dst_unused:UNUSED_PAD src0_sel:BYTE_1 src1_sel:BYTE_1
	v_and_b32_e32 v27, 32, v28
	v_cmp_eq_u16_e32 vcc, 0, v27
	v_sub_u32_e32 v27, 0, v26
	v_cndmask_b32_e32 v26, v27, v26, vcc
	v_add3_u32 v20, v20, v24, v26
	v_mul_i32_i24_sdwa v24, v25, sext(v21) dst_sel:DWORD dst_unused:UNUSED_PAD src0_sel:BYTE_2 src1_sel:BYTE_2
	v_sub_u32_e32 v26, 0, v24
	v_cmp_gt_i16_e32 vcc, 0, v10
	v_mul_i32_i24_sdwa v21, v25, sext(v21) dst_sel:DWORD dst_unused:UNUSED_PAD src0_sel:BYTE_3 src1_sel:BYTE_3
	v_cndmask_b32_e32 v24, v24, v26, vcc
	v_sub_u32_e32 v25, 0, v21
	v_cmp_gt_i16_e32 vcc, 0, v28
	v_cndmask_b32_e32 v21, v21, v25, vcc
	v_add3_u32 v26, v20, v24, v21
	v_lshrrev_b32_e32 v20, 13, v10
	v_lshrrev_b32_e32 v25, 25, v10
	v_and_b32_e32 v24, 0xff8, v20
	global_load_sbyte v27, v25, s[12:13]
	global_load_dwordx2 v[20:21], v24, s[10:11]
	s_waitcnt vmcnt(1)
	v_and_b32_e32 v25, 1, v27
	s_waitcnt vmcnt(0)
	v_mul_i32_i24_sdwa v24, v20, sext(v22) dst_sel:DWORD dst_unused:UNUSED_PAD src0_sel:BYTE_0 src1_sel:BYTE_0
	v_cmp_eq_u16_e32 vcc, 0, v25
	v_sub_u32_e32 v25, 0, v24
	v_cndmask_b32_e32 v28, v25, v24, vcc
	v_mul_i32_i24_sdwa v24, v20, sext(v22) dst_sel:DWORD dst_unused:UNUSED_PAD src0_sel:BYTE_1 src1_sel:BYTE_1
	v_and_b32_e32 v25, 2, v27
	v_cmp_eq_u16_e32 vcc, 0, v25
	v_sub_u32_e32 v25, 0, v24
	v_cndmask_b32_e32 v29, v25, v24, vcc
	v_mul_i32_i24_sdwa v24, v20, sext(v22) dst_sel:DWORD dst_unused:UNUSED_PAD src0_sel:BYTE_2 src1_sel:BYTE_2
	v_and_b32_e32 v25, 4, v27
	v_cmp_eq_u16_e32 vcc, 0, v25
	v_sub_u32_e32 v25, 0, v24
	v_mul_i32_i24_sdwa v20, v20, sext(v22) dst_sel:DWORD dst_unused:UNUSED_PAD src0_sel:BYTE_3 src1_sel:BYTE_3
	v_and_b32_e32 v22, 8, v27
	v_cndmask_b32_e32 v30, v25, v24, vcc
	v_cmp_eq_u16_e32 vcc, 0, v22
	v_sub_u32_e32 v22, 0, v20
	v_cndmask_b32_e32 v31, v22, v20, vcc
	v_mul_i32_i24_sdwa v20, v21, sext(v23) dst_sel:DWORD dst_unused:UNUSED_PAD src0_sel:BYTE_0 src1_sel:BYTE_0
	v_and_b32_e32 v22, 16, v27
	v_cmp_eq_u16_e32 vcc, 0, v22
	v_sub_u32_e32 v22, 0, v20
	v_cndmask_b32_e32 v32, v22, v20, vcc
	v_mul_i32_i24_sdwa v20, v21, sext(v23) dst_sel:DWORD dst_unused:UNUSED_PAD src0_sel:BYTE_1 src1_sel:BYTE_1
	v_and_b32_e32 v22, 32, v27
	v_cmp_eq_u16_e32 vcc, 0, v22
	v_sub_u32_e32 v22, 0, v20
	v_cndmask_b32_e32 v33, v22, v20, vcc
	v_mul_i32_i24_sdwa v20, v21, sext(v23) dst_sel:DWORD dst_unused:UNUSED_PAD src0_sel:BYTE_2 src1_sel:BYTE_2
	v_sub_u32_e32 v22, 0, v20
	v_cmp_lt_i16_sdwa vcc, v10, v16 src0_sel:WORD_1 src1_sel:DWORD
	v_cndmask_b32_e32 v10, v20, v22, vcc
	v_mul_i32_i24_sdwa v20, v21, sext(v23) dst_sel:DWORD dst_unused:UNUSED_PAD src0_sel:BYTE_3 src1_sel:BYTE_3
	v_sub_u32_e32 v21, 0, v20
	v_cmp_gt_i16_e32 vcc, 0, v27
	v_cndmask_b32_e32 v27, v20, v21, vcc
	v_and_b32_e32 v20, 0x1ff, v11
	v_lshlrev_b32_e32 v34, 3, v20
	global_load_sbyte v36, v35, s[12:13]
	global_load_dwordx4 v[20:23], v[6:7], off offset:20
	global_load_dwordx2 v[24:25], v34, s[10:11]
	s_waitcnt vmcnt(2)
	v_and_b32_e32 v35, 1, v36
	v_cmp_eq_u16_e32 vcc, 0, v35
	s_waitcnt vmcnt(0)
	v_mul_i32_i24_sdwa v34, v24, sext(v20) dst_sel:DWORD dst_unused:UNUSED_PAD src0_sel:BYTE_0 src1_sel:BYTE_0
	v_sub_u32_e32 v35, 0, v34
	v_cndmask_b32_e32 v34, v35, v34, vcc
	v_mul_i32_i24_sdwa v35, v24, sext(v20) dst_sel:DWORD dst_unused:UNUSED_PAD src0_sel:BYTE_1 src1_sel:BYTE_1
	v_and_b32_e32 v37, 2, v36
	v_cmp_eq_u16_e32 vcc, 0, v37
	v_sub_u32_e32 v37, 0, v35
	v_cndmask_b32_e32 v35, v37, v35, vcc
	v_add_u32_e32 v34, v35, v34
	v_mul_i32_i24_sdwa v35, v24, sext(v20) dst_sel:DWORD dst_unused:UNUSED_PAD src0_sel:BYTE_2 src1_sel:BYTE_2
	v_and_b32_e32 v37, 4, v36
	v_cmp_eq_u16_e32 vcc, 0, v37
	v_sub_u32_e32 v37, 0, v35
	v_mul_i32_i24_sdwa v20, v24, sext(v20) dst_sel:DWORD dst_unused:UNUSED_PAD src0_sel:BYTE_3 src1_sel:BYTE_3
	v_and_b32_e32 v24, 8, v36
	v_cndmask_b32_e32 v35, v37, v35, vcc
	v_cmp_eq_u16_e32 vcc, 0, v24
	v_sub_u32_e32 v24, 0, v20
	v_cndmask_b32_e32 v20, v24, v20, vcc
	v_add3_u32 v20, v34, v35, v20
	v_mul_i32_i24_sdwa v24, v25, sext(v21) dst_sel:DWORD dst_unused:UNUSED_PAD src0_sel:BYTE_0 src1_sel:BYTE_0
	v_and_b32_e32 v34, 16, v36
	v_cmp_eq_u16_e32 vcc, 0, v34
	v_sub_u32_e32 v34, 0, v24
	v_cndmask_b32_e32 v24, v34, v24, vcc
	v_mul_i32_i24_sdwa v34, v25, sext(v21) dst_sel:DWORD dst_unused:UNUSED_PAD src0_sel:BYTE_1 src1_sel:BYTE_1
	v_and_b32_e32 v35, 32, v36
	v_cmp_eq_u16_e32 vcc, 0, v35
	v_sub_u32_e32 v35, 0, v34
	v_cndmask_b32_e32 v34, v35, v34, vcc
	v_add3_u32 v20, v20, v24, v34
	v_mul_i32_i24_sdwa v24, v25, sext(v21) dst_sel:DWORD dst_unused:UNUSED_PAD src0_sel:BYTE_2 src1_sel:BYTE_2
	v_sub_u32_e32 v34, 0, v24
	v_cmp_gt_i16_e32 vcc, 0, v11
	v_mul_i32_i24_sdwa v21, v25, sext(v21) dst_sel:DWORD dst_unused:UNUSED_PAD src0_sel:BYTE_3 src1_sel:BYTE_3
	v_cndmask_b32_e32 v24, v24, v34, vcc
	v_sub_u32_e32 v25, 0, v21
	v_cmp_gt_i16_e32 vcc, 0, v36
	v_cndmask_b32_e32 v21, v21, v25, vcc
	v_add3_u32 v24, v20, v24, v21
	v_lshrrev_b32_e32 v20, 13, v11
	v_lshrrev_b32_e32 v34, 25, v11
	v_and_b32_e32 v25, 0xff8, v20
	global_load_sbyte v35, v34, s[12:13]
	global_load_dwordx2 v[20:21], v25, s[10:11]
	s_waitcnt vmcnt(1)
	v_and_b32_e32 v34, 1, v35
	global_load_ushort v8, v[8:9], off
	s_waitcnt vmcnt(1)
	v_mul_i32_i24_sdwa v25, v20, sext(v22) dst_sel:DWORD dst_unused:UNUSED_PAD src0_sel:BYTE_0 src1_sel:BYTE_0
	global_load_ushort v6, v[6:7], off
	v_cmp_eq_u16_e32 vcc, 0, v34
	v_sub_u32_e32 v34, 0, v25
	v_cndmask_b32_e32 v25, v34, v25, vcc
	v_mul_i32_i24_sdwa v34, v20, sext(v22) dst_sel:DWORD dst_unused:UNUSED_PAD src0_sel:BYTE_1 src1_sel:BYTE_1
	v_and_b32_e32 v36, 2, v35
	v_cmp_eq_u16_e32 vcc, 0, v36
	v_sub_u32_e32 v36, 0, v34
	v_cndmask_b32_e32 v34, v36, v34, vcc
	v_add3_u32 v24, v24, v25, v34
	v_mul_i32_i24_sdwa v25, v20, sext(v22) dst_sel:DWORD dst_unused:UNUSED_PAD src0_sel:BYTE_2 src1_sel:BYTE_2
	v_and_b32_e32 v34, 4, v35
	v_cmp_eq_u16_e32 vcc, 0, v34
	v_sub_u32_e32 v34, 0, v25
	v_mul_i32_i24_sdwa v20, v20, sext(v22) dst_sel:DWORD dst_unused:UNUSED_PAD src0_sel:BYTE_3 src1_sel:BYTE_3
	v_and_b32_e32 v22, 8, v35
	v_cndmask_b32_e32 v25, v34, v25, vcc
	v_cmp_eq_u16_e32 vcc, 0, v22
	v_sub_u32_e32 v22, 0, v20
	v_cndmask_b32_e32 v20, v22, v20, vcc
	v_add3_u32 v20, v24, v25, v20
	v_mul_i32_i24_sdwa v22, v21, sext(v23) dst_sel:DWORD dst_unused:UNUSED_PAD src0_sel:BYTE_0 src1_sel:BYTE_0
	v_and_b32_e32 v24, 16, v35
	v_cmp_eq_u16_e32 vcc, 0, v24
	v_sub_u32_e32 v24, 0, v22
	v_cndmask_b32_e32 v22, v24, v22, vcc
	v_mul_i32_i24_sdwa v24, v21, sext(v23) dst_sel:DWORD dst_unused:UNUSED_PAD src0_sel:BYTE_1 src1_sel:BYTE_1
	v_and_b32_e32 v25, 32, v35
	v_cmp_eq_u16_e32 vcc, 0, v25
	v_sub_u32_e32 v25, 0, v24
	v_cndmask_b32_e32 v24, v25, v24, vcc
	v_add3_u32 v20, v20, v22, v24
	v_mul_i32_i24_sdwa v22, v21, sext(v23) dst_sel:DWORD dst_unused:UNUSED_PAD src0_sel:BYTE_2 src1_sel:BYTE_2
	v_sub_u32_e32 v24, 0, v22
	v_cmp_lt_i16_sdwa vcc, v11, v16 src0_sel:WORD_1 src1_sel:DWORD
	v_mul_i32_i24_sdwa v21, v21, sext(v23) dst_sel:DWORD dst_unused:UNUSED_PAD src0_sel:BYTE_3 src1_sel:BYTE_3
	v_cndmask_b32_e32 v11, v22, v24, vcc
	v_sub_u32_e32 v22, 0, v21
	v_cmp_gt_i16_e32 vcc, 0, v35
	v_cndmask_b32_e32 v21, v21, v22, vcc
	v_add3_u32 v11, v20, v11, v21
	v_add3_u32 v20, v26, v28, v29
	;; [unrolled: 1-line block ×5, first 2 shown]
	v_lshrrev_b16_e32 v20, 4, v19
	v_and_b32_e32 v19, 15, v19
	v_cvt_f32_ubyte0_e32 v9, v20
	v_cvt_f32_ubyte0_e32 v7, v19
	v_add_f32_e32 v9, 0.5, v9
	v_add_f32_e32 v7, 0.5, v7
	v_cmp_le_u32_e32 vcc, s6, v13
	s_or_b64 s[4:5], vcc, s[4:5]
	s_waitcnt vmcnt(1)
	v_cvt_f32_f16_e32 v8, v8
	s_waitcnt vmcnt(0)
	v_cvt_f32_f16_e32 v6, v6
	v_mul_f32_e32 v6, v8, v6
	v_cvt_f32_i32_e32 v8, v10
	v_cvt_f32_i32_e32 v10, v11
	v_mul_f32_e32 v6, 0x3e800000, v6
	v_mul_f32_e32 v9, v9, v10
	v_fmac_f32_e32 v9, v7, v8
	v_fmac_f32_e32 v14, v6, v9
	s_andn2_b64 exec, exec, s[4:5]
	s_cbranch_execnz .LBB89_3
; %bb.4:
	s_or_b64 exec, exec, s[4:5]
.LBB89_5:
	s_or_b64 exec, exec, s[8:9]
	v_mbcnt_lo_u32_b32 v0, -1, 0
	v_mbcnt_hi_u32_b32 v2, -1, v0
	v_and_b32_e32 v0, 64, v2
	v_add_u32_e32 v3, 64, v0
	v_xor_b32_e32 v0, 32, v2
	v_cmp_lt_i32_e32 vcc, v0, v3
	v_cndmask_b32_e32 v0, v2, v0, vcc
	v_lshlrev_b32_e32 v0, 2, v0
	ds_bpermute_b32 v0, v0, v14
	v_xor_b32_e32 v4, 16, v2
	v_cmp_lt_i32_e32 vcc, v4, v3
	v_cndmask_b32_e32 v4, v2, v4, vcc
	v_lshlrev_b32_e32 v4, 2, v4
	s_waitcnt lgkmcnt(0)
	v_add_f32_e32 v0, v14, v0
	ds_bpermute_b32 v4, v4, v0
	v_xor_b32_e32 v5, 8, v2
	v_cmp_lt_i32_e32 vcc, v5, v3
	s_waitcnt lgkmcnt(0)
	v_add_f32_e32 v0, v0, v4
	v_cndmask_b32_e32 v4, v2, v5, vcc
	v_lshlrev_b32_e32 v4, 2, v4
	ds_bpermute_b32 v4, v4, v0
	v_xor_b32_e32 v5, 4, v2
	v_cmp_lt_i32_e32 vcc, v5, v3
	s_waitcnt lgkmcnt(0)
	v_add_f32_e32 v0, v0, v4
	v_cndmask_b32_e32 v4, v2, v5, vcc
	v_lshlrev_b32_e32 v4, 2, v4
	;; [unrolled: 7-line block ×3, first 2 shown]
	ds_bpermute_b32 v4, v4, v0
	v_xor_b32_e32 v5, 1, v2
	v_cmp_lt_i32_e32 vcc, v5, v3
	v_cndmask_b32_e32 v2, v2, v5, vcc
	v_lshlrev_b32_e32 v2, 2, v2
	s_waitcnt lgkmcnt(0)
	v_add_f32_e32 v0, v0, v4
	ds_bpermute_b32 v2, v2, v0
	v_cmp_eq_u32_e32 vcc, 0, v12
	s_and_b64 exec, exec, vcc
	s_cbranch_execz .LBB89_7
; %bb.6:
	s_waitcnt lgkmcnt(0)
	v_add_f32_e32 v0, v0, v2
	s_mul_i32 s7, s7, s1
	v_cvt_f16_f32_e32 v2, v0
	v_add_u32_e32 v0, s7, v1
	v_mov_b32_e32 v1, 0
	v_lshlrev_b64 v[0:1], 1, v[0:1]
	v_mov_b32_e32 v3, s3
	v_add_co_u32_e32 v0, vcc, s2, v0
	v_addc_co_u32_e32 v1, vcc, v3, v1, vcc
	global_store_short v[0:1], v2, off
.LBB89_7:
	s_endpgm
	.section	.rodata,"a",@progbits
	.p2align	6, 0x0
	.amdhsa_kernel _ZL13mul_mat_vec_qIN3c104HalfELi256ELi8E12block_iq2_xsLi1EXadL_ZL19vec_dot_iq2_xs_q8_1PKvPK10block_q8_1RKiEEEvS4_S4_PT_iii
		.amdhsa_group_segment_fixed_size 0
		.amdhsa_private_segment_fixed_size 0
		.amdhsa_kernarg_size 296
		.amdhsa_user_sgpr_count 6
		.amdhsa_user_sgpr_private_segment_buffer 1
		.amdhsa_user_sgpr_dispatch_ptr 0
		.amdhsa_user_sgpr_queue_ptr 0
		.amdhsa_user_sgpr_kernarg_segment_ptr 1
		.amdhsa_user_sgpr_dispatch_id 0
		.amdhsa_user_sgpr_flat_scratch_init 0
		.amdhsa_user_sgpr_kernarg_preload_length 0
		.amdhsa_user_sgpr_kernarg_preload_offset 0
		.amdhsa_user_sgpr_private_segment_size 0
		.amdhsa_uses_dynamic_stack 0
		.amdhsa_system_sgpr_private_segment_wavefront_offset 0
		.amdhsa_system_sgpr_workgroup_id_x 1
		.amdhsa_system_sgpr_workgroup_id_y 1
		.amdhsa_system_sgpr_workgroup_id_z 0
		.amdhsa_system_sgpr_workgroup_info 0
		.amdhsa_system_vgpr_workitem_id 1
		.amdhsa_next_free_vgpr 38
		.amdhsa_next_free_sgpr 16
		.amdhsa_accum_offset 40
		.amdhsa_reserve_vcc 1
		.amdhsa_reserve_flat_scratch 0
		.amdhsa_float_round_mode_32 0
		.amdhsa_float_round_mode_16_64 0
		.amdhsa_float_denorm_mode_32 3
		.amdhsa_float_denorm_mode_16_64 3
		.amdhsa_dx10_clamp 1
		.amdhsa_ieee_mode 1
		.amdhsa_fp16_overflow 0
		.amdhsa_tg_split 0
		.amdhsa_exception_fp_ieee_invalid_op 0
		.amdhsa_exception_fp_denorm_src 0
		.amdhsa_exception_fp_ieee_div_zero 0
		.amdhsa_exception_fp_ieee_overflow 0
		.amdhsa_exception_fp_ieee_underflow 0
		.amdhsa_exception_fp_ieee_inexact 0
		.amdhsa_exception_int_div_zero 0
	.end_amdhsa_kernel
	.section	.text._ZL13mul_mat_vec_qIN3c104HalfELi256ELi8E12block_iq2_xsLi1EXadL_ZL19vec_dot_iq2_xs_q8_1PKvPK10block_q8_1RKiEEEvS4_S4_PT_iii,"axG",@progbits,_ZL13mul_mat_vec_qIN3c104HalfELi256ELi8E12block_iq2_xsLi1EXadL_ZL19vec_dot_iq2_xs_q8_1PKvPK10block_q8_1RKiEEEvS4_S4_PT_iii,comdat
.Lfunc_end89:
	.size	_ZL13mul_mat_vec_qIN3c104HalfELi256ELi8E12block_iq2_xsLi1EXadL_ZL19vec_dot_iq2_xs_q8_1PKvPK10block_q8_1RKiEEEvS4_S4_PT_iii, .Lfunc_end89-_ZL13mul_mat_vec_qIN3c104HalfELi256ELi8E12block_iq2_xsLi1EXadL_ZL19vec_dot_iq2_xs_q8_1PKvPK10block_q8_1RKiEEEvS4_S4_PT_iii
                                        ; -- End function
	.section	.AMDGPU.csdata,"",@progbits
; Kernel info:
; codeLenInByte = 1756
; NumSgprs: 20
; NumVgprs: 38
; NumAgprs: 0
; TotalNumVgprs: 38
; ScratchSize: 0
; MemoryBound: 0
; FloatMode: 240
; IeeeMode: 1
; LDSByteSize: 0 bytes/workgroup (compile time only)
; SGPRBlocks: 2
; VGPRBlocks: 4
; NumSGPRsForWavesPerEU: 20
; NumVGPRsForWavesPerEU: 38
; AccumOffset: 40
; Occupancy: 8
; WaveLimiterHint : 0
; COMPUTE_PGM_RSRC2:SCRATCH_EN: 0
; COMPUTE_PGM_RSRC2:USER_SGPR: 6
; COMPUTE_PGM_RSRC2:TRAP_HANDLER: 0
; COMPUTE_PGM_RSRC2:TGID_X_EN: 1
; COMPUTE_PGM_RSRC2:TGID_Y_EN: 1
; COMPUTE_PGM_RSRC2:TGID_Z_EN: 0
; COMPUTE_PGM_RSRC2:TIDIG_COMP_CNT: 1
; COMPUTE_PGM_RSRC3_GFX90A:ACCUM_OFFSET: 9
; COMPUTE_PGM_RSRC3_GFX90A:TG_SPLIT: 0
	.section	.text._ZL13mul_mat_vec_qIN3c104HalfELi256ELi8E13block_iq3_xxsLi1EXadL_ZL20vec_dot_iq3_xxs_q8_1PKvPK10block_q8_1RKiEEEvS4_S4_PT_iii,"axG",@progbits,_ZL13mul_mat_vec_qIN3c104HalfELi256ELi8E13block_iq3_xxsLi1EXadL_ZL20vec_dot_iq3_xxs_q8_1PKvPK10block_q8_1RKiEEEvS4_S4_PT_iii,comdat
	.globl	_ZL13mul_mat_vec_qIN3c104HalfELi256ELi8E13block_iq3_xxsLi1EXadL_ZL20vec_dot_iq3_xxs_q8_1PKvPK10block_q8_1RKiEEEvS4_S4_PT_iii ; -- Begin function _ZL13mul_mat_vec_qIN3c104HalfELi256ELi8E13block_iq3_xxsLi1EXadL_ZL20vec_dot_iq3_xxs_q8_1PKvPK10block_q8_1RKiEEEvS4_S4_PT_iii
	.p2align	8
	.type	_ZL13mul_mat_vec_qIN3c104HalfELi256ELi8E13block_iq3_xxsLi1EXadL_ZL20vec_dot_iq3_xxs_q8_1PKvPK10block_q8_1RKiEEEvS4_S4_PT_iii,@function
_ZL13mul_mat_vec_qIN3c104HalfELi256ELi8E13block_iq3_xxsLi1EXadL_ZL20vec_dot_iq3_xxs_q8_1PKvPK10block_q8_1RKiEEEvS4_S4_PT_iii: ; @_ZL13mul_mat_vec_qIN3c104HalfELi256ELi8E13block_iq3_xxsLi1EXadL_ZL20vec_dot_iq3_xxs_q8_1PKvPK10block_q8_1RKiEEEvS4_S4_PT_iii
; %bb.0:
	s_load_dword s0, s[4:5], 0x34
	s_load_dwordx4 s[8:11], s[4:5], 0x18
	v_bfe_u32 v1, v0, 10, 10
	s_waitcnt lgkmcnt(0)
	s_lshr_b32 s0, s0, 16
	s_mul_i32 s6, s6, s0
	v_add_u32_e32 v9, s6, v1
	s_cmp_lt_u32 s7, s10
	v_cmp_gt_u32_e32 vcc, s9, v9
	s_cselect_b64 s[0:1], -1, 0
	s_and_b64 s[0:1], s[0:1], vcc
	s_and_saveexec_b64 s[2:3], s[0:1]
	s_cbranch_execz .LBB90_7
; %bb.1:
	s_load_dwordx2 s[2:3], s[4:5], 0x10
	s_ashr_i32 s0, s8, 31
	s_lshr_b32 s0, s0, 24
	s_add_i32 s0, s8, s0
	v_and_b32_e32 v16, 0x3ff, v0
	s_ashr_i32 s6, s0, 8
	v_lshrrev_b32_e32 v18, 3, v16
	v_cmp_gt_u32_e32 vcc, s6, v18
	v_mov_b32_e32 v17, 0
	s_and_saveexec_b64 s[10:11], vcc
	s_cbranch_execz .LBB90_5
; %bb.2:
	s_load_dwordx4 s[12:15], s[4:5], 0x0
	s_add_i32 s0, s8, 0x1ff
	s_ashr_i32 s1, s0, 31
	s_lshr_b32 s1, s1, 23
	s_add_i32 s0, s0, s1
	s_ashr_i32 s0, s0, 9
	v_and_b32_e32 v1, 7, v16
	s_mul_i32 s4, s7, s0
	v_lshlrev_b32_e32 v8, 3, v1
	v_lshlrev_b32_e32 v0, 1, v1
	s_waitcnt lgkmcnt(0)
	v_mad_u64_u32 v[10:11], s[0:1], v1, 36, s[14:15]
	v_lshlrev_b32_e32 v1, 3, v18
	v_mul_lo_u32 v19, v9, s6
	v_mov_b32_e32 v17, 0
	v_lshl_add_u32 v20, s4, 4, v1
	s_mov_b64 s[4:5], 0
	s_movk_i32 s8, 0x62
	v_pk_mov_b32 v[12:13], s[12:13], s[12:13] op_sel:[0,1]
	v_lshlrev_b32_e32 v21, 1, v0
	s_mov_b32 s16, 0xffff
	s_mov_b32 s17, 0xc060c00
	v_mov_b32_e32 v22, 2
	s_getpc_b64 s[14:15]
	s_add_u32 s14, s14, _ZL11iq3xxs_grid@rel32@lo+4
	s_addc_u32 s15, s15, _ZL11iq3xxs_grid@rel32@hi+12
	s_getpc_b64 s[12:13]
	s_add_u32 s12, s12, _ZL8ksigns64@rel32@lo+4
	s_addc_u32 s13, s13, _ZL8ksigns64@rel32@hi+12
.LBB90_3:                               ; =>This Inner Loop Header: Depth=1
	v_add_u32_e32 v0, v19, v18
	v_mad_i64_i32 v[14:15], s[0:1], v20, 36, v[10:11]
	v_mad_i64_i32 v[24:25], s[0:1], v0, s8, v[12:13]
	global_load_dword v30, v[14:15], off offset:32
	global_load_dwordx4 v[4:7], v[14:15], off
	global_load_dwordx4 v[0:3], v[14:15], off offset:16
	v_add_co_u32_e64 v14, s[0:1], v24, v8
	v_addc_co_u32_e64 v15, s[0:1], 0, v25, s[0:1]
	v_add_co_u32_e64 v26, s[0:1], v24, v21
	v_addc_co_u32_e64 v27, s[0:1], 0, v25, s[0:1]
	global_load_dword v31, v[26:27], off offset:66
	global_load_dwordx2 v[28:29], v[14:15], off offset:2
	global_load_ushort v32, v[24:25], off
	v_mov_b32_e32 v23, 0
	v_add_u32_e32 v18, 8, v18
	v_cmp_le_u32_e32 vcc, s6, v18
	v_add_u32_e32 v20, 64, v20
	s_or_b64 s[4:5], vcc, s[4:5]
	s_waitcnt vmcnt(4)
	v_cvt_f32_f16_e32 v4, v4
	s_waitcnt vmcnt(2)
	v_and_b32_e32 v25, 0x7f, v31
	v_and_b32_e32 v14, 0xffff0000, v31
	s_waitcnt vmcnt(1)
	v_lshlrev_b32_sdwa v15, v22, v28 dst_sel:DWORD dst_unused:UNUSED_PAD src0_sel:DWORD src1_sel:BYTE_0
	v_lshlrev_b32_sdwa v24, v22, v28 dst_sel:DWORD dst_unused:UNUSED_PAD src0_sel:DWORD src1_sel:BYTE_1
	v_lshlrev_b32_sdwa v26, v22, v28 dst_sel:DWORD dst_unused:UNUSED_PAD src0_sel:DWORD src1_sel:BYTE_2
	v_lshlrev_b32_sdwa v27, v22, v28 dst_sel:DWORD dst_unused:UNUSED_PAD src0_sel:DWORD src1_sel:BYTE_3
	v_lshrrev_b32_e32 v28, 4, v31
	v_lshlrev_b32_sdwa v33, v22, v29 dst_sel:DWORD dst_unused:UNUSED_PAD src0_sel:DWORD src1_sel:BYTE_0
	v_lshlrev_b32_sdwa v34, v22, v29 dst_sel:DWORD dst_unused:UNUSED_PAD src0_sel:DWORD src1_sel:BYTE_1
	v_lshlrev_b32_sdwa v35, v22, v29 dst_sel:DWORD dst_unused:UNUSED_PAD src0_sel:DWORD src1_sel:BYTE_2
	v_lshrrev_b32_e32 v36, 18, v31
	v_lshlrev_b32_e32 v38, 3, v25
	v_lshlrev_b32_sdwa v29, v22, v29 dst_sel:DWORD dst_unused:UNUSED_PAD src0_sel:DWORD src1_sel:BYTE_3
	v_lshrrev_b32_e32 v37, 28, v31
	v_and_or_b32 v31, v31, s16, v14
	global_load_dword v39, v15, s[14:15]
	global_load_dword v40, v24, s[14:15]
	v_and_b32_e32 v28, 0x3f8, v28
	global_load_dword v41, v26, s[14:15]
	global_load_dword v42, v27, s[14:15]
	;; [unrolled: 1-line block ×4, first 2 shown]
	v_and_b32_e32 v33, 0x3f8, v36
	global_load_dword v34, v35, s[14:15]
	global_load_dword v36, v29, s[14:15]
	global_load_dwordx2 v[14:15], v38, s[12:13]
	global_load_dwordx2 v[24:25], v28, s[12:13]
	;; [unrolled: 1-line block ×3, first 2 shown]
	v_lshrrev_b32_e32 v28, 11, v31
	v_cvt_f32_ubyte0_e32 v29, v37
	v_and_b32_e32 v28, 0x3f8, v28
	v_add_f32_e32 v31, 0.5, v29
	global_load_dwordx2 v[28:29], v28, s[12:13]
	s_waitcnt vmcnt(12)
	v_cvt_f32_f16_e32 v32, v32
	s_waitcnt vmcnt(3)
	v_and_b32_e32 v35, 0xff000000, v14
	v_xor_b32_e32 v33, v14, v39
	v_and_b32_e32 v37, 0xff0000, v14
	v_and_b32_e32 v38, 0xff00, v14
	v_xor_b32_e32 v39, v15, v40
	v_and_b32_e32 v40, 0xff000000, v15
	v_and_b32_e32 v45, 0xff0000, v15
	;; [unrolled: 1-line block ×3, first 2 shown]
	s_waitcnt vmcnt(2)
	v_xor_b32_e32 v41, v24, v41
	v_and_b32_e32 v47, 0xff000000, v24
	v_and_b32_e32 v48, 0xff0000, v24
	;; [unrolled: 1-line block ×3, first 2 shown]
	v_xor_b32_e32 v42, v25, v42
	v_and_b32_e32 v50, 0xff000000, v25
	v_and_b32_e32 v51, 0xff0000, v25
	;; [unrolled: 1-line block ×3, first 2 shown]
	s_waitcnt vmcnt(1)
	v_xor_b32_e32 v34, v26, v34
	v_and_b32_e32 v53, 0xff000000, v26
	v_and_b32_e32 v54, 0xff0000, v26
	;; [unrolled: 1-line block ×3, first 2 shown]
	v_xor_b32_e32 v36, v27, v36
	v_and_b32_e32 v56, 0xff000000, v27
	v_and_b32_e32 v57, 0xff0000, v27
	;; [unrolled: 1-line block ×3, first 2 shown]
	v_sub_u32_e32 v35, v33, v35
	v_sub_u32_e32 v37, v33, v37
	;; [unrolled: 1-line block ×24, first 2 shown]
	v_and_b32_e32 v35, 0xff000000, v35
	v_and_b32_e32 v36, 0xff00, v38
	v_perm_b32 v14, v37, v14, s17
	v_and_b32_e32 v33, 0xff000000, v33
	v_and_b32_e32 v37, 0xff00, v45
	v_perm_b32 v15, v40, v15, s17
	v_or3_b32 v14, v14, v35, v36
	v_and_b32_e32 v38, 0xff000000, v39
	v_and_b32_e32 v39, 0xff00, v47
	v_perm_b32 v24, v46, v24, s17
	s_waitcnt vmcnt(0)
	v_xor_b32_e32 v43, v28, v43
	v_and_b32_e32 v45, 0xff000000, v28
	v_and_b32_e32 v46, 0xff0000, v28
	;; [unrolled: 1-line block ×3, first 2 shown]
	v_or3_b32 v15, v15, v33, v37
	v_dot4c_i32_i8_e32 v23, v14, v5
	v_and_b32_e32 v40, 0xff000000, v41
	v_and_b32_e32 v41, 0xff00, v49
	v_perm_b32 v25, v48, v25, s17
	v_xor_b32_e32 v44, v29, v44
	v_and_b32_e32 v48, 0xff000000, v29
	v_and_b32_e32 v49, 0xff0000, v29
	;; [unrolled: 1-line block ×3, first 2 shown]
	v_or3_b32 v24, v24, v38, v39
	v_sub_u32_e32 v33, v43, v45
	v_sub_u32_e32 v35, v43, v46
	;; [unrolled: 1-line block ×4, first 2 shown]
	v_dot4c_i32_i8_e32 v23, v15, v6
	v_perm_b32 v26, v50, v26, s17
	v_and_b32_e32 v34, 0xff000000, v34
	v_and_b32_e32 v50, 0xff00, v53
	v_perm_b32 v27, v52, v27, s17
	v_or3_b32 v25, v25, v40, v41
	v_sub_u32_e32 v37, v44, v48
	v_sub_u32_e32 v38, v44, v49
	;; [unrolled: 1-line block ×4, first 2 shown]
	v_and_b32_e32 v5, 0xff000000, v33
	v_and_b32_e32 v14, 0xff00, v36
	v_perm_b32 v28, v35, v28, s17
	v_dot4c_i32_i8_e32 v23, v24, v7
	v_or3_b32 v27, v27, v34, v50
	v_and_b32_e32 v33, 0xff000000, v37
	v_and_b32_e32 v34, 0xff00, v39
	v_perm_b32 v29, v38, v29, s17
	v_or3_b32 v5, v28, v5, v14
	v_dot4c_i32_i8_e32 v23, v25, v0
	v_and_b32_e32 v42, 0xff000000, v42
	v_and_b32_e32 v51, 0xff00, v51
	v_or3_b32 v6, v29, v33, v34
	v_dot4c_i32_i8_e32 v23, v5, v1
	v_or3_b32 v26, v26, v42, v51
	v_dot4c_i32_i8_e32 v23, v6, v2
	v_dot4c_i32_i8_e32 v23, v26, v3
	;; [unrolled: 1-line block ×3, first 2 shown]
	v_mul_f32_e32 v1, v31, v32
	v_mul_f32_e32 v1, v1, v4
	v_mul_f32_e32 v1, 0.5, v1
	v_cvt_f32_i32_e32 v0, v23
	v_fmac_f32_e32 v17, v1, v0
	s_andn2_b64 exec, exec, s[4:5]
	s_cbranch_execnz .LBB90_3
; %bb.4:
	s_or_b64 exec, exec, s[4:5]
.LBB90_5:
	s_or_b64 exec, exec, s[10:11]
	v_mbcnt_lo_u32_b32 v0, -1, 0
	v_mbcnt_hi_u32_b32 v1, -1, v0
	v_and_b32_e32 v0, 64, v1
	v_add_u32_e32 v2, 64, v0
	v_xor_b32_e32 v0, 32, v1
	v_cmp_lt_i32_e32 vcc, v0, v2
	v_cndmask_b32_e32 v0, v1, v0, vcc
	v_lshlrev_b32_e32 v0, 2, v0
	ds_bpermute_b32 v0, v0, v17
	v_xor_b32_e32 v3, 16, v1
	v_cmp_lt_i32_e32 vcc, v3, v2
	v_cndmask_b32_e32 v3, v1, v3, vcc
	v_lshlrev_b32_e32 v3, 2, v3
	s_waitcnt lgkmcnt(0)
	v_add_f32_e32 v0, v17, v0
	ds_bpermute_b32 v3, v3, v0
	v_xor_b32_e32 v4, 8, v1
	v_cmp_lt_i32_e32 vcc, v4, v2
	s_waitcnt lgkmcnt(0)
	v_add_f32_e32 v0, v0, v3
	v_cndmask_b32_e32 v3, v1, v4, vcc
	v_lshlrev_b32_e32 v3, 2, v3
	ds_bpermute_b32 v3, v3, v0
	v_xor_b32_e32 v4, 4, v1
	v_cmp_lt_i32_e32 vcc, v4, v2
	s_waitcnt lgkmcnt(0)
	v_add_f32_e32 v0, v0, v3
	v_cndmask_b32_e32 v3, v1, v4, vcc
	v_lshlrev_b32_e32 v3, 2, v3
	;; [unrolled: 7-line block ×3, first 2 shown]
	ds_bpermute_b32 v3, v3, v0
	v_xor_b32_e32 v4, 1, v1
	v_cmp_lt_i32_e32 vcc, v4, v2
	v_cndmask_b32_e32 v1, v1, v4, vcc
	v_lshlrev_b32_e32 v1, 2, v1
	s_waitcnt lgkmcnt(0)
	v_add_f32_e32 v0, v0, v3
	ds_bpermute_b32 v1, v1, v0
	v_cmp_eq_u32_e32 vcc, 0, v16
	s_and_b64 exec, exec, vcc
	s_cbranch_execz .LBB90_7
; %bb.6:
	s_waitcnt lgkmcnt(0)
	v_add_f32_e32 v0, v0, v1
	s_mul_i32 s7, s7, s9
	v_cvt_f16_f32_e32 v2, v0
	v_add_u32_e32 v0, s7, v9
	v_mov_b32_e32 v1, 0
	v_lshlrev_b64 v[0:1], 1, v[0:1]
	v_mov_b32_e32 v3, s3
	v_add_co_u32_e32 v0, vcc, s2, v0
	v_addc_co_u32_e32 v1, vcc, v3, v1, vcc
	global_store_short v[0:1], v2, off
.LBB90_7:
	s_endpgm
	.section	.rodata,"a",@progbits
	.p2align	6, 0x0
	.amdhsa_kernel _ZL13mul_mat_vec_qIN3c104HalfELi256ELi8E13block_iq3_xxsLi1EXadL_ZL20vec_dot_iq3_xxs_q8_1PKvPK10block_q8_1RKiEEEvS4_S4_PT_iii
		.amdhsa_group_segment_fixed_size 0
		.amdhsa_private_segment_fixed_size 0
		.amdhsa_kernarg_size 296
		.amdhsa_user_sgpr_count 6
		.amdhsa_user_sgpr_private_segment_buffer 1
		.amdhsa_user_sgpr_dispatch_ptr 0
		.amdhsa_user_sgpr_queue_ptr 0
		.amdhsa_user_sgpr_kernarg_segment_ptr 1
		.amdhsa_user_sgpr_dispatch_id 0
		.amdhsa_user_sgpr_flat_scratch_init 0
		.amdhsa_user_sgpr_kernarg_preload_length 0
		.amdhsa_user_sgpr_kernarg_preload_offset 0
		.amdhsa_user_sgpr_private_segment_size 0
		.amdhsa_uses_dynamic_stack 0
		.amdhsa_system_sgpr_private_segment_wavefront_offset 0
		.amdhsa_system_sgpr_workgroup_id_x 1
		.amdhsa_system_sgpr_workgroup_id_y 1
		.amdhsa_system_sgpr_workgroup_id_z 0
		.amdhsa_system_sgpr_workgroup_info 0
		.amdhsa_system_vgpr_workitem_id 1
		.amdhsa_next_free_vgpr 59
		.amdhsa_next_free_sgpr 18
		.amdhsa_accum_offset 60
		.amdhsa_reserve_vcc 1
		.amdhsa_reserve_flat_scratch 0
		.amdhsa_float_round_mode_32 0
		.amdhsa_float_round_mode_16_64 0
		.amdhsa_float_denorm_mode_32 3
		.amdhsa_float_denorm_mode_16_64 3
		.amdhsa_dx10_clamp 1
		.amdhsa_ieee_mode 1
		.amdhsa_fp16_overflow 0
		.amdhsa_tg_split 0
		.amdhsa_exception_fp_ieee_invalid_op 0
		.amdhsa_exception_fp_denorm_src 0
		.amdhsa_exception_fp_ieee_div_zero 0
		.amdhsa_exception_fp_ieee_overflow 0
		.amdhsa_exception_fp_ieee_underflow 0
		.amdhsa_exception_fp_ieee_inexact 0
		.amdhsa_exception_int_div_zero 0
	.end_amdhsa_kernel
	.section	.text._ZL13mul_mat_vec_qIN3c104HalfELi256ELi8E13block_iq3_xxsLi1EXadL_ZL20vec_dot_iq3_xxs_q8_1PKvPK10block_q8_1RKiEEEvS4_S4_PT_iii,"axG",@progbits,_ZL13mul_mat_vec_qIN3c104HalfELi256ELi8E13block_iq3_xxsLi1EXadL_ZL20vec_dot_iq3_xxs_q8_1PKvPK10block_q8_1RKiEEEvS4_S4_PT_iii,comdat
.Lfunc_end90:
	.size	_ZL13mul_mat_vec_qIN3c104HalfELi256ELi8E13block_iq3_xxsLi1EXadL_ZL20vec_dot_iq3_xxs_q8_1PKvPK10block_q8_1RKiEEEvS4_S4_PT_iii, .Lfunc_end90-_ZL13mul_mat_vec_qIN3c104HalfELi256ELi8E13block_iq3_xxsLi1EXadL_ZL20vec_dot_iq3_xxs_q8_1PKvPK10block_q8_1RKiEEEvS4_S4_PT_iii
                                        ; -- End function
	.section	.AMDGPU.csdata,"",@progbits
; Kernel info:
; codeLenInByte = 1628
; NumSgprs: 22
; NumVgprs: 59
; NumAgprs: 0
; TotalNumVgprs: 59
; ScratchSize: 0
; MemoryBound: 0
; FloatMode: 240
; IeeeMode: 1
; LDSByteSize: 0 bytes/workgroup (compile time only)
; SGPRBlocks: 2
; VGPRBlocks: 7
; NumSGPRsForWavesPerEU: 22
; NumVGPRsForWavesPerEU: 59
; AccumOffset: 60
; Occupancy: 8
; WaveLimiterHint : 0
; COMPUTE_PGM_RSRC2:SCRATCH_EN: 0
; COMPUTE_PGM_RSRC2:USER_SGPR: 6
; COMPUTE_PGM_RSRC2:TRAP_HANDLER: 0
; COMPUTE_PGM_RSRC2:TGID_X_EN: 1
; COMPUTE_PGM_RSRC2:TGID_Y_EN: 1
; COMPUTE_PGM_RSRC2:TGID_Z_EN: 0
; COMPUTE_PGM_RSRC2:TIDIG_COMP_CNT: 1
; COMPUTE_PGM_RSRC3_GFX90A:ACCUM_OFFSET: 14
; COMPUTE_PGM_RSRC3_GFX90A:TG_SPLIT: 0
	.section	.text._ZL13mul_mat_vec_qIN3c104HalfELi256ELi8E11block_iq1_sLi1EXadL_ZL18vec_dot_iq1_s_q8_1PKvPK10block_q8_1RKiEEEvS4_S4_PT_iii,"axG",@progbits,_ZL13mul_mat_vec_qIN3c104HalfELi256ELi8E11block_iq1_sLi1EXadL_ZL18vec_dot_iq1_s_q8_1PKvPK10block_q8_1RKiEEEvS4_S4_PT_iii,comdat
	.globl	_ZL13mul_mat_vec_qIN3c104HalfELi256ELi8E11block_iq1_sLi1EXadL_ZL18vec_dot_iq1_s_q8_1PKvPK10block_q8_1RKiEEEvS4_S4_PT_iii ; -- Begin function _ZL13mul_mat_vec_qIN3c104HalfELi256ELi8E11block_iq1_sLi1EXadL_ZL18vec_dot_iq1_s_q8_1PKvPK10block_q8_1RKiEEEvS4_S4_PT_iii
	.p2align	8
	.type	_ZL13mul_mat_vec_qIN3c104HalfELi256ELi8E11block_iq1_sLi1EXadL_ZL18vec_dot_iq1_s_q8_1PKvPK10block_q8_1RKiEEEvS4_S4_PT_iii,@function
_ZL13mul_mat_vec_qIN3c104HalfELi256ELi8E11block_iq1_sLi1EXadL_ZL18vec_dot_iq1_s_q8_1PKvPK10block_q8_1RKiEEEvS4_S4_PT_iii: ; @_ZL13mul_mat_vec_qIN3c104HalfELi256ELi8E11block_iq1_sLi1EXadL_ZL18vec_dot_iq1_s_q8_1PKvPK10block_q8_1RKiEEEvS4_S4_PT_iii
; %bb.0:
	s_load_dword s8, s[4:5], 0x34
	s_load_dwordx4 s[0:3], s[4:5], 0x18
	v_bfe_u32 v1, v0, 10, 10
	s_waitcnt lgkmcnt(0)
	s_lshr_b32 s3, s8, 16
	s_mul_i32 s6, s6, s3
	v_add_u32_e32 v1, s6, v1
	s_cmp_lt_u32 s7, s2
	v_cmp_gt_u32_e32 vcc, s1, v1
	s_cselect_b64 s[2:3], -1, 0
	s_and_b64 s[2:3], s[2:3], vcc
	s_and_saveexec_b64 s[8:9], s[2:3]
	s_cbranch_execz .LBB91_7
; %bb.1:
	s_load_dwordx2 s[2:3], s[4:5], 0x10
	s_ashr_i32 s6, s0, 31
	s_lshr_b32 s6, s6, 24
	s_add_i32 s6, s0, s6
	v_and_b32_e32 v2, 0x3ff, v0
	s_ashr_i32 s6, s6, 8
	v_lshrrev_b32_e32 v4, 3, v2
	v_cmp_gt_u32_e32 vcc, s6, v4
	v_mov_b32_e32 v3, 0
	s_and_saveexec_b64 s[12:13], vcc
	s_cbranch_execz .LBB91_5
; %bb.2:
	s_addk_i32 s0, 0x1ff
	s_load_dwordx4 s[8:11], s[4:5], 0x0
	s_ashr_i32 s4, s0, 31
	s_lshr_b32 s4, s4, 23
	s_add_i32 s0, s0, s4
	s_ashr_i32 s0, s0, 9
	v_and_b32_e32 v0, 7, v2
	s_mul_i32 s0, s7, s0
	v_lshlrev_b32_e32 v8, 1, v0
	v_lshlrev_b32_e32 v6, 3, v4
	v_mul_lo_u32 v5, v1, s6
	v_mov_b32_e32 v3, 0
	v_lshl_add_u32 v6, s0, 4, v6
	s_mov_b64 s[4:5], 0
	v_lshlrev_b32_e32 v7, 1, v8
	v_lshlrev_b32_e32 v8, 1, v0
	s_movk_i32 s0, 0x700
.LBB91_3:                               ; =>This Inner Loop Header: Depth=1
	v_add_u32_e32 v9, v5, v4
	s_waitcnt lgkmcnt(0)
	v_mad_i64_i32 v[18:19], s[14:15], v9, 50, s[8:9]
	v_add_co_u32_e32 v10, vcc, v18, v7
	v_addc_co_u32_e32 v11, vcc, 0, v19, vcc
	v_add_co_u32_e32 v12, vcc, v18, v8
	v_addc_co_u32_e32 v13, vcc, 0, v19, vcc
	global_load_dword v9, v[10:11], off offset:2
	global_load_ushort v22, v[12:13], off offset:34
	v_mad_i64_i32 v[10:11], s[14:15], v6, 36, s[10:11]
	v_mad_u64_u32 v[20:21], s[16:17], v0, 36, v[10:11]
	global_load_dwordx4 v[10:13], v[20:21], off
	global_load_dwordx4 v[14:17], v[20:21], off offset:16
	global_load_ushort v23, v[18:19], off
	s_getpc_b64 s[14:15]
	s_add_u32 s14, s14, _ZL13iq1s_grid_gpu@rel32@lo+4
	s_addc_u32 s15, s15, _ZL13iq1s_grid_gpu@rel32@hi+12
	v_add_u32_e32 v4, 8, v4
	v_cmp_le_u32_e32 vcc, s6, v4
	v_add_u32_e32 v6, 64, v6
	s_or_b64 s[4:5], vcc, s[4:5]
	s_waitcnt vmcnt(4)
	v_and_b32_e32 v24, 0xff, v9
	s_waitcnt vmcnt(3)
	v_lshlrev_b32_e32 v25, 8, v22
	v_lshrrev_b16_e32 v18, 8, v9
	v_lshrrev_b32_e32 v19, 24, v9
	v_lshlrev_b32_e32 v26, 5, v22
	v_bfe_u32 v9, v9, 16, 8
	v_lshlrev_b32_e32 v27, 2, v22
	v_lshrrev_b32_e32 v28, 1, v22
	v_and_or_b32 v24, v25, s0, v24
	v_and_or_b32 v18, v26, s0, v18
	;; [unrolled: 1-line block ×4, first 2 shown]
	v_lshlrev_b32_e32 v24, 3, v24
	v_lshlrev_b32_e32 v18, 3, v18
	;; [unrolled: 1-line block ×4, first 2 shown]
	global_load_dword v25, v24, s[14:15]
	global_load_dword v26, v18, s[14:15]
	;; [unrolled: 1-line block ×4, first 2 shown]
	global_load_dword v29, v[20:21], off offset:32
	v_lshrrev_b32_e32 v18, 11, v22
	v_mov_b32_e32 v9, 0
	s_waitcnt vmcnt(7)
	v_cvt_f32_f16_e32 v20, v10
	v_cvt_f32_f16_sdwa v21, v10 dst_sel:DWORD dst_unused:UNUSED_PAD src0_sel:WORD_1
	s_waitcnt vmcnt(5)
	v_cvt_f32_f16_e32 v10, v23
	v_and_or_b32 v23, v18, 14, 1
	v_and_b32_e32 v22, 0x8000, v22
	v_cvt_f32_u32_e32 v22, v22
	v_mov_b32_e32 v19, 0xbf600000
	v_fmac_f32_e32 v19, 0xb7000000, v22
	s_waitcnt vmcnt(4)
	v_and_b32_e32 v18, 0xf0f0f0f, v25
	v_lshrrev_b32_e32 v24, 4, v25
	v_and_b32_e32 v24, 0xf0f0f0f, v24
	v_dot4c_i32_i8_e32 v9, v18, v11
	s_waitcnt vmcnt(3)
	v_and_b32_e32 v25, 0xf0f0f0f, v26
	v_lshrrev_b32_e32 v26, 4, v26
	v_dot4c_i32_i8_e32 v9, v24, v12
	v_and_b32_e32 v11, 0xf0f0f0f, v26
	v_dot4c_i32_i8_e32 v9, v25, v13
	s_waitcnt vmcnt(2)
	v_and_b32_e32 v30, 0xf0f0f0f, v27
	v_lshrrev_b32_e32 v27, 4, v27
	v_dot4c_i32_i8_e32 v9, v11, v14
	;; [unrolled: 6-line block ×3, first 2 shown]
	v_and_b32_e32 v26, 0xf0f0f0f, v28
	v_dot4c_i32_i8_e32 v9, v31, v17
	s_waitcnt vmcnt(0)
	v_dot4c_i32_i8_e32 v9, v26, v29
	s_nop 2
	v_cvt_f32_i32_e32 v18, v9
	v_cvt_f32_ubyte0_e32 v9, v23
	v_mul_f32_e32 v9, v9, v10
	v_pk_mul_f32 v[10:11], v[18:19], v[20:21]
	v_add_f32_e32 v10, v10, v11
	v_fmac_f32_e32 v3, v9, v10
	s_andn2_b64 exec, exec, s[4:5]
	s_cbranch_execnz .LBB91_3
; %bb.4:
	s_or_b64 exec, exec, s[4:5]
.LBB91_5:
	s_or_b64 exec, exec, s[12:13]
	v_mbcnt_lo_u32_b32 v0, -1, 0
	v_mbcnt_hi_u32_b32 v4, -1, v0
	v_and_b32_e32 v0, 64, v4
	v_add_u32_e32 v5, 64, v0
	v_xor_b32_e32 v0, 32, v4
	v_cmp_lt_i32_e32 vcc, v0, v5
	v_cndmask_b32_e32 v0, v4, v0, vcc
	v_lshlrev_b32_e32 v0, 2, v0
	ds_bpermute_b32 v0, v0, v3
	v_xor_b32_e32 v6, 16, v4
	v_cmp_lt_i32_e32 vcc, v6, v5
	s_waitcnt lgkmcnt(0)
	v_add_f32_e32 v0, v3, v0
	v_cndmask_b32_e32 v3, v4, v6, vcc
	v_lshlrev_b32_e32 v3, 2, v3
	ds_bpermute_b32 v3, v3, v0
	v_xor_b32_e32 v6, 8, v4
	v_cmp_lt_i32_e32 vcc, v6, v5
	s_waitcnt lgkmcnt(0)
	v_add_f32_e32 v0, v0, v3
	;; [unrolled: 7-line block ×5, first 2 shown]
	v_cndmask_b32_e32 v3, v4, v6, vcc
	v_lshlrev_b32_e32 v3, 2, v3
	ds_bpermute_b32 v3, v3, v0
	v_cmp_eq_u32_e32 vcc, 0, v2
	s_and_b64 exec, exec, vcc
	s_cbranch_execz .LBB91_7
; %bb.6:
	s_waitcnt lgkmcnt(0)
	v_add_f32_e32 v0, v0, v3
	s_mul_i32 s7, s7, s1
	v_cvt_f16_f32_e32 v2, v0
	v_add_u32_e32 v0, s7, v1
	v_mov_b32_e32 v1, 0
	v_lshlrev_b64 v[0:1], 1, v[0:1]
	v_mov_b32_e32 v3, s3
	v_add_co_u32_e32 v0, vcc, s2, v0
	v_addc_co_u32_e32 v1, vcc, v3, v1, vcc
	global_store_short v[0:1], v2, off
.LBB91_7:
	s_endpgm
	.section	.rodata,"a",@progbits
	.p2align	6, 0x0
	.amdhsa_kernel _ZL13mul_mat_vec_qIN3c104HalfELi256ELi8E11block_iq1_sLi1EXadL_ZL18vec_dot_iq1_s_q8_1PKvPK10block_q8_1RKiEEEvS4_S4_PT_iii
		.amdhsa_group_segment_fixed_size 0
		.amdhsa_private_segment_fixed_size 0
		.amdhsa_kernarg_size 296
		.amdhsa_user_sgpr_count 6
		.amdhsa_user_sgpr_private_segment_buffer 1
		.amdhsa_user_sgpr_dispatch_ptr 0
		.amdhsa_user_sgpr_queue_ptr 0
		.amdhsa_user_sgpr_kernarg_segment_ptr 1
		.amdhsa_user_sgpr_dispatch_id 0
		.amdhsa_user_sgpr_flat_scratch_init 0
		.amdhsa_user_sgpr_kernarg_preload_length 0
		.amdhsa_user_sgpr_kernarg_preload_offset 0
		.amdhsa_user_sgpr_private_segment_size 0
		.amdhsa_uses_dynamic_stack 0
		.amdhsa_system_sgpr_private_segment_wavefront_offset 0
		.amdhsa_system_sgpr_workgroup_id_x 1
		.amdhsa_system_sgpr_workgroup_id_y 1
		.amdhsa_system_sgpr_workgroup_id_z 0
		.amdhsa_system_sgpr_workgroup_info 0
		.amdhsa_system_vgpr_workitem_id 1
		.amdhsa_next_free_vgpr 32
		.amdhsa_next_free_sgpr 18
		.amdhsa_accum_offset 32
		.amdhsa_reserve_vcc 1
		.amdhsa_reserve_flat_scratch 0
		.amdhsa_float_round_mode_32 0
		.amdhsa_float_round_mode_16_64 0
		.amdhsa_float_denorm_mode_32 3
		.amdhsa_float_denorm_mode_16_64 3
		.amdhsa_dx10_clamp 1
		.amdhsa_ieee_mode 1
		.amdhsa_fp16_overflow 0
		.amdhsa_tg_split 0
		.amdhsa_exception_fp_ieee_invalid_op 0
		.amdhsa_exception_fp_denorm_src 0
		.amdhsa_exception_fp_ieee_div_zero 0
		.amdhsa_exception_fp_ieee_overflow 0
		.amdhsa_exception_fp_ieee_underflow 0
		.amdhsa_exception_fp_ieee_inexact 0
		.amdhsa_exception_int_div_zero 0
	.end_amdhsa_kernel
	.section	.text._ZL13mul_mat_vec_qIN3c104HalfELi256ELi8E11block_iq1_sLi1EXadL_ZL18vec_dot_iq1_s_q8_1PKvPK10block_q8_1RKiEEEvS4_S4_PT_iii,"axG",@progbits,_ZL13mul_mat_vec_qIN3c104HalfELi256ELi8E11block_iq1_sLi1EXadL_ZL18vec_dot_iq1_s_q8_1PKvPK10block_q8_1RKiEEEvS4_S4_PT_iii,comdat
.Lfunc_end91:
	.size	_ZL13mul_mat_vec_qIN3c104HalfELi256ELi8E11block_iq1_sLi1EXadL_ZL18vec_dot_iq1_s_q8_1PKvPK10block_q8_1RKiEEEvS4_S4_PT_iii, .Lfunc_end91-_ZL13mul_mat_vec_qIN3c104HalfELi256ELi8E11block_iq1_sLi1EXadL_ZL18vec_dot_iq1_s_q8_1PKvPK10block_q8_1RKiEEEvS4_S4_PT_iii
                                        ; -- End function
	.section	.AMDGPU.csdata,"",@progbits
; Kernel info:
; codeLenInByte = 980
; NumSgprs: 22
; NumVgprs: 32
; NumAgprs: 0
; TotalNumVgprs: 32
; ScratchSize: 0
; MemoryBound: 0
; FloatMode: 240
; IeeeMode: 1
; LDSByteSize: 0 bytes/workgroup (compile time only)
; SGPRBlocks: 2
; VGPRBlocks: 3
; NumSGPRsForWavesPerEU: 22
; NumVGPRsForWavesPerEU: 32
; AccumOffset: 32
; Occupancy: 8
; WaveLimiterHint : 0
; COMPUTE_PGM_RSRC2:SCRATCH_EN: 0
; COMPUTE_PGM_RSRC2:USER_SGPR: 6
; COMPUTE_PGM_RSRC2:TRAP_HANDLER: 0
; COMPUTE_PGM_RSRC2:TGID_X_EN: 1
; COMPUTE_PGM_RSRC2:TGID_Y_EN: 1
; COMPUTE_PGM_RSRC2:TGID_Z_EN: 0
; COMPUTE_PGM_RSRC2:TIDIG_COMP_CNT: 1
; COMPUTE_PGM_RSRC3_GFX90A:ACCUM_OFFSET: 7
; COMPUTE_PGM_RSRC3_GFX90A:TG_SPLIT: 0
	.section	.text._ZL13mul_mat_vec_qIN3c104HalfELi32ELi4E12block_iq4_nlLi2EXadL_ZL19vec_dot_iq4_nl_q8_1PKvPK10block_q8_1RKiEEEvS4_S4_PT_iii,"axG",@progbits,_ZL13mul_mat_vec_qIN3c104HalfELi32ELi4E12block_iq4_nlLi2EXadL_ZL19vec_dot_iq4_nl_q8_1PKvPK10block_q8_1RKiEEEvS4_S4_PT_iii,comdat
	.globl	_ZL13mul_mat_vec_qIN3c104HalfELi32ELi4E12block_iq4_nlLi2EXadL_ZL19vec_dot_iq4_nl_q8_1PKvPK10block_q8_1RKiEEEvS4_S4_PT_iii ; -- Begin function _ZL13mul_mat_vec_qIN3c104HalfELi32ELi4E12block_iq4_nlLi2EXadL_ZL19vec_dot_iq4_nl_q8_1PKvPK10block_q8_1RKiEEEvS4_S4_PT_iii
	.p2align	8
	.type	_ZL13mul_mat_vec_qIN3c104HalfELi32ELi4E12block_iq4_nlLi2EXadL_ZL19vec_dot_iq4_nl_q8_1PKvPK10block_q8_1RKiEEEvS4_S4_PT_iii,@function
_ZL13mul_mat_vec_qIN3c104HalfELi32ELi4E12block_iq4_nlLi2EXadL_ZL19vec_dot_iq4_nl_q8_1PKvPK10block_q8_1RKiEEEvS4_S4_PT_iii: ; @_ZL13mul_mat_vec_qIN3c104HalfELi32ELi4E12block_iq4_nlLi2EXadL_ZL19vec_dot_iq4_nl_q8_1PKvPK10block_q8_1RKiEEEvS4_S4_PT_iii
; %bb.0:
	s_load_dword s8, s[4:5], 0x34
	s_load_dwordx4 s[0:3], s[4:5], 0x18
	v_bfe_u32 v1, v0, 10, 10
	s_waitcnt lgkmcnt(0)
	s_lshr_b32 s3, s8, 16
	s_mul_i32 s6, s6, s3
	v_add_u32_e32 v1, s6, v1
	s_cmp_lt_u32 s7, s2
	v_cmp_gt_u32_e32 vcc, s1, v1
	s_cselect_b64 s[2:3], -1, 0
	s_and_b64 s[2:3], s[2:3], vcc
	s_and_saveexec_b64 s[8:9], s[2:3]
	s_cbranch_execz .LBB92_7
; %bb.1:
	s_load_dwordx2 s[2:3], s[4:5], 0x10
	s_ashr_i32 s6, s0, 31
	s_lshr_b32 s6, s6, 27
	s_add_i32 s6, s0, s6
	v_and_b32_e32 v0, 0x3ff, v0
	s_ashr_i32 s6, s6, 5
	v_lshrrev_b32_e32 v3, 1, v0
	v_cmp_gt_u32_e32 vcc, s6, v3
	v_mov_b32_e32 v2, 0
	s_and_saveexec_b64 s[12:13], vcc
	s_cbranch_execz .LBB92_5
; %bb.2:
	s_addk_i32 s0, 0x1ff
	s_load_dwordx4 s[8:11], s[4:5], 0x0
	s_ashr_i32 s4, s0, 31
	s_lshr_b32 s4, s4, 23
	s_add_i32 s0, s0, s4
	v_lshlrev_b32_e32 v2, 1, v0
	s_ashr_i32 s0, s0, 9
	v_and_b32_e32 v6, 2, v2
	s_mul_i32 s0, s7, s0
	v_lshlrev_b32_e32 v8, 1, v6
	v_mul_lo_u32 v4, v1, s6
	s_lshl_b32 s0, s0, 4
	v_mov_b32_e32 v2, 0
	s_mov_b64 s[4:5], 0
	v_lshlrev_b32_e32 v5, 1, v8
	v_lshlrev_b32_e32 v6, 2, v6
.LBB92_3:                               ; =>This Inner Loop Header: Depth=1
	v_add_u32_e32 v7, v4, v3
	s_waitcnt lgkmcnt(0)
	v_mad_i64_i32 v[8:9], s[14:15], v7, 18, s[8:9]
	v_add_co_u32_e32 v10, vcc, v8, v5
	v_addc_co_u32_e32 v11, vcc, 0, v9, vcc
	global_load_dwordx2 v[10:11], v[10:11], off offset:2
	v_add_u32_e32 v7, s0, v3
	v_mad_i64_i32 v[12:13], s[16:17], v7, 36, s[10:11]
	v_add_co_u32_e32 v14, vcc, v12, v6
	s_getpc_b64 s[14:15]
	s_add_u32 s14, s14, _ZL13kvalues_iq4nl@rel32@lo+4
	s_addc_u32 s15, s15, _ZL13kvalues_iq4nl@rel32@hi+12
	v_addc_co_u32_e32 v15, vcc, 0, v13, vcc
	global_load_ushort v7, v[8:9], off
	global_load_dwordx2 v[16:17], v[14:15], off offset:4
	global_load_dwordx2 v[18:19], v[14:15], off offset:20
	v_add_u32_e32 v3, 32, v3
	v_cmp_le_u32_e32 vcc, s6, v3
	s_or_b64 s[4:5], vcc, s[4:5]
	s_waitcnt vmcnt(3)
	v_bfe_u32 v8, v10, 24, 4
	v_and_b32_e32 v9, 15, v10
	v_bfe_u32 v14, v10, 8, 4
	v_bfe_u32 v15, v10, 16, 4
	;; [unrolled: 1-line block ×4, first 2 shown]
	v_lshrrev_b32_e32 v22, 28, v10
	v_bfe_u32 v10, v10, 4, 4
	v_bfe_u32 v23, v11, 24, 4
	v_and_b32_e32 v24, 15, v11
	v_bfe_u32 v25, v11, 8, 4
	v_bfe_u32 v26, v11, 16, 4
	;; [unrolled: 1-line block ×4, first 2 shown]
	v_lshrrev_b32_e32 v29, 28, v11
	v_bfe_u32 v11, v11, 4, 4
	global_load_ubyte v30, v14, s[14:15]
	global_load_ubyte v31, v15, s[14:15]
	;; [unrolled: 1-line block ×15, first 2 shown]
                                        ; kill: killed $vgpr25
                                        ; kill: killed $vgpr11
                                        ; kill: killed $vgpr9
                                        ; kill: killed $vgpr10
                                        ; kill: killed $vgpr24
                                        ; kill: killed $vgpr28
                                        ; kill: killed $vgpr15
                                        ; kill: killed $vgpr8
                                        ; kill: killed $vgpr14
                                        ; kill: killed $vgpr20
                                        ; kill: killed $vgpr29
                                        ; kill: killed $vgpr22
                                        ; kill: killed $vgpr27
                                        ; kill: killed $vgpr26
                                        ; kill: killed $vgpr21
	global_load_ubyte v8, v23, s[14:15]
	global_load_dword v9, v[12:13], off
	v_mov_b32_e32 v10, 0
	v_mov_b32_e32 v11, 0
	s_waitcnt vmcnt(19)
	v_cvt_f32_f16_e32 v7, v7
	s_waitcnt vmcnt(15)
	v_lshlrev_b32_e32 v13, 16, v31
	s_waitcnt vmcnt(13)
	v_lshlrev_b32_e32 v20, 16, v33
	s_waitcnt vmcnt(12)
	v_lshl_or_b32 v21, v32, 8, v34
	s_waitcnt vmcnt(11)
	v_lshlrev_b32_e32 v15, 24, v35
	s_waitcnt vmcnt(10)
	v_lshl_or_b32 v14, v30, 8, v36
	s_waitcnt vmcnt(9)
	v_lshlrev_b32_e32 v12, 24, v37
	v_or3_b32 v12, v14, v13, v12
	s_waitcnt vmcnt(7)
	v_lshlrev_b32_e32 v22, 16, v39
	v_or3_b32 v13, v21, v20, v15
	s_waitcnt vmcnt(5)
	v_lshlrev_b32_e32 v25, 16, v41
	s_waitcnt vmcnt(4)
	v_lshl_or_b32 v26, v40, 8, v42
	s_waitcnt vmcnt(3)
	v_lshlrev_b32_e32 v24, 24, v43
	s_waitcnt vmcnt(2)
	v_lshl_or_b32 v23, v38, 8, v44
	v_or3_b32 v14, v26, v25, v24
	v_dot4c_i32_i8_e32 v10, v12, v16
	v_dot4c_i32_i8_e32 v11, v13, v18
	v_dot4c_i32_i8_e32 v11, v14, v19
	s_waitcnt vmcnt(1)
	v_lshlrev_b32_e32 v8, 24, v8
	v_or3_b32 v8, v23, v22, v8
	v_dot4c_i32_i8_e32 v10, v8, v17
	s_waitcnt vmcnt(0)
	v_cvt_f32_f16_e32 v9, v9
	v_mul_f32_e32 v7, v7, v9
	v_add_u32_e32 v8, v11, v10
	v_cvt_f32_i32_e32 v8, v8
	v_fmac_f32_e32 v2, v7, v8
	s_andn2_b64 exec, exec, s[4:5]
	s_cbranch_execnz .LBB92_3
; %bb.4:
	s_or_b64 exec, exec, s[4:5]
.LBB92_5:
	s_or_b64 exec, exec, s[12:13]
	v_mbcnt_lo_u32_b32 v3, -1, 0
	v_mbcnt_hi_u32_b32 v3, -1, v3
	v_and_b32_e32 v4, 64, v3
	v_add_u32_e32 v4, 64, v4
	v_xor_b32_e32 v5, 32, v3
	v_cmp_lt_i32_e32 vcc, v5, v4
	v_cndmask_b32_e32 v5, v3, v5, vcc
	v_lshlrev_b32_e32 v5, 2, v5
	ds_bpermute_b32 v5, v5, v2
	v_xor_b32_e32 v6, 16, v3
	v_cmp_lt_i32_e32 vcc, v6, v4
	s_waitcnt lgkmcnt(0)
	v_add_f32_e32 v2, v2, v5
	v_cndmask_b32_e32 v5, v3, v6, vcc
	v_lshlrev_b32_e32 v5, 2, v5
	ds_bpermute_b32 v5, v5, v2
	v_xor_b32_e32 v6, 8, v3
	v_cmp_lt_i32_e32 vcc, v6, v4
	s_waitcnt lgkmcnt(0)
	v_add_f32_e32 v2, v2, v5
	;; [unrolled: 7-line block ×4, first 2 shown]
	v_cndmask_b32_e32 v5, v3, v6, vcc
	v_lshlrev_b32_e32 v5, 2, v5
	ds_bpermute_b32 v5, v5, v2
	v_xor_b32_e32 v6, 1, v3
	v_cmp_lt_i32_e32 vcc, v6, v4
	v_cndmask_b32_e32 v3, v3, v6, vcc
	v_lshlrev_b32_e32 v3, 2, v3
	s_waitcnt lgkmcnt(0)
	v_add_f32_e32 v2, v2, v5
	ds_bpermute_b32 v3, v3, v2
	v_cmp_eq_u32_e32 vcc, 0, v0
	s_and_b64 exec, exec, vcc
	s_cbranch_execz .LBB92_7
; %bb.6:
	s_waitcnt lgkmcnt(0)
	v_add_f32_e32 v0, v2, v3
	s_mul_i32 s7, s7, s1
	v_cvt_f16_f32_e32 v2, v0
	v_add_u32_e32 v0, s7, v1
	v_mov_b32_e32 v1, 0
	v_lshlrev_b64 v[0:1], 1, v[0:1]
	v_mov_b32_e32 v3, s3
	v_add_co_u32_e32 v0, vcc, s2, v0
	v_addc_co_u32_e32 v1, vcc, v3, v1, vcc
	global_store_short v[0:1], v2, off
.LBB92_7:
	s_endpgm
	.section	.rodata,"a",@progbits
	.p2align	6, 0x0
	.amdhsa_kernel _ZL13mul_mat_vec_qIN3c104HalfELi32ELi4E12block_iq4_nlLi2EXadL_ZL19vec_dot_iq4_nl_q8_1PKvPK10block_q8_1RKiEEEvS4_S4_PT_iii
		.amdhsa_group_segment_fixed_size 0
		.amdhsa_private_segment_fixed_size 0
		.amdhsa_kernarg_size 296
		.amdhsa_user_sgpr_count 6
		.amdhsa_user_sgpr_private_segment_buffer 1
		.amdhsa_user_sgpr_dispatch_ptr 0
		.amdhsa_user_sgpr_queue_ptr 0
		.amdhsa_user_sgpr_kernarg_segment_ptr 1
		.amdhsa_user_sgpr_dispatch_id 0
		.amdhsa_user_sgpr_flat_scratch_init 0
		.amdhsa_user_sgpr_kernarg_preload_length 0
		.amdhsa_user_sgpr_kernarg_preload_offset 0
		.amdhsa_user_sgpr_private_segment_size 0
		.amdhsa_uses_dynamic_stack 0
		.amdhsa_system_sgpr_private_segment_wavefront_offset 0
		.amdhsa_system_sgpr_workgroup_id_x 1
		.amdhsa_system_sgpr_workgroup_id_y 1
		.amdhsa_system_sgpr_workgroup_id_z 0
		.amdhsa_system_sgpr_workgroup_info 0
		.amdhsa_system_vgpr_workitem_id 1
		.amdhsa_next_free_vgpr 45
		.amdhsa_next_free_sgpr 18
		.amdhsa_accum_offset 48
		.amdhsa_reserve_vcc 1
		.amdhsa_reserve_flat_scratch 0
		.amdhsa_float_round_mode_32 0
		.amdhsa_float_round_mode_16_64 0
		.amdhsa_float_denorm_mode_32 3
		.amdhsa_float_denorm_mode_16_64 3
		.amdhsa_dx10_clamp 1
		.amdhsa_ieee_mode 1
		.amdhsa_fp16_overflow 0
		.amdhsa_tg_split 0
		.amdhsa_exception_fp_ieee_invalid_op 0
		.amdhsa_exception_fp_denorm_src 0
		.amdhsa_exception_fp_ieee_div_zero 0
		.amdhsa_exception_fp_ieee_overflow 0
		.amdhsa_exception_fp_ieee_underflow 0
		.amdhsa_exception_fp_ieee_inexact 0
		.amdhsa_exception_int_div_zero 0
	.end_amdhsa_kernel
	.section	.text._ZL13mul_mat_vec_qIN3c104HalfELi32ELi4E12block_iq4_nlLi2EXadL_ZL19vec_dot_iq4_nl_q8_1PKvPK10block_q8_1RKiEEEvS4_S4_PT_iii,"axG",@progbits,_ZL13mul_mat_vec_qIN3c104HalfELi32ELi4E12block_iq4_nlLi2EXadL_ZL19vec_dot_iq4_nl_q8_1PKvPK10block_q8_1RKiEEEvS4_S4_PT_iii,comdat
.Lfunc_end92:
	.size	_ZL13mul_mat_vec_qIN3c104HalfELi32ELi4E12block_iq4_nlLi2EXadL_ZL19vec_dot_iq4_nl_q8_1PKvPK10block_q8_1RKiEEEvS4_S4_PT_iii, .Lfunc_end92-_ZL13mul_mat_vec_qIN3c104HalfELi32ELi4E12block_iq4_nlLi2EXadL_ZL19vec_dot_iq4_nl_q8_1PKvPK10block_q8_1RKiEEEvS4_S4_PT_iii
                                        ; -- End function
	.section	.AMDGPU.csdata,"",@progbits
; Kernel info:
; codeLenInByte = 1040
; NumSgprs: 22
; NumVgprs: 45
; NumAgprs: 0
; TotalNumVgprs: 45
; ScratchSize: 0
; MemoryBound: 0
; FloatMode: 240
; IeeeMode: 1
; LDSByteSize: 0 bytes/workgroup (compile time only)
; SGPRBlocks: 2
; VGPRBlocks: 5
; NumSGPRsForWavesPerEU: 22
; NumVGPRsForWavesPerEU: 45
; AccumOffset: 48
; Occupancy: 8
; WaveLimiterHint : 0
; COMPUTE_PGM_RSRC2:SCRATCH_EN: 0
; COMPUTE_PGM_RSRC2:USER_SGPR: 6
; COMPUTE_PGM_RSRC2:TRAP_HANDLER: 0
; COMPUTE_PGM_RSRC2:TGID_X_EN: 1
; COMPUTE_PGM_RSRC2:TGID_Y_EN: 1
; COMPUTE_PGM_RSRC2:TGID_Z_EN: 0
; COMPUTE_PGM_RSRC2:TIDIG_COMP_CNT: 1
; COMPUTE_PGM_RSRC3_GFX90A:ACCUM_OFFSET: 11
; COMPUTE_PGM_RSRC3_GFX90A:TG_SPLIT: 0
	.section	.text._ZL13mul_mat_vec_qIN3c104HalfELi256ELi8E11block_iq3_sLi1EXadL_ZL18vec_dot_iq3_s_q8_1PKvPK10block_q8_1RKiEEEvS4_S4_PT_iii,"axG",@progbits,_ZL13mul_mat_vec_qIN3c104HalfELi256ELi8E11block_iq3_sLi1EXadL_ZL18vec_dot_iq3_s_q8_1PKvPK10block_q8_1RKiEEEvS4_S4_PT_iii,comdat
	.globl	_ZL13mul_mat_vec_qIN3c104HalfELi256ELi8E11block_iq3_sLi1EXadL_ZL18vec_dot_iq3_s_q8_1PKvPK10block_q8_1RKiEEEvS4_S4_PT_iii ; -- Begin function _ZL13mul_mat_vec_qIN3c104HalfELi256ELi8E11block_iq3_sLi1EXadL_ZL18vec_dot_iq3_s_q8_1PKvPK10block_q8_1RKiEEEvS4_S4_PT_iii
	.p2align	8
	.type	_ZL13mul_mat_vec_qIN3c104HalfELi256ELi8E11block_iq3_sLi1EXadL_ZL18vec_dot_iq3_s_q8_1PKvPK10block_q8_1RKiEEEvS4_S4_PT_iii,@function
_ZL13mul_mat_vec_qIN3c104HalfELi256ELi8E11block_iq3_sLi1EXadL_ZL18vec_dot_iq3_s_q8_1PKvPK10block_q8_1RKiEEEvS4_S4_PT_iii: ; @_ZL13mul_mat_vec_qIN3c104HalfELi256ELi8E11block_iq3_sLi1EXadL_ZL18vec_dot_iq3_s_q8_1PKvPK10block_q8_1RKiEEEvS4_S4_PT_iii
; %bb.0:
	s_load_dword s8, s[4:5], 0x34
	s_load_dwordx4 s[0:3], s[4:5], 0x18
	v_bfe_u32 v1, v0, 10, 10
	s_waitcnt lgkmcnt(0)
	s_lshr_b32 s3, s8, 16
	s_mul_i32 s6, s6, s3
	v_add_u32_e32 v1, s6, v1
	s_cmp_lt_u32 s7, s2
	v_cmp_gt_u32_e32 vcc, s1, v1
	s_cselect_b64 s[2:3], -1, 0
	s_and_b64 s[2:3], s[2:3], vcc
	s_and_saveexec_b64 s[8:9], s[2:3]
	s_cbranch_execz .LBB93_9
; %bb.1:
	s_load_dwordx2 s[2:3], s[4:5], 0x10
	s_ashr_i32 s6, s0, 31
	s_lshr_b32 s6, s6, 24
	s_add_i32 s6, s0, s6
	v_and_b32_e32 v5, 0x3ff, v0
	s_ashr_i32 s6, s6, 8
	v_lshrrev_b32_e32 v23, 3, v5
	v_cmp_gt_u32_e32 vcc, s6, v23
	v_mov_b32_e32 v22, 0
	s_and_saveexec_b64 s[8:9], vcc
	s_cbranch_execz .LBB93_7
; %bb.2:
	s_load_dwordx4 s[12:15], s[4:5], 0x0
	s_addk_i32 s0, 0x1ff
	s_ashr_i32 s4, s0, 31
	v_and_b32_e32 v0, 7, v5
	v_lshlrev_b32_e32 v6, 2, v5
	s_lshr_b32 s4, s4, 23
	v_and_b32_e32 v25, 4, v6
	v_lshlrev_b32_e32 v6, 2, v0
	s_add_i32 s0, s0, s4
	s_waitcnt lgkmcnt(0)
	v_mad_u64_u32 v[2:3], s[4:5], v0, 36, s[14:15]
	v_mov_b32_e32 v9, s13
	v_add_co_u32_e32 v6, vcc, s12, v6
	v_addc_co_u32_e32 v7, vcc, 0, v9, vcc
	s_movk_i32 s4, 0x4a
	v_add_co_u32_e32 v6, vcc, s4, v6
	v_lshlrev_b32_e32 v8, 3, v0
	v_addc_co_u32_e32 v7, vcc, 0, v7, vcc
	v_add_co_u32_e32 v8, vcc, s12, v8
	s_ashr_i32 s0, s0, 9
	v_addc_co_u32_e32 v9, vcc, 0, v9, vcc
	s_mul_i32 s0, s7, s0
	v_mul_lo_u32 v24, v1, s6
	v_add_co_u32_e32 v8, vcc, 2, v8
	s_lshl_b32 s0, s0, 4
	v_mov_b32_e32 v22, 0
	v_bfe_u32 v4, v5, 1, 2
	v_add_u32_e32 v26, v23, v24
	v_addc_co_u32_e32 v9, vcc, 0, v9, vcc
	s_mov_b64 s[4:5], 0
	s_movk_i32 s10, 0x6e
	v_pk_mov_b32 v[10:11], s[12:13], s[12:13] op_sel:[0,1]
	s_movk_i32 s11, 0x100
	s_mov_b32 s12, 0x1010101
	s_mov_b32 s13, 0x1000000
	v_mov_b32_e32 v27, 0xff0000
	v_mov_b32_e32 v28, 0xff00
	;; [unrolled: 1-line block ×3, first 2 shown]
	s_mov_b32 s14, 0xc060c00
.LBB93_3:                               ; =>This Loop Header: Depth=1
                                        ;     Child Loop BB93_4 Depth 2
	v_add_u32_e32 v12, v23, v24
	v_mad_i64_i32 v[12:13], s[16:17], v12, s10, v[10:11]
	v_add_co_u32_e32 v14, vcc, v12, v0
	v_addc_co_u32_e32 v15, vcc, 0, v13, vcc
	global_load_ubyte v31, v[14:15], off offset:66
	v_lshl_add_u32 v14, v23, 3, s0
	v_mad_i64_i32 v[14:15], s[16:17], v14, 36, v[2:3]
	v_add_co_u32_e32 v20, vcc, 4, v14
	v_mad_i64_i32 v[16:17], s[16:17], v26, s10, v[6:7]
	v_mad_i64_i32 v[18:19], s[16:17], v26, s10, v[8:9]
	v_addc_co_u32_e32 v21, vcc, 0, v15, vcc
	s_mov_b32 s15, 7
	v_mov_b32_e32 v30, 0
.LBB93_4:                               ;   Parent Loop BB93_3 Depth=1
                                        ; =>  This Inner Loop Header: Depth=2
	global_load_ushort v32, v[18:19], off
	global_load_ubyte v34, v[16:17], off
	s_add_i32 s18, s15, 1
	s_waitcnt vmcnt(2)
	v_lshlrev_b32_e32 v35, s18, v31
	v_lshlrev_b32_e32 v33, s15, v31
	s_getpc_b64 s[16:17]
	s_add_u32 s16, s16, _ZL10iq3xs_grid@rel32@lo+4
	s_addc_u32 s17, s17, _ZL10iq3xs_grid@rel32@hi+12
	s_add_i32 s15, s15, -2
	s_cmp_lg_u32 s15, -1
	s_waitcnt vmcnt(1)
	v_and_b32_e32 v36, 0xff, v32
	v_lshrrev_b16_e32 v32, 8, v32
	v_and_or_b32 v35, v35, s11, v36
	v_and_or_b32 v32, v33, s11, v32
	v_lshlrev_b32_e32 v35, 2, v35
	v_lshlrev_b32_e32 v36, 2, v32
	global_load_dword v37, v35, s[16:17]
	global_load_dword v38, v36, s[16:17]
	global_load_dwordx2 v[32:33], v[20:21], off
	v_add_co_u32_e32 v20, vcc, 8, v20
	v_addc_co_u32_e32 v21, vcc, 0, v21, vcc
	v_add_co_u32_e32 v16, vcc, 1, v16
	s_waitcnt vmcnt(3)
	v_and_b32_e32 v35, 15, v34
	v_lshrrev_b16_e32 v34, 4, v34
	v_addc_co_u32_e32 v17, vcc, 0, v17, vcc
	v_mul_lo_u32 v34, v34, s12
	v_add_co_u32_e32 v18, vcc, 2, v18
	v_not_b32_e32 v34, v34
	v_addc_co_u32_e32 v19, vcc, 0, v19, vcc
	v_and_b32_e32 v36, 0x8040201, v34
	v_and_b32_e32 v35, 0xffff, v35
	;; [unrolled: 1-line block ×3, first 2 shown]
	v_cmp_gt_u32_e32 vcc, s13, v36
	v_mul_lo_u32 v35, v35, s12
	v_and_b32_e32 v40, 0x200, v34
	v_cndmask_b32_e64 v36, 0, -1, vcc
	v_cmp_eq_u32_e32 vcc, 0, v39
	v_not_b32_e32 v35, v35
	v_and_b32_e32 v34, 1, v34
	v_cndmask_b32_e32 v39, 0, v27, vcc
	v_cmp_eq_u32_e32 vcc, 0, v40
	v_and_b32_e32 v41, 0x8040201, v35
	v_cndmask_b32_e32 v40, 0, v28, vcc
	v_cmp_eq_u32_e32 vcc, 0, v34
	v_and_b32_e32 v42, 0x40000, v35
	v_cndmask_b32_e32 v34, 0, v29, vcc
	v_cmp_gt_u32_e32 vcc, s13, v41
	v_and_b32_e32 v43, 0x200, v35
	v_cndmask_b32_e64 v41, 0, -1, vcc
	v_cmp_eq_u32_e32 vcc, 0, v42
	v_and_b32_e32 v35, 1, v35
	v_cndmask_b32_e32 v42, 0, v27, vcc
	v_cmp_eq_u32_e32 vcc, 0, v43
	v_cndmask_b32_e32 v43, 0, v28, vcc
	v_cmp_eq_u32_e32 vcc, 0, v35
	v_cndmask_b32_e32 v35, 0, v29, vcc
	v_lshlrev_b32_e32 v41, 24, v41
	v_or_b32_e32 v45, v43, v35
	v_lshlrev_b32_e32 v36, 24, v36
	v_or_b32_e32 v44, v40, v34
	v_or3_b32 v45, v45, v42, v41
	v_or3_b32 v44, v44, v39, v36
	s_waitcnt vmcnt(2)
	v_xor_b32_e32 v37, v45, v37
	s_waitcnt vmcnt(1)
	v_xor_b32_e32 v38, v44, v38
	v_sub_u32_e32 v41, v37, v41
	v_sub_u32_e32 v42, v37, v42
	;; [unrolled: 1-line block ×8, first 2 shown]
	v_and_b32_e32 v38, 0xff000000, v41
	v_and_b32_e32 v40, 0xff00, v43
	v_perm_b32 v35, v42, v35, s14
	v_and_b32_e32 v36, 0xff000000, v36
	v_and_b32_e32 v39, 0xff00, v39
	v_perm_b32 v34, v37, v34, s14
	v_or3_b32 v35, v35, v38, v40
	v_or3_b32 v34, v34, v36, v39
	s_waitcnt vmcnt(0)
	v_dot4c_i32_i8_e32 v30, v35, v32
	v_dot4c_i32_i8_e32 v30, v34, v33
	s_cbranch_scc1 .LBB93_4
; %bb.5:                                ;   in Loop: Header=BB93_3 Depth=1
	global_load_ushort v16, v[12:13], off
	v_add_co_u32_e32 v12, vcc, v12, v4
	v_addc_co_u32_e32 v13, vcc, 0, v13, vcc
	global_load_dword v17, v[14:15], off
	global_load_ubyte v18, v[12:13], off offset:106
	v_cvt_f32_i32_e32 v12, v30
	v_add_u32_e32 v23, 8, v23
	v_cmp_le_u32_e32 vcc, s6, v23
	s_or_b64 s[4:5], vcc, s[4:5]
	v_add_u32_e32 v26, 8, v26
	s_waitcnt vmcnt(2)
	v_cvt_f32_f16_e32 v13, v16
	s_waitcnt vmcnt(1)
	v_cvt_f32_f16_e32 v14, v17
	s_waitcnt vmcnt(0)
	v_bfe_u32 v15, v18, v25, 4
	v_cvt_f32_ubyte0_e32 v15, v15
	v_add_f32_e32 v15, 0.5, v15
	v_mul_f32_e32 v13, v15, v13
	v_mul_f32_e32 v13, v13, v14
	v_mul_f32_e32 v13, 0.5, v13
	v_fmac_f32_e32 v22, v13, v12
	s_andn2_b64 exec, exec, s[4:5]
	s_cbranch_execnz .LBB93_3
; %bb.6:
	s_or_b64 exec, exec, s[4:5]
.LBB93_7:
	s_or_b64 exec, exec, s[8:9]
	v_mbcnt_lo_u32_b32 v0, -1, 0
	v_mbcnt_hi_u32_b32 v2, -1, v0
	v_and_b32_e32 v0, 64, v2
	v_add_u32_e32 v3, 64, v0
	v_xor_b32_e32 v0, 32, v2
	v_cmp_lt_i32_e32 vcc, v0, v3
	v_cndmask_b32_e32 v0, v2, v0, vcc
	v_lshlrev_b32_e32 v0, 2, v0
	ds_bpermute_b32 v0, v0, v22
	v_xor_b32_e32 v4, 16, v2
	v_cmp_lt_i32_e32 vcc, v4, v3
	v_cndmask_b32_e32 v4, v2, v4, vcc
	v_lshlrev_b32_e32 v4, 2, v4
	s_waitcnt lgkmcnt(0)
	v_add_f32_e32 v0, v22, v0
	ds_bpermute_b32 v4, v4, v0
	v_xor_b32_e32 v6, 8, v2
	v_cmp_lt_i32_e32 vcc, v6, v3
	s_waitcnt lgkmcnt(0)
	v_add_f32_e32 v0, v0, v4
	v_cndmask_b32_e32 v4, v2, v6, vcc
	v_lshlrev_b32_e32 v4, 2, v4
	ds_bpermute_b32 v4, v4, v0
	v_xor_b32_e32 v6, 4, v2
	v_cmp_lt_i32_e32 vcc, v6, v3
	s_waitcnt lgkmcnt(0)
	v_add_f32_e32 v0, v0, v4
	v_cndmask_b32_e32 v4, v2, v6, vcc
	v_lshlrev_b32_e32 v4, 2, v4
	;; [unrolled: 7-line block ×3, first 2 shown]
	ds_bpermute_b32 v4, v4, v0
	v_xor_b32_e32 v6, 1, v2
	v_cmp_lt_i32_e32 vcc, v6, v3
	v_cndmask_b32_e32 v2, v2, v6, vcc
	v_lshlrev_b32_e32 v2, 2, v2
	s_waitcnt lgkmcnt(0)
	v_add_f32_e32 v0, v0, v4
	ds_bpermute_b32 v2, v2, v0
	v_cmp_eq_u32_e32 vcc, 0, v5
	s_and_b64 exec, exec, vcc
	s_cbranch_execz .LBB93_9
; %bb.8:
	s_waitcnt lgkmcnt(0)
	v_add_f32_e32 v0, v0, v2
	s_mul_i32 s7, s7, s1
	v_cvt_f16_f32_e32 v2, v0
	v_add_u32_e32 v0, s7, v1
	v_mov_b32_e32 v1, 0
	v_lshlrev_b64 v[0:1], 1, v[0:1]
	v_mov_b32_e32 v3, s3
	v_add_co_u32_e32 v0, vcc, s2, v0
	v_addc_co_u32_e32 v1, vcc, v3, v1, vcc
	global_store_short v[0:1], v2, off
.LBB93_9:
	s_endpgm
	.section	.rodata,"a",@progbits
	.p2align	6, 0x0
	.amdhsa_kernel _ZL13mul_mat_vec_qIN3c104HalfELi256ELi8E11block_iq3_sLi1EXadL_ZL18vec_dot_iq3_s_q8_1PKvPK10block_q8_1RKiEEEvS4_S4_PT_iii
		.amdhsa_group_segment_fixed_size 0
		.amdhsa_private_segment_fixed_size 0
		.amdhsa_kernarg_size 296
		.amdhsa_user_sgpr_count 6
		.amdhsa_user_sgpr_private_segment_buffer 1
		.amdhsa_user_sgpr_dispatch_ptr 0
		.amdhsa_user_sgpr_queue_ptr 0
		.amdhsa_user_sgpr_kernarg_segment_ptr 1
		.amdhsa_user_sgpr_dispatch_id 0
		.amdhsa_user_sgpr_flat_scratch_init 0
		.amdhsa_user_sgpr_kernarg_preload_length 0
		.amdhsa_user_sgpr_kernarg_preload_offset 0
		.amdhsa_user_sgpr_private_segment_size 0
		.amdhsa_uses_dynamic_stack 0
		.amdhsa_system_sgpr_private_segment_wavefront_offset 0
		.amdhsa_system_sgpr_workgroup_id_x 1
		.amdhsa_system_sgpr_workgroup_id_y 1
		.amdhsa_system_sgpr_workgroup_id_z 0
		.amdhsa_system_sgpr_workgroup_info 0
		.amdhsa_system_vgpr_workitem_id 1
		.amdhsa_next_free_vgpr 46
		.amdhsa_next_free_sgpr 19
		.amdhsa_accum_offset 48
		.amdhsa_reserve_vcc 1
		.amdhsa_reserve_flat_scratch 0
		.amdhsa_float_round_mode_32 0
		.amdhsa_float_round_mode_16_64 0
		.amdhsa_float_denorm_mode_32 3
		.amdhsa_float_denorm_mode_16_64 3
		.amdhsa_dx10_clamp 1
		.amdhsa_ieee_mode 1
		.amdhsa_fp16_overflow 0
		.amdhsa_tg_split 0
		.amdhsa_exception_fp_ieee_invalid_op 0
		.amdhsa_exception_fp_denorm_src 0
		.amdhsa_exception_fp_ieee_div_zero 0
		.amdhsa_exception_fp_ieee_overflow 0
		.amdhsa_exception_fp_ieee_underflow 0
		.amdhsa_exception_fp_ieee_inexact 0
		.amdhsa_exception_int_div_zero 0
	.end_amdhsa_kernel
	.section	.text._ZL13mul_mat_vec_qIN3c104HalfELi256ELi8E11block_iq3_sLi1EXadL_ZL18vec_dot_iq3_s_q8_1PKvPK10block_q8_1RKiEEEvS4_S4_PT_iii,"axG",@progbits,_ZL13mul_mat_vec_qIN3c104HalfELi256ELi8E11block_iq3_sLi1EXadL_ZL18vec_dot_iq3_s_q8_1PKvPK10block_q8_1RKiEEEvS4_S4_PT_iii,comdat
.Lfunc_end93:
	.size	_ZL13mul_mat_vec_qIN3c104HalfELi256ELi8E11block_iq3_sLi1EXadL_ZL18vec_dot_iq3_s_q8_1PKvPK10block_q8_1RKiEEEvS4_S4_PT_iii, .Lfunc_end93-_ZL13mul_mat_vec_qIN3c104HalfELi256ELi8E11block_iq3_sLi1EXadL_ZL18vec_dot_iq3_s_q8_1PKvPK10block_q8_1RKiEEEvS4_S4_PT_iii
                                        ; -- End function
	.section	.AMDGPU.csdata,"",@progbits
; Kernel info:
; codeLenInByte = 1268
; NumSgprs: 23
; NumVgprs: 46
; NumAgprs: 0
; TotalNumVgprs: 46
; ScratchSize: 0
; MemoryBound: 0
; FloatMode: 240
; IeeeMode: 1
; LDSByteSize: 0 bytes/workgroup (compile time only)
; SGPRBlocks: 2
; VGPRBlocks: 5
; NumSGPRsForWavesPerEU: 23
; NumVGPRsForWavesPerEU: 46
; AccumOffset: 48
; Occupancy: 8
; WaveLimiterHint : 0
; COMPUTE_PGM_RSRC2:SCRATCH_EN: 0
; COMPUTE_PGM_RSRC2:USER_SGPR: 6
; COMPUTE_PGM_RSRC2:TRAP_HANDLER: 0
; COMPUTE_PGM_RSRC2:TGID_X_EN: 1
; COMPUTE_PGM_RSRC2:TGID_Y_EN: 1
; COMPUTE_PGM_RSRC2:TGID_Z_EN: 0
; COMPUTE_PGM_RSRC2:TIDIG_COMP_CNT: 1
; COMPUTE_PGM_RSRC3_GFX90A:ACCUM_OFFSET: 11
; COMPUTE_PGM_RSRC3_GFX90A:TG_SPLIT: 0
	.section	.text._ZL13mul_mat_vec_qIN3c104HalfELi256ELi8E11block_iq2_sLi1EXadL_ZL18vec_dot_iq2_s_q8_1PKvPK10block_q8_1RKiEEEvS4_S4_PT_iii,"axG",@progbits,_ZL13mul_mat_vec_qIN3c104HalfELi256ELi8E11block_iq2_sLi1EXadL_ZL18vec_dot_iq2_s_q8_1PKvPK10block_q8_1RKiEEEvS4_S4_PT_iii,comdat
	.globl	_ZL13mul_mat_vec_qIN3c104HalfELi256ELi8E11block_iq2_sLi1EXadL_ZL18vec_dot_iq2_s_q8_1PKvPK10block_q8_1RKiEEEvS4_S4_PT_iii ; -- Begin function _ZL13mul_mat_vec_qIN3c104HalfELi256ELi8E11block_iq2_sLi1EXadL_ZL18vec_dot_iq2_s_q8_1PKvPK10block_q8_1RKiEEEvS4_S4_PT_iii
	.p2align	8
	.type	_ZL13mul_mat_vec_qIN3c104HalfELi256ELi8E11block_iq2_sLi1EXadL_ZL18vec_dot_iq2_s_q8_1PKvPK10block_q8_1RKiEEEvS4_S4_PT_iii,@function
_ZL13mul_mat_vec_qIN3c104HalfELi256ELi8E11block_iq2_sLi1EXadL_ZL18vec_dot_iq2_s_q8_1PKvPK10block_q8_1RKiEEEvS4_S4_PT_iii: ; @_ZL13mul_mat_vec_qIN3c104HalfELi256ELi8E11block_iq2_sLi1EXadL_ZL18vec_dot_iq2_s_q8_1PKvPK10block_q8_1RKiEEEvS4_S4_PT_iii
; %bb.0:
	s_load_dword s0, s[4:5], 0x34
	s_load_dwordx4 s[8:11], s[4:5], 0x18
	v_bfe_u32 v1, v0, 10, 10
	s_waitcnt lgkmcnt(0)
	s_lshr_b32 s0, s0, 16
	s_mul_i32 s6, s6, s0
	v_add_u32_e32 v1, s6, v1
	s_cmp_lt_u32 s7, s10
	v_cmp_gt_u32_e32 vcc, s9, v1
	s_cselect_b64 s[0:1], -1, 0
	s_and_b64 s[0:1], s[0:1], vcc
	s_and_saveexec_b64 s[2:3], s[0:1]
	s_cbranch_execz .LBB94_7
; %bb.1:
	s_load_dwordx2 s[2:3], s[4:5], 0x10
	s_ashr_i32 s0, s8, 31
	s_lshr_b32 s0, s0, 24
	s_add_i32 s0, s8, s0
	v_and_b32_e32 v5, 0x3ff, v0
	s_ashr_i32 s6, s0, 8
	v_lshrrev_b32_e32 v15, 3, v5
	v_cmp_gt_u32_e32 vcc, s6, v15
	v_mov_b32_e32 v14, 0
	s_and_saveexec_b64 s[10:11], vcc
	s_cbranch_execz .LBB94_5
; %bb.2:
	s_add_i32 s0, s8, 0x1ff
	s_load_dwordx4 s[12:15], s[4:5], 0x0
	s_ashr_i32 s1, s0, 31
	s_lshr_b32 s1, s1, 23
	s_add_i32 s0, s0, s1
	s_ashr_i32 s0, s0, 9
	s_mul_i32 s4, s7, s0
	v_and_b32_e32 v0, 7, v5
	v_lshlrev_b32_e32 v6, 3, v15
	v_mul_lo_u32 v16, v1, s6
	v_mov_b32_e32 v14, 0
	s_waitcnt lgkmcnt(0)
	v_mad_u64_u32 v[2:3], s[0:1], v0, 36, s[14:15]
	v_lshlrev_b32_e32 v4, 2, v0
	v_lshl_add_u32 v17, s4, 4, v6
	s_mov_b64 s[4:5], 0
	s_movk_i32 s8, 0x52
	v_pk_mov_b32 v[6:7], s[12:13], s[12:13] op_sel:[0,1]
	s_movk_i32 s12, 0x300
	s_mov_b32 s13, 0x1010101
	s_mov_b32 s14, 0x1000000
	v_mov_b32_e32 v18, 0xff0000
	v_mov_b32_e32 v19, 0xff00
	;; [unrolled: 1-line block ×3, first 2 shown]
	s_mov_b32 s15, 0xc060c00
	v_mov_b32_e32 v21, 4
.LBB94_3:                               ; =>This Inner Loop Header: Depth=1
	v_add_u32_e32 v8, v16, v15
	v_mad_i64_i32 v[8:9], s[16:17], v8, s8, v[6:7]
	v_add_co_u32_e32 v10, vcc, v8, v4
	v_addc_co_u32_e32 v11, vcc, 0, v9, vcc
	v_add_co_u32_e32 v12, vcc, v8, v0
	v_addc_co_u32_e32 v13, vcc, 0, v9, vcc
	global_load_ushort v26, v[8:9], off
	global_load_dword v22, v[10:11], off offset:2
	global_load_ubyte v23, v[12:13], off offset:66
	global_load_dword v24, v[10:11], off offset:34
	global_load_ubyte v27, v[12:13], off offset:74
	s_getpc_b64 s[0:1]
	s_add_u32 s0, s0, _ZL9iq2s_grid@rel32@lo+4
	s_addc_u32 s1, s1, _ZL9iq2s_grid@rel32@hi+12
	v_add_u32_e32 v15, 8, v15
	s_waitcnt vmcnt(4)
	v_cvt_f32_f16_e32 v26, v26
	s_waitcnt vmcnt(3)
	v_lshrrev_b32_e32 v8, 24, v22
	v_and_b32_e32 v9, 0xff, v22
	s_waitcnt vmcnt(2)
	v_lshlrev_b32_e32 v10, 8, v23
	s_waitcnt vmcnt(1)
	v_lshrrev_b32_e32 v11, 8, v24
	v_and_b32_e32 v12, 15, v24
	v_lshrrev_b16_e32 v13, 4, v24
	v_bfe_u32 v25, v22, 8, 8
	v_lshlrev_b32_e32 v28, 6, v23
	v_bfe_u32 v29, v24, 8, 4
	v_bfe_u32 v22, v22, 16, 8
	v_lshlrev_b32_e32 v30, 4, v23
	v_bfe_u32 v31, v24, 16, 4
	;; [unrolled: 3-line block ×3, first 2 shown]
	v_lshrrev_b16_sdwa v24, v21, v24 dst_sel:DWORD dst_unused:UNUSED_PAD src0_sel:DWORD src1_sel:BYTE_3
	v_and_or_b32 v9, v10, s12, v9
	v_mul_lo_u32 v10, v12, s13
	v_and_b32_e32 v12, 15, v13
	v_and_or_b32 v13, v28, s12, v25
	v_mul_lo_u32 v25, v29, s13
	v_lshrrev_b16_e32 v11, 4, v11
	v_and_or_b32 v22, v30, s12, v22
	v_mul_lo_u32 v28, v31, s13
	v_mul_lo_u32 v29, v32, s13
	v_and_or_b32 v8, v23, s12, v8
	v_mul_lo_u32 v23, v33, s13
	v_mul_lo_u32 v24, v24, s13
	v_lshlrev_b32_e32 v30, 3, v9
	v_not_b32_e32 v9, v10
	v_and_b32_e32 v10, 0xffff, v12
	v_lshlrev_b32_e32 v31, 3, v13
	v_not_b32_e32 v12, v25
	v_and_b32_e32 v11, 15, v11
	v_lshlrev_b32_e32 v25, 3, v22
	v_not_b32_e32 v13, v28
	v_not_b32_e32 v22, v29
	v_lshlrev_b32_e32 v28, 3, v8
	v_not_b32_e32 v8, v23
	v_not_b32_e32 v23, v24
	v_and_b32_e32 v24, 0x8040201, v9
	v_and_b32_e32 v29, 0x40000, v9
	;; [unrolled: 1-line block ×4, first 2 shown]
	v_mul_lo_u32 v34, v10, s13
	v_and_b32_e32 v35, 0x8040201, v12
	v_and_b32_e32 v36, 0x40000, v12
	;; [unrolled: 1-line block ×21, first 2 shown]
	global_load_dwordx2 v[8:9], v30, s[0:1]
	global_load_dwordx2 v[10:11], v31, s[0:1]
	;; [unrolled: 1-line block ×4, first 2 shown]
	v_cmp_gt_u32_e32 vcc, s14, v24
	v_cndmask_b32_e64 v24, 0, -1, vcc
	v_cmp_eq_u32_e32 vcc, 0, v29
	v_cndmask_b32_e32 v25, 0, v18, vcc
	v_cmp_eq_u32_e32 vcc, 0, v32
	v_cndmask_b32_e32 v28, 0, v19, vcc
	;; [unrolled: 2-line block ×3, first 2 shown]
	v_cmp_gt_u32_e32 vcc, s14, v35
	v_cndmask_b32_e64 v31, 0, -1, vcc
	v_cmp_eq_u32_e32 vcc, 0, v36
	v_cndmask_b32_e32 v32, 0, v18, vcc
	v_cmp_eq_u32_e32 vcc, 0, v37
	v_cndmask_b32_e32 v33, 0, v19, vcc
	v_cmp_eq_u32_e32 vcc, 0, v38
	v_not_b32_e32 v30, v34
	v_cndmask_b32_e32 v34, 0, v20, vcc
	v_cmp_gt_u32_e32 vcc, s14, v40
	v_cndmask_b32_e64 v36, 0, -1, vcc
	v_cmp_eq_u32_e32 vcc, 0, v41
	v_cndmask_b32_e32 v37, 0, v18, vcc
	v_cmp_eq_u32_e32 vcc, 0, v42
	v_cndmask_b32_e32 v38, 0, v19, vcc
	v_cmp_eq_u32_e32 vcc, 0, v43
	v_mul_lo_u32 v35, v39, s13
	v_cndmask_b32_e32 v39, 0, v20, vcc
	v_cmp_gt_u32_e32 vcc, s14, v44
	v_cndmask_b32_e64 v40, 0, -1, vcc
	v_cmp_eq_u32_e32 vcc, 0, v45
	v_cndmask_b32_e32 v41, 0, v18, vcc
	v_cmp_eq_u32_e32 vcc, 0, v46
	v_cndmask_b32_e32 v42, 0, v19, vcc
	v_cmp_eq_u32_e32 vcc, 0, v47
	v_cndmask_b32_e32 v43, 0, v20, vcc
	v_cmp_gt_u32_e32 vcc, s14, v48
	v_cndmask_b32_e64 v44, 0, -1, vcc
	v_cmp_eq_u32_e32 vcc, 0, v49
	v_cndmask_b32_e32 v45, 0, v18, vcc
	v_cmp_eq_u32_e32 vcc, 0, v50
	v_cndmask_b32_e32 v46, 0, v19, vcc
	v_cmp_eq_u32_e32 vcc, 0, v51
	;; [unrolled: 8-line block ×3, first 2 shown]
	v_and_b32_e32 v53, 0x8040201, v30
	v_cndmask_b32_e32 v51, 0, v20, vcc
	v_and_b32_e32 v54, 0x40000, v30
	v_cmp_gt_u32_e32 vcc, s14, v53
	v_and_b32_e32 v55, 0x200, v30
	v_cndmask_b32_e64 v53, 0, -1, vcc
	v_cmp_eq_u32_e32 vcc, 0, v54
	v_and_b32_e32 v30, 1, v30
	v_not_b32_e32 v35, v35
	v_cndmask_b32_e32 v54, 0, v18, vcc
	v_cmp_eq_u32_e32 vcc, 0, v55
	v_cndmask_b32_e32 v55, 0, v19, vcc
	v_cmp_eq_u32_e32 vcc, 0, v30
	v_and_b32_e32 v57, 0x8040201, v35
	v_cndmask_b32_e32 v30, 0, v20, vcc
	v_and_b32_e32 v58, 0x40000, v35
	v_and_b32_e32 v59, 0x200, v35
	;; [unrolled: 1-line block ×3, first 2 shown]
	v_cmp_gt_u32_e64 s[0:1], s14, v57
	v_lshlrev_b32_e32 v53, 24, v53
	v_cmp_eq_u32_e32 vcc, 0, v35
	v_or_b32_e32 v35, v55, v30
	v_cndmask_b32_e64 v57, 0, -1, s[0:1]
	v_cmp_eq_u32_e64 s[0:1], 0, v58
	v_lshlrev_b32_e32 v24, 24, v24
	v_or_b32_e32 v52, v28, v29
	v_cndmask_b32_e64 v58, 0, v18, s[0:1]
	v_cmp_eq_u32_e64 s[0:1], 0, v59
	v_or3_b32 v35, v35, v54, v53
	v_or3_b32 v52, v52, v25, v24
	v_cndmask_b32_e64 v59, 0, v19, s[0:1]
	s_waitcnt vmcnt(3)
	v_xor_b32_e32 v9, v35, v9
	v_cndmask_b32_e32 v35, 0, v20, vcc
	v_lshlrev_b32_e32 v31, 24, v31
	v_or_b32_e32 v56, v33, v34
	v_xor_b32_e32 v8, v52, v8
	v_lshlrev_b32_e32 v52, 24, v57
	v_or_b32_e32 v57, v59, v35
	v_or3_b32 v56, v56, v32, v31
	v_or3_b32 v57, v57, v58, v52
	v_lshlrev_b32_e32 v36, 24, v36
	s_waitcnt vmcnt(2)
	v_xor_b32_e32 v10, v56, v10
	v_xor_b32_e32 v11, v57, v11
	v_or_b32_e32 v56, v38, v39
	v_lshlrev_b32_e32 v40, 24, v40
	v_or_b32_e32 v57, v42, v43
	v_or3_b32 v56, v56, v37, v36
	v_or3_b32 v57, v57, v41, v40
	v_lshlrev_b32_e32 v44, 24, v44
	s_waitcnt vmcnt(1)
	v_xor_b32_e32 v56, v56, v12
	v_xor_b32_e32 v57, v57, v13
	v_or_b32_e32 v12, v46, v47
	v_lshlrev_b32_e32 v48, 24, v48
	v_or_b32_e32 v13, v50, v51
	v_or3_b32 v12, v12, v45, v44
	v_or3_b32 v13, v13, v49, v48
	s_waitcnt vmcnt(0)
	v_xor_b32_e32 v22, v12, v22
	v_xor_b32_e32 v60, v13, v23
	v_mad_i64_i32 v[12:13], s[0:1], v17, 36, v[2:3]
	v_sub_u32_e32 v61, v8, v24
	v_sub_u32_e32 v62, v8, v25
	;; [unrolled: 1-line block ×16, first 2 shown]
	global_load_dwordx4 v[8:11], v[12:13], off
	v_sub_u32_e32 v44, v22, v44
	v_sub_u32_e32 v45, v22, v45
	;; [unrolled: 1-line block ×4, first 2 shown]
	global_load_dwordx4 v[22:25], v[12:13], off offset:16
	v_sub_u32_e32 v36, v56, v36
	v_sub_u32_e32 v37, v56, v37
	;; [unrolled: 1-line block ×4, first 2 shown]
	global_load_dword v56, v[12:13], off offset:32
	v_sub_u32_e32 v40, v57, v40
	v_sub_u32_e32 v41, v57, v41
	;; [unrolled: 1-line block ×8, first 2 shown]
	v_and_b32_e32 v36, 0xff000000, v36
	v_and_b32_e32 v38, 0xff00, v38
	v_perm_b32 v37, v37, v39, s15
	v_mov_b32_e32 v50, 0
	v_perm_b32 v29, v62, v29, s15
	v_perm_b32 v30, v54, v30, s15
	v_and_b32_e32 v54, 0xff000000, v61
	v_and_b32_e32 v39, 0xff000000, v40
	v_and_b32_e32 v40, 0xff00, v42
	v_perm_b32 v41, v41, v43, s15
	v_and_b32_e32 v42, 0xff000000, v44
	v_perm_b32 v44, v45, v47, s15
	v_and_b32_e32 v12, 0xff000000, v12
	v_and_b32_e32 v45, 0xff00, v48
	v_perm_b32 v13, v13, v49, s15
	v_and_b32_e32 v28, 0xff00, v28
	v_or3_b32 v36, v37, v36, v38
	v_mov_b32_e32 v51, 0
	v_and_b32_e32 v53, 0xff000000, v53
	v_and_b32_e32 v43, 0xff00, v46
	;; [unrolled: 1-line block ×3, first 2 shown]
	v_or3_b32 v37, v41, v39, v40
	v_or3_b32 v12, v13, v12, v45
	;; [unrolled: 1-line block ×3, first 2 shown]
	v_perm_b32 v32, v32, v34, s15
	v_and_b32_e32 v31, 0xff000000, v31
	v_and_b32_e32 v33, 0xff00, v33
	v_or3_b32 v38, v44, v42, v43
	v_or3_b32 v28, v30, v53, v46
	v_and_b32_e32 v52, 0xff000000, v52
	v_perm_b32 v35, v58, v35, s15
	v_and_b32_e32 v47, 0xff00, v59
	v_or3_b32 v29, v32, v31, v33
	v_or3_b32 v30, v35, v52, v47
	v_lshrrev_b16_e32 v34, 4, v27
	v_and_b32_e32 v27, 15, v27
	v_cvt_f32_ubyte0_e32 v34, v34
	v_cvt_f32_ubyte0_e32 v27, v27
	v_add_f32_e32 v34, 0.5, v34
	v_add_f32_e32 v27, 0.5, v27
	v_cmp_le_u32_e32 vcc, s6, v15
	v_add_u32_e32 v17, 64, v17
	s_or_b64 s[4:5], vcc, s[4:5]
	s_waitcnt vmcnt(2)
	v_dot4c_i32_i8_e32 v51, v13, v9
	v_dot4c_i32_i8_e32 v51, v28, v10
	;; [unrolled: 1-line block ×3, first 2 shown]
	v_cvt_f32_f16_e32 v8, v8
	s_waitcnt vmcnt(1)
	v_dot4c_i32_i8_e32 v50, v36, v23
	v_dot4c_i32_i8_e32 v50, v37, v24
	;; [unrolled: 1-line block ×4, first 2 shown]
	v_mul_f32_e32 v8, v26, v8
	s_waitcnt vmcnt(0)
	v_dot4c_i32_i8_e32 v50, v12, v56
	v_mul_f32_e32 v8, 0x3e800000, v8
	v_cvt_f32_i32_e32 v10, v51
	s_nop 0
	v_cvt_f32_i32_e32 v9, v50
	v_mul_f32_e32 v9, v34, v9
	v_fmac_f32_e32 v9, v27, v10
	v_fmac_f32_e32 v14, v8, v9
	s_andn2_b64 exec, exec, s[4:5]
	s_cbranch_execnz .LBB94_3
; %bb.4:
	s_or_b64 exec, exec, s[4:5]
.LBB94_5:
	s_or_b64 exec, exec, s[10:11]
	v_mbcnt_lo_u32_b32 v0, -1, 0
	v_mbcnt_hi_u32_b32 v2, -1, v0
	v_and_b32_e32 v0, 64, v2
	v_add_u32_e32 v3, 64, v0
	v_xor_b32_e32 v0, 32, v2
	v_cmp_lt_i32_e32 vcc, v0, v3
	v_cndmask_b32_e32 v0, v2, v0, vcc
	v_lshlrev_b32_e32 v0, 2, v0
	ds_bpermute_b32 v0, v0, v14
	v_xor_b32_e32 v4, 16, v2
	v_cmp_lt_i32_e32 vcc, v4, v3
	v_cndmask_b32_e32 v4, v2, v4, vcc
	v_lshlrev_b32_e32 v4, 2, v4
	s_waitcnt lgkmcnt(0)
	v_add_f32_e32 v0, v14, v0
	ds_bpermute_b32 v4, v4, v0
	v_xor_b32_e32 v6, 8, v2
	v_cmp_lt_i32_e32 vcc, v6, v3
	s_waitcnt lgkmcnt(0)
	v_add_f32_e32 v0, v0, v4
	v_cndmask_b32_e32 v4, v2, v6, vcc
	v_lshlrev_b32_e32 v4, 2, v4
	ds_bpermute_b32 v4, v4, v0
	v_xor_b32_e32 v6, 4, v2
	v_cmp_lt_i32_e32 vcc, v6, v3
	s_waitcnt lgkmcnt(0)
	v_add_f32_e32 v0, v0, v4
	v_cndmask_b32_e32 v4, v2, v6, vcc
	v_lshlrev_b32_e32 v4, 2, v4
	;; [unrolled: 7-line block ×3, first 2 shown]
	ds_bpermute_b32 v4, v4, v0
	v_xor_b32_e32 v6, 1, v2
	v_cmp_lt_i32_e32 vcc, v6, v3
	v_cndmask_b32_e32 v2, v2, v6, vcc
	v_lshlrev_b32_e32 v2, 2, v2
	s_waitcnt lgkmcnt(0)
	v_add_f32_e32 v0, v0, v4
	ds_bpermute_b32 v2, v2, v0
	v_cmp_eq_u32_e32 vcc, 0, v5
	s_and_b64 exec, exec, vcc
	s_cbranch_execz .LBB94_7
; %bb.6:
	s_waitcnt lgkmcnt(0)
	v_add_f32_e32 v0, v0, v2
	s_mul_i32 s7, s7, s9
	v_cvt_f16_f32_e32 v2, v0
	v_add_u32_e32 v0, s7, v1
	v_mov_b32_e32 v1, 0
	v_lshlrev_b64 v[0:1], 1, v[0:1]
	v_mov_b32_e32 v3, s3
	v_add_co_u32_e32 v0, vcc, s2, v0
	v_addc_co_u32_e32 v1, vcc, v3, v1, vcc
	global_store_short v[0:1], v2, off
.LBB94_7:
	s_endpgm
	.section	.rodata,"a",@progbits
	.p2align	6, 0x0
	.amdhsa_kernel _ZL13mul_mat_vec_qIN3c104HalfELi256ELi8E11block_iq2_sLi1EXadL_ZL18vec_dot_iq2_s_q8_1PKvPK10block_q8_1RKiEEEvS4_S4_PT_iii
		.amdhsa_group_segment_fixed_size 0
		.amdhsa_private_segment_fixed_size 0
		.amdhsa_kernarg_size 296
		.amdhsa_user_sgpr_count 6
		.amdhsa_user_sgpr_private_segment_buffer 1
		.amdhsa_user_sgpr_dispatch_ptr 0
		.amdhsa_user_sgpr_queue_ptr 0
		.amdhsa_user_sgpr_kernarg_segment_ptr 1
		.amdhsa_user_sgpr_dispatch_id 0
		.amdhsa_user_sgpr_flat_scratch_init 0
		.amdhsa_user_sgpr_kernarg_preload_length 0
		.amdhsa_user_sgpr_kernarg_preload_offset 0
		.amdhsa_user_sgpr_private_segment_size 0
		.amdhsa_uses_dynamic_stack 0
		.amdhsa_system_sgpr_private_segment_wavefront_offset 0
		.amdhsa_system_sgpr_workgroup_id_x 1
		.amdhsa_system_sgpr_workgroup_id_y 1
		.amdhsa_system_sgpr_workgroup_id_z 0
		.amdhsa_system_sgpr_workgroup_info 0
		.amdhsa_system_vgpr_workitem_id 1
		.amdhsa_next_free_vgpr 63
		.amdhsa_next_free_sgpr 18
		.amdhsa_accum_offset 64
		.amdhsa_reserve_vcc 1
		.amdhsa_reserve_flat_scratch 0
		.amdhsa_float_round_mode_32 0
		.amdhsa_float_round_mode_16_64 0
		.amdhsa_float_denorm_mode_32 3
		.amdhsa_float_denorm_mode_16_64 3
		.amdhsa_dx10_clamp 1
		.amdhsa_ieee_mode 1
		.amdhsa_fp16_overflow 0
		.amdhsa_tg_split 0
		.amdhsa_exception_fp_ieee_invalid_op 0
		.amdhsa_exception_fp_denorm_src 0
		.amdhsa_exception_fp_ieee_div_zero 0
		.amdhsa_exception_fp_ieee_overflow 0
		.amdhsa_exception_fp_ieee_underflow 0
		.amdhsa_exception_fp_ieee_inexact 0
		.amdhsa_exception_int_div_zero 0
	.end_amdhsa_kernel
	.section	.text._ZL13mul_mat_vec_qIN3c104HalfELi256ELi8E11block_iq2_sLi1EXadL_ZL18vec_dot_iq2_s_q8_1PKvPK10block_q8_1RKiEEEvS4_S4_PT_iii,"axG",@progbits,_ZL13mul_mat_vec_qIN3c104HalfELi256ELi8E11block_iq2_sLi1EXadL_ZL18vec_dot_iq2_s_q8_1PKvPK10block_q8_1RKiEEEvS4_S4_PT_iii,comdat
.Lfunc_end94:
	.size	_ZL13mul_mat_vec_qIN3c104HalfELi256ELi8E11block_iq2_sLi1EXadL_ZL18vec_dot_iq2_s_q8_1PKvPK10block_q8_1RKiEEEvS4_S4_PT_iii, .Lfunc_end94-_ZL13mul_mat_vec_qIN3c104HalfELi256ELi8E11block_iq2_sLi1EXadL_ZL18vec_dot_iq2_s_q8_1PKvPK10block_q8_1RKiEEEvS4_S4_PT_iii
                                        ; -- End function
	.section	.AMDGPU.csdata,"",@progbits
; Kernel info:
; codeLenInByte = 2224
; NumSgprs: 22
; NumVgprs: 63
; NumAgprs: 0
; TotalNumVgprs: 63
; ScratchSize: 0
; MemoryBound: 0
; FloatMode: 240
; IeeeMode: 1
; LDSByteSize: 0 bytes/workgroup (compile time only)
; SGPRBlocks: 2
; VGPRBlocks: 7
; NumSGPRsForWavesPerEU: 22
; NumVGPRsForWavesPerEU: 63
; AccumOffset: 64
; Occupancy: 8
; WaveLimiterHint : 0
; COMPUTE_PGM_RSRC2:SCRATCH_EN: 0
; COMPUTE_PGM_RSRC2:USER_SGPR: 6
; COMPUTE_PGM_RSRC2:TRAP_HANDLER: 0
; COMPUTE_PGM_RSRC2:TGID_X_EN: 1
; COMPUTE_PGM_RSRC2:TGID_Y_EN: 1
; COMPUTE_PGM_RSRC2:TGID_Z_EN: 0
; COMPUTE_PGM_RSRC2:TIDIG_COMP_CNT: 1
; COMPUTE_PGM_RSRC3_GFX90A:ACCUM_OFFSET: 15
; COMPUTE_PGM_RSRC3_GFX90A:TG_SPLIT: 0
	.section	.text._ZL13mul_mat_vec_qIN3c104HalfELi256ELi8E12block_iq4_xsLi1EXadL_ZL19vec_dot_iq4_xs_q8_1PKvPK10block_q8_1RKiEEEvS4_S4_PT_iii,"axG",@progbits,_ZL13mul_mat_vec_qIN3c104HalfELi256ELi8E12block_iq4_xsLi1EXadL_ZL19vec_dot_iq4_xs_q8_1PKvPK10block_q8_1RKiEEEvS4_S4_PT_iii,comdat
	.globl	_ZL13mul_mat_vec_qIN3c104HalfELi256ELi8E12block_iq4_xsLi1EXadL_ZL19vec_dot_iq4_xs_q8_1PKvPK10block_q8_1RKiEEEvS4_S4_PT_iii ; -- Begin function _ZL13mul_mat_vec_qIN3c104HalfELi256ELi8E12block_iq4_xsLi1EXadL_ZL19vec_dot_iq4_xs_q8_1PKvPK10block_q8_1RKiEEEvS4_S4_PT_iii
	.p2align	8
	.type	_ZL13mul_mat_vec_qIN3c104HalfELi256ELi8E12block_iq4_xsLi1EXadL_ZL19vec_dot_iq4_xs_q8_1PKvPK10block_q8_1RKiEEEvS4_S4_PT_iii,@function
_ZL13mul_mat_vec_qIN3c104HalfELi256ELi8E12block_iq4_xsLi1EXadL_ZL19vec_dot_iq4_xs_q8_1PKvPK10block_q8_1RKiEEEvS4_S4_PT_iii: ; @_ZL13mul_mat_vec_qIN3c104HalfELi256ELi8E12block_iq4_xsLi1EXadL_ZL19vec_dot_iq4_xs_q8_1PKvPK10block_q8_1RKiEEEvS4_S4_PT_iii
; %bb.0:
	s_load_dword s8, s[4:5], 0x34
	s_load_dwordx4 s[0:3], s[4:5], 0x18
	v_bfe_u32 v1, v0, 10, 10
	s_waitcnt lgkmcnt(0)
	s_lshr_b32 s3, s8, 16
	s_mul_i32 s6, s6, s3
	v_add_u32_e32 v11, s6, v1
	s_cmp_lt_u32 s7, s2
	v_cmp_gt_u32_e32 vcc, s1, v11
	s_cselect_b64 s[2:3], -1, 0
	s_and_b64 s[2:3], s[2:3], vcc
	s_and_saveexec_b64 s[8:9], s[2:3]
	s_cbranch_execz .LBB95_7
; %bb.1:
	s_load_dwordx2 s[2:3], s[4:5], 0x10
	s_ashr_i32 s6, s0, 31
	s_lshr_b32 s6, s6, 24
	s_add_i32 s6, s0, s6
	v_and_b32_e32 v16, 0x3ff, v0
	s_ashr_i32 s6, s6, 8
	v_lshrrev_b32_e32 v18, 3, v16
	v_cmp_gt_u32_e32 vcc, s6, v18
	v_mov_b32_e32 v17, 0
	s_and_saveexec_b64 s[8:9], vcc
	s_cbranch_execz .LBB95_5
; %bb.2:
	s_load_dwordx4 s[12:15], s[4:5], 0x0
	s_addk_i32 s0, 0x1ff
	s_ashr_i32 s4, s0, 31
	s_lshr_b32 s4, s4, 23
	s_add_i32 s0, s0, s4
	s_ashr_i32 s0, s0, 9
	v_and_b32_e32 v1, 7, v16
	s_mul_i32 s0, s7, s0
	s_waitcnt lgkmcnt(0)
	v_mad_u64_u32 v[8:9], s[4:5], v1, 36, s[14:15]
	v_lshlrev_b32_e32 v0, 2, v1
	v_lshlrev_b32_e32 v2, 2, v16
	v_lshlrev_b32_e32 v21, 1, v1
	v_lshlrev_b32_e32 v1, 3, v18
	v_mul_lo_u32 v19, v11, s6
	v_mov_b32_e32 v17, 0
	v_bfe_u32 v10, v16, 1, 2
	v_and_b32_e32 v20, 4, v2
	v_lshl_add_u32 v22, s0, 4, v1
	s_mov_b64 s[4:5], 0
	s_movk_i32 s0, 0x88
	v_pk_mov_b32 v[12:13], s[12:13], s[12:13] op_sel:[0,1]
	v_lshlrev_b32_e32 v23, 2, v0
.LBB95_3:                               ; =>This Inner Loop Header: Depth=1
	v_add_u32_e32 v0, v19, v18
	v_mad_i64_i32 v[28:29], s[12:13], v0, s0, v[12:13]
	v_add_co_u32_e32 v30, vcc, v28, v23
	v_addc_co_u32_e32 v31, vcc, 0, v29, vcc
	v_add_co_u32_e32 v32, vcc, v28, v10
	v_mad_i64_i32 v[14:15], s[10:11], v22, 36, v[8:9]
	v_addc_co_u32_e32 v33, vcc, 0, v29, vcc
	global_load_dwordx4 v[24:27], v[30:31], off offset:8
	global_load_ubyte v34, v[32:33], off offset:4
	global_load_dwordx4 v[4:7], v[14:15], off
	global_load_dwordx4 v[0:3], v[14:15], off offset:16
	global_load_dword v35, v[28:29], off
	s_getpc_b64 s[10:11]
	s_add_u32 s10, s10, _ZL13kvalues_iq4nl@rel32@lo+4
	s_addc_u32 s11, s11, _ZL13kvalues_iq4nl@rel32@hi+12
	v_add_u32_e32 v18, 8, v18
	v_cmp_le_u32_e32 vcc, s6, v18
	v_add_u32_e32 v22, 64, v22
	s_or_b64 s[4:5], vcc, s[4:5]
	s_waitcnt vmcnt(4)
	v_bfe_u32 v28, v24, 24, 4
	v_and_b32_e32 v29, 15, v24
	v_bfe_u32 v30, v24, 8, 4
	v_bfe_u32 v31, v24, 16, 4
	v_bfe_u32 v32, v24, 20, 4
	v_lshrrev_b32_e32 v33, 28, v24
	v_bfe_u32 v36, v24, 4, 4
	v_bfe_u32 v24, v24, 12, 4
	v_bfe_u32 v37, v25, 24, 4
	v_and_b32_e32 v38, 15, v25
	v_bfe_u32 v39, v25, 8, 4
	v_bfe_u32 v40, v25, 16, 4
	v_bfe_u32 v41, v25, 20, 4
	v_lshrrev_b32_e32 v42, 28, v25
	v_bfe_u32 v43, v25, 4, 4
	v_bfe_u32 v25, v25, 12, 4
	;; [unrolled: 8-line block ×4, first 2 shown]
	global_load_ubyte v58, v24, s[10:11]
	global_load_ubyte v59, v30, s[10:11]
	;; [unrolled: 1-line block ×6, first 2 shown]
                                        ; kill: killed $vgpr33
                                        ; kill: killed $vgpr32
                                        ; kill: killed $vgpr24
                                        ; kill: killed $vgpr31
                                        ; kill: killed $vgpr36
                                        ; kill: killed $vgpr30
	global_load_ubyte v24, v29, s[10:11]
	global_load_ubyte v30, v28, s[10:11]
	;; [unrolled: 1-line block ×4, first 2 shown]
	s_nop 0
	global_load_ubyte v33, v40, s[10:11]
	global_load_ubyte v36, v41, s[10:11]
                                        ; kill: killed $vgpr25
                                        ; kill: killed $vgpr41
                                        ; kill: killed $vgpr40
                                        ; kill: killed $vgpr39
                                        ; kill: killed $vgpr29
                                        ; kill: killed $vgpr28
	global_load_ubyte v25, v43, s[10:11]
	global_load_ubyte v28, v42, s[10:11]
	;; [unrolled: 1-line block ×6, first 2 shown]
                                        ; kill: killed $vgpr26
                                        ; kill: killed $vgpr43
                                        ; kill: killed $vgpr37
                                        ; kill: killed $vgpr46
                                        ; kill: killed $vgpr38
                                        ; kill: killed $vgpr42
	s_nop 0
	global_load_ubyte v26, v47, s[10:11]
	global_load_ubyte v37, v48, s[10:11]
	;; [unrolled: 1-line block ×6, first 2 shown]
                                        ; kill: killed $vgpr50
                                        ; kill: killed $vgpr44
                                        ; kill: killed $vgpr48
                                        ; kill: killed $vgpr47
                                        ; kill: killed $vgpr45
                                        ; kill: killed $vgpr49
	s_nop 0
	global_load_ubyte v44, v27, s[10:11]
	global_load_ubyte v45, v53, s[10:11]
	;; [unrolled: 1-line block ×6, first 2 shown]
                                        ; kill: killed $vgpr27
                                        ; kill: killed $vgpr51
                                        ; kill: killed $vgpr55
                                        ; kill: killed $vgpr54
                                        ; kill: killed $vgpr53
                                        ; kill: killed $vgpr56
	global_load_ubyte v27, v52, s[10:11]
	s_nop 0
	global_load_ubyte v51, v57, s[10:11]
	global_load_dword v53, v[14:15], off offset:32
	s_waitcnt vmcnt(33)
	v_cvt_f32_f16_e32 v52, v35
	v_lshrrev_b32_sdwa v35, v21, v35 dst_sel:DWORD dst_unused:UNUSED_PAD src0_sel:DWORD src1_sel:WORD_1
	v_bfe_u32 v34, v34, v20, 4
	v_lshlrev_b32_e32 v35, 4, v35
	v_and_or_b32 v34, v35, 48, v34
	v_mov_b32_e32 v14, 0
	v_mov_b32_e32 v15, 0
	v_subrev_u32_e32 v34, 32, v34
	v_cvt_f32_i32_e32 v34, v34
	v_cvt_f32_f16_e32 v4, v4
	s_waitcnt vmcnt(30)
	v_lshlrev_b32_e32 v35, 16, v60
	s_waitcnt vmcnt(29)
	v_lshlrev_b32_e32 v55, 16, v61
	s_waitcnt vmcnt(28)
	v_lshl_or_b32 v56, v58, 8, v62
	s_waitcnt vmcnt(27)
	v_lshlrev_b32_e32 v54, 24, v63
	s_waitcnt vmcnt(26)
	v_lshl_or_b32 v24, v59, 8, v24
	s_waitcnt vmcnt(25)
	v_lshlrev_b32_e32 v30, 24, v30
	v_or3_b32 v24, v24, v35, v30
	v_or3_b32 v30, v56, v55, v54
	s_waitcnt vmcnt(22)
	v_lshlrev_b32_e32 v33, 16, v33
	v_dot4c_i32_i8_e32 v14, v24, v5
	v_dot4c_i32_i8_e32 v15, v30, v1
	v_mul_f32_e32 v1, v52, v34
	v_mul_f32_e32 v1, v1, v4
	s_waitcnt vmcnt(20)
	v_lshl_or_b32 v25, v31, 8, v25
	s_waitcnt vmcnt(19)
	v_lshlrev_b32_e32 v28, 24, v28
	s_waitcnt vmcnt(18)
	v_lshl_or_b32 v29, v32, 8, v29
	s_waitcnt vmcnt(17)
	v_lshlrev_b32_e32 v39, 24, v39
	v_lshlrev_b32_e32 v32, 16, v36
	v_or3_b32 v29, v29, v33, v39
	v_or3_b32 v25, v25, v32, v28
	v_dot4c_i32_i8_e32 v14, v29, v6
	v_dot4c_i32_i8_e32 v15, v25, v2
	s_waitcnt vmcnt(14)
	v_lshlrev_b32_e32 v26, 16, v26
	s_waitcnt vmcnt(13)
	v_lshlrev_b32_e32 v37, 16, v37
	s_waitcnt vmcnt(12)
	v_lshl_or_b32 v38, v40, 8, v38
	s_waitcnt vmcnt(10)
	v_lshl_or_b32 v36, v41, 8, v43
	s_waitcnt vmcnt(9)
	v_lshlrev_b32_e32 v31, 24, v46
	v_lshlrev_b32_e32 v41, 24, v42
	v_or3_b32 v26, v36, v26, v31
	v_or3_b32 v28, v38, v37, v41
	v_dot4c_i32_i8_e32 v14, v26, v7
	v_dot4c_i32_i8_e32 v15, v28, v3
	s_waitcnt vmcnt(6)
	v_lshlrev_b32_e32 v42, 16, v47
	s_waitcnt vmcnt(4)
	v_lshlrev_b32_e32 v43, 24, v49
	;; [unrolled: 2-line block ×3, first 2 shown]
	s_waitcnt vmcnt(2)
	v_lshl_or_b32 v27, v45, 8, v27
	v_lshlrev_b32_e32 v45, 16, v48
	s_waitcnt vmcnt(1)
	v_lshl_or_b32 v44, v44, 8, v51
	v_or3_b32 v27, v27, v42, v40
	v_or3_b32 v31, v44, v45, v43
	v_dot4c_i32_i8_e32 v14, v27, v0
	s_waitcnt vmcnt(0)
	v_dot4c_i32_i8_e32 v15, v31, v53
	s_nop 2
	v_add_u32_e32 v0, v15, v14
	v_cvt_f32_i32_e32 v0, v0
	v_fmac_f32_e32 v17, v1, v0
	s_andn2_b64 exec, exec, s[4:5]
	s_cbranch_execnz .LBB95_3
; %bb.4:
	s_or_b64 exec, exec, s[4:5]
.LBB95_5:
	s_or_b64 exec, exec, s[8:9]
	v_mbcnt_lo_u32_b32 v0, -1, 0
	v_mbcnt_hi_u32_b32 v1, -1, v0
	v_and_b32_e32 v0, 64, v1
	v_add_u32_e32 v2, 64, v0
	v_xor_b32_e32 v0, 32, v1
	v_cmp_lt_i32_e32 vcc, v0, v2
	v_cndmask_b32_e32 v0, v1, v0, vcc
	v_lshlrev_b32_e32 v0, 2, v0
	ds_bpermute_b32 v0, v0, v17
	v_xor_b32_e32 v3, 16, v1
	v_cmp_lt_i32_e32 vcc, v3, v2
	v_cndmask_b32_e32 v3, v1, v3, vcc
	v_lshlrev_b32_e32 v3, 2, v3
	s_waitcnt lgkmcnt(0)
	v_add_f32_e32 v0, v17, v0
	ds_bpermute_b32 v3, v3, v0
	v_xor_b32_e32 v4, 8, v1
	v_cmp_lt_i32_e32 vcc, v4, v2
	s_waitcnt lgkmcnt(0)
	v_add_f32_e32 v0, v0, v3
	v_cndmask_b32_e32 v3, v1, v4, vcc
	v_lshlrev_b32_e32 v3, 2, v3
	ds_bpermute_b32 v3, v3, v0
	v_xor_b32_e32 v4, 4, v1
	v_cmp_lt_i32_e32 vcc, v4, v2
	s_waitcnt lgkmcnt(0)
	v_add_f32_e32 v0, v0, v3
	v_cndmask_b32_e32 v3, v1, v4, vcc
	v_lshlrev_b32_e32 v3, 2, v3
	;; [unrolled: 7-line block ×3, first 2 shown]
	ds_bpermute_b32 v3, v3, v0
	v_xor_b32_e32 v4, 1, v1
	v_cmp_lt_i32_e32 vcc, v4, v2
	v_cndmask_b32_e32 v1, v1, v4, vcc
	v_lshlrev_b32_e32 v1, 2, v1
	s_waitcnt lgkmcnt(0)
	v_add_f32_e32 v0, v0, v3
	ds_bpermute_b32 v1, v1, v0
	v_cmp_eq_u32_e32 vcc, 0, v16
	s_and_b64 exec, exec, vcc
	s_cbranch_execz .LBB95_7
; %bb.6:
	s_waitcnt lgkmcnt(0)
	v_add_f32_e32 v0, v0, v1
	s_mul_i32 s7, s7, s1
	v_cvt_f16_f32_e32 v2, v0
	v_add_u32_e32 v0, s7, v11
	v_mov_b32_e32 v1, 0
	v_lshlrev_b64 v[0:1], 1, v[0:1]
	v_mov_b32_e32 v3, s3
	v_add_co_u32_e32 v0, vcc, s2, v0
	v_addc_co_u32_e32 v1, vcc, v3, v1, vcc
	global_store_short v[0:1], v2, off
.LBB95_7:
	s_endpgm
	.section	.rodata,"a",@progbits
	.p2align	6, 0x0
	.amdhsa_kernel _ZL13mul_mat_vec_qIN3c104HalfELi256ELi8E12block_iq4_xsLi1EXadL_ZL19vec_dot_iq4_xs_q8_1PKvPK10block_q8_1RKiEEEvS4_S4_PT_iii
		.amdhsa_group_segment_fixed_size 0
		.amdhsa_private_segment_fixed_size 0
		.amdhsa_kernarg_size 296
		.amdhsa_user_sgpr_count 6
		.amdhsa_user_sgpr_private_segment_buffer 1
		.amdhsa_user_sgpr_dispatch_ptr 0
		.amdhsa_user_sgpr_queue_ptr 0
		.amdhsa_user_sgpr_kernarg_segment_ptr 1
		.amdhsa_user_sgpr_dispatch_id 0
		.amdhsa_user_sgpr_flat_scratch_init 0
		.amdhsa_user_sgpr_kernarg_preload_length 0
		.amdhsa_user_sgpr_kernarg_preload_offset 0
		.amdhsa_user_sgpr_private_segment_size 0
		.amdhsa_uses_dynamic_stack 0
		.amdhsa_system_sgpr_private_segment_wavefront_offset 0
		.amdhsa_system_sgpr_workgroup_id_x 1
		.amdhsa_system_sgpr_workgroup_id_y 1
		.amdhsa_system_sgpr_workgroup_id_z 0
		.amdhsa_system_sgpr_workgroup_info 0
		.amdhsa_system_vgpr_workitem_id 1
		.amdhsa_next_free_vgpr 64
		.amdhsa_next_free_sgpr 16
		.amdhsa_accum_offset 64
		.amdhsa_reserve_vcc 1
		.amdhsa_reserve_flat_scratch 0
		.amdhsa_float_round_mode_32 0
		.amdhsa_float_round_mode_16_64 0
		.amdhsa_float_denorm_mode_32 3
		.amdhsa_float_denorm_mode_16_64 3
		.amdhsa_dx10_clamp 1
		.amdhsa_ieee_mode 1
		.amdhsa_fp16_overflow 0
		.amdhsa_tg_split 0
		.amdhsa_exception_fp_ieee_invalid_op 0
		.amdhsa_exception_fp_denorm_src 0
		.amdhsa_exception_fp_ieee_div_zero 0
		.amdhsa_exception_fp_ieee_overflow 0
		.amdhsa_exception_fp_ieee_underflow 0
		.amdhsa_exception_fp_ieee_inexact 0
		.amdhsa_exception_int_div_zero 0
	.end_amdhsa_kernel
	.section	.text._ZL13mul_mat_vec_qIN3c104HalfELi256ELi8E12block_iq4_xsLi1EXadL_ZL19vec_dot_iq4_xs_q8_1PKvPK10block_q8_1RKiEEEvS4_S4_PT_iii,"axG",@progbits,_ZL13mul_mat_vec_qIN3c104HalfELi256ELi8E12block_iq4_xsLi1EXadL_ZL19vec_dot_iq4_xs_q8_1PKvPK10block_q8_1RKiEEEvS4_S4_PT_iii,comdat
.Lfunc_end95:
	.size	_ZL13mul_mat_vec_qIN3c104HalfELi256ELi8E12block_iq4_xsLi1EXadL_ZL19vec_dot_iq4_xs_q8_1PKvPK10block_q8_1RKiEEEvS4_S4_PT_iii, .Lfunc_end95-_ZL13mul_mat_vec_qIN3c104HalfELi256ELi8E12block_iq4_xsLi1EXadL_ZL19vec_dot_iq4_xs_q8_1PKvPK10block_q8_1RKiEEEvS4_S4_PT_iii
                                        ; -- End function
	.section	.AMDGPU.csdata,"",@progbits
; Kernel info:
; codeLenInByte = 1536
; NumSgprs: 20
; NumVgprs: 64
; NumAgprs: 0
; TotalNumVgprs: 64
; ScratchSize: 0
; MemoryBound: 0
; FloatMode: 240
; IeeeMode: 1
; LDSByteSize: 0 bytes/workgroup (compile time only)
; SGPRBlocks: 2
; VGPRBlocks: 7
; NumSGPRsForWavesPerEU: 20
; NumVGPRsForWavesPerEU: 64
; AccumOffset: 64
; Occupancy: 8
; WaveLimiterHint : 0
; COMPUTE_PGM_RSRC2:SCRATCH_EN: 0
; COMPUTE_PGM_RSRC2:USER_SGPR: 6
; COMPUTE_PGM_RSRC2:TRAP_HANDLER: 0
; COMPUTE_PGM_RSRC2:TGID_X_EN: 1
; COMPUTE_PGM_RSRC2:TGID_Y_EN: 1
; COMPUTE_PGM_RSRC2:TGID_Z_EN: 0
; COMPUTE_PGM_RSRC2:TIDIG_COMP_CNT: 1
; COMPUTE_PGM_RSRC3_GFX90A:ACCUM_OFFSET: 15
; COMPUTE_PGM_RSRC3_GFX90A:TG_SPLIT: 0
	.section	.text._ZL13mul_mat_vec_qIN3c104HalfELi256ELi8E11block_iq1_mLi1EXadL_ZL18vec_dot_iq1_m_q8_1PKvPK10block_q8_1RKiEEEvS4_S4_PT_iii,"axG",@progbits,_ZL13mul_mat_vec_qIN3c104HalfELi256ELi8E11block_iq1_mLi1EXadL_ZL18vec_dot_iq1_m_q8_1PKvPK10block_q8_1RKiEEEvS4_S4_PT_iii,comdat
	.globl	_ZL13mul_mat_vec_qIN3c104HalfELi256ELi8E11block_iq1_mLi1EXadL_ZL18vec_dot_iq1_m_q8_1PKvPK10block_q8_1RKiEEEvS4_S4_PT_iii ; -- Begin function _ZL13mul_mat_vec_qIN3c104HalfELi256ELi8E11block_iq1_mLi1EXadL_ZL18vec_dot_iq1_m_q8_1PKvPK10block_q8_1RKiEEEvS4_S4_PT_iii
	.p2align	8
	.type	_ZL13mul_mat_vec_qIN3c104HalfELi256ELi8E11block_iq1_mLi1EXadL_ZL18vec_dot_iq1_m_q8_1PKvPK10block_q8_1RKiEEEvS4_S4_PT_iii,@function
_ZL13mul_mat_vec_qIN3c104HalfELi256ELi8E11block_iq1_mLi1EXadL_ZL18vec_dot_iq1_m_q8_1PKvPK10block_q8_1RKiEEEvS4_S4_PT_iii: ; @_ZL13mul_mat_vec_qIN3c104HalfELi256ELi8E11block_iq1_mLi1EXadL_ZL18vec_dot_iq1_m_q8_1PKvPK10block_q8_1RKiEEEvS4_S4_PT_iii
; %bb.0:
	s_load_dword s8, s[4:5], 0x34
	s_load_dwordx4 s[0:3], s[4:5], 0x18
	v_bfe_u32 v1, v0, 10, 10
	s_waitcnt lgkmcnt(0)
	s_lshr_b32 s3, s8, 16
	s_mul_i32 s6, s6, s3
	v_add_u32_e32 v9, s6, v1
	s_cmp_lt_u32 s7, s2
	v_cmp_gt_u32_e32 vcc, s1, v9
	s_cselect_b64 s[2:3], -1, 0
	s_and_b64 s[2:3], s[2:3], vcc
	s_and_saveexec_b64 s[8:9], s[2:3]
	s_cbranch_execz .LBB96_7
; %bb.1:
	s_load_dwordx2 s[2:3], s[4:5], 0x10
	s_ashr_i32 s6, s0, 31
	s_lshr_b32 s6, s6, 24
	s_add_i32 s6, s0, s6
	v_and_b32_e32 v11, 0x3ff, v0
	s_ashr_i32 s6, s6, 8
	v_lshrrev_b32_e32 v15, 3, v11
	v_cmp_gt_u32_e32 vcc, s6, v15
	v_mov_b32_e32 v14, 0
	s_and_saveexec_b64 s[12:13], vcc
	s_cbranch_execz .LBB96_5
; %bb.2:
	s_addk_i32 s0, 0x1ff
	s_load_dwordx4 s[8:11], s[4:5], 0x0
	s_ashr_i32 s4, s0, 31
	s_lshr_b32 s4, s4, 23
	s_add_i32 s0, s0, s4
	s_ashr_i32 s0, s0, 9
	v_and_b32_e32 v1, 1, v11
	s_mul_i32 s0, s7, s0
	v_and_b32_e32 v8, 7, v11
	v_bfe_u32 v0, v11, 1, 2
	v_cmp_eq_u32_e32 vcc, 1, v1
	v_lshlrev_b32_e32 v1, 3, v15
	s_mov_b32 s18, 0xbf600000
	v_mul_lo_u32 v16, v9, s6
	v_mov_b32_e32 v14, 0
	v_lshlrev_b32_e32 v10, 1, v8
	v_cndmask_b32_e64 v17, 0, 6, vcc
	v_lshl_add_u32 v18, s0, 4, v1
	s_mov_b64 s[4:5], 0
	v_lshlrev_b32_e32 v19, 2, v8
	s_mov_b32 s14, 0x40008
	s_movk_i32 s15, 0xf000
	v_lshlrev_b32_e32 v20, 1, v0
	s_movk_i32 s16, 0x700
	s_mov_b32 s0, 0x3d000000
	v_pk_mov_b32 v[12:13], s[18:19], s[18:19] op_sel:[0,1]
	v_mov_b32_e32 v21, 8
.LBB96_3:                               ; =>This Inner Loop Header: Depth=1
	v_add_u32_e32 v0, v16, v15
	s_waitcnt lgkmcnt(0)
	v_mad_i64_i32 v[22:23], s[18:19], v0, 56, s[8:9]
	v_add_co_u32_e32 v0, vcc, v22, v19
	v_addc_co_u32_e32 v1, vcc, 0, v23, vcc
	v_add_co_u32_e32 v2, vcc, v22, v10
	v_addc_co_u32_e32 v3, vcc, 0, v23, vcc
	global_load_dword v26, v[0:1], off
	global_load_ushort v27, v[2:3], off offset:32
	v_mad_i64_i32 v[0:1], s[18:19], v18, 36, s[10:11]
	v_mad_u64_u32 v[24:25], s[20:21], v8, 36, v[0:1]
	global_load_dword v32, v[24:25], off offset:32
	global_load_dwordx4 v[4:7], v[24:25], off
	global_load_dwordx4 v[0:3], v[24:25], off offset:16
	s_getpc_b64 s[18:19]
	s_add_u32 s18, s18, _ZL13iq1s_grid_gpu@rel32@lo+4
	s_addc_u32 s19, s19, _ZL13iq1s_grid_gpu@rel32@hi+12
	v_add_co_u32_e32 v24, vcc, v22, v20
	v_addc_co_u32_e32 v25, vcc, 0, v23, vcc
	global_load_dwordx2 v[22:23], v[22:23], off offset:48
	v_mov_b32_e32 v39, 0
	v_mov_b32_e32 v40, 0
	v_add_u32_e32 v15, 8, v15
	v_cmp_le_u32_e32 vcc, s6, v15
	v_add_u32_e32 v18, 64, v18
	s_or_b64 s[4:5], vcc, s[4:5]
	s_waitcnt vmcnt(5)
	v_and_b32_e32 v28, 0xff, v26
	s_waitcnt vmcnt(4)
	v_lshlrev_b32_e32 v31, 8, v27
	v_lshrrev_b16_e32 v34, 4, v27
	v_and_or_b32 v28, v31, s16, v28
	v_and_b32_e32 v31, 15, v34
	v_bfe_u32 v29, v26, 8, 8
	v_lshrrev_b16_e32 v33, 12, v27
	v_lshlrev_b32_e32 v31, 8, v31
	v_bfe_u32 v30, v26, 16, 8
	v_lshlrev_b32_sdwa v35, v21, v27 dst_sel:DWORD dst_unused:UNUSED_PAD src0_sel:DWORD src1_sel:BYTE_1
	v_alignbit_b32 v26, v33, v26, 24
	v_lshlrev_b32_e32 v28, 3, v28
	v_and_or_b32 v29, v31, s16, v29
	v_and_or_b32 v30, v35, s16, v30
	v_and_b32_e32 v26, 0x7ff, v26
	global_load_dword v35, v28, s[18:19]
	v_lshlrev_b32_e32 v28, 3, v29
	v_lshlrev_b32_e32 v30, 3, v30
	;; [unrolled: 1-line block ×3, first 2 shown]
	global_load_dword v36, v28, s[18:19]
	global_load_dword v37, v30, s[18:19]
	global_load_dword v38, v26, s[18:19]
	global_load_ushort v29, v[24:25], off offset:48
	v_mov_b32_e32 v24, 0
	v_mov_b32_e32 v25, 0
	s_waitcnt vmcnt(7)
	v_dot4c_i32_i8_e32 v24, 0x1010101, v5
	s_waitcnt vmcnt(6)
	v_dot4c_i32_i8_e32 v25, 0x1010101, v1
	v_dot4c_i32_i8_e32 v24, 0x1010101, v6
	;; [unrolled: 1-line block ×3, first 2 shown]
	s_waitcnt vmcnt(5)
	v_alignbit_b32 v30, v23, v22, 16
	v_lshrrev_b16_e32 v31, 12, v22
	v_cvt_f32_i32_e32 v24, v24
	v_cvt_f32_i32_e32 v25, v25
	v_and_b32_sdwa v41, v23, s15 dst_sel:DWORD dst_unused:UNUSED_PAD src0_sel:WORD_1 src1_sel:DWORD
	v_and_b32_sdwa v23, v27, v21 dst_sel:DWORD dst_unused:UNUSED_PAD src0_sel:BYTE_1 src1_sel:DWORD
	v_and_b32_e32 v27, 8, v27
	v_cvt_f32_ubyte0_e32 v23, v23
	v_mov_b32_e32 v28, 0
	v_dot4c_i32_i8_e32 v28, 0x1010101, v3
	v_dot4c_i32_i8_e32 v28, 0x1010101, v32
	v_and_b32_e32 v34, 8, v34
	v_and_b32_e32 v33, 8, v33
	v_mov_b32_e32 v26, 0
	v_dot4c_i32_i8_e32 v26, 0x1010101, v7
	v_dot4c_i32_i8_e32 v26, 0x1010101, v0
	v_cvt_f32_f16_e32 v4, v4
	s_waitcnt vmcnt(0)
	v_lshrrev_b32_e32 v22, v17, v29
	v_pk_lshrrev_b16 v29, s14, v30
	v_lshlrev_b32_e32 v30, 1, v22
	v_lshrrev_b32_e32 v42, 2, v22
	v_cvt_f32_ubyte0_e32 v22, v27
	v_pk_fma_f32 v[22:23], v[22:23], s[0:1], v[12:13] op_sel_hi:[1,0,0] neg_lo:[1,0,0] neg_hi:[1,0,0]
	v_pk_fma_f32 v[22:23], v[22:23], v[24:25], 0 op_sel_hi:[1,1,0]
	v_and_b32_e32 v24, 0xf0f0f0f, v35
	v_lshrrev_b32_e32 v25, 4, v35
	v_and_b32_e32 v25, 0xf0f0f0f, v25
	v_dot4c_i32_i8_e32 v39, v24, v5
	v_and_b32_e32 v43, 0xf0000f0, v29
	v_dot4c_i32_i8_e32 v39, v25, v6
	v_and_b32_e32 v5, 0xf0f0f0f, v36
	v_and_b32_e32 v24, 0xf0f0f0f, v37
	v_lshrrev_b32_e32 v25, 4, v37
	v_cvt_f32_i32_e32 v27, v28
	v_cvt_f32_ubyte0_e32 v29, v33
	v_cvt_f32_ubyte0_e32 v28, v34
	v_and_or_b32 v33, v42, 14, 1
	v_or_b32_e32 v34, v43, v31
	v_dot4c_i32_i8_e32 v39, v5, v7
	v_and_b32_e32 v5, 0xf0f0f0f, v25
	v_dot4c_i32_i8_e32 v40, v24, v1
	v_cvt_f32_ubyte0_e32 v31, v33
	v_or_b32_sdwa v33, v34, v43 dst_sel:DWORD dst_unused:UNUSED_PAD src0_sel:DWORD src1_sel:WORD_1
	v_lshrrev_b32_e32 v6, 4, v36
	v_and_b32_e32 v34, 0xf0f0f0f, v38
	v_lshrrev_b32_e32 v35, 4, v38
	v_dot4c_i32_i8_e32 v40, v5, v2
	v_and_b32_e32 v6, 0xf0f0f0f, v6
	v_and_b32_e32 v1, 0xf0f0f0f, v35
	v_dot4c_i32_i8_e32 v40, v34, v3
	v_cvt_f32_i32_e32 v26, v26
	v_dot4c_i32_i8_e32 v39, v6, v0
	v_dot4c_i32_i8_e32 v40, v1, v32
	v_or_b32_e32 v33, v33, v41
	v_pk_fma_f32 v[28:29], v[28:29], s[0:1], v[12:13] op_sel_hi:[1,0,0] neg_lo:[1,0,0] neg_hi:[1,0,0]
	v_cvt_f32_i32_e32 v0, v39
	v_cvt_f32_i32_e32 v1, v40
	v_cvt_f32_f16_e32 v5, v33
	v_and_or_b32 v30, v30, 14, 1
	v_pk_fma_f32 v[2:3], v[28:29], v[26:27], v[22:23]
	v_cvt_f32_ubyte0_e32 v30, v30
	v_pk_add_f32 v[0:1], v[2:3], v[0:1]
	v_pk_mul_f32 v[0:1], v[0:1], v[30:31]
	v_mul_f32_e32 v4, v5, v4
	v_add_f32_e32 v0, v0, v1
	v_fmac_f32_e32 v14, v4, v0
	s_andn2_b64 exec, exec, s[4:5]
	s_cbranch_execnz .LBB96_3
; %bb.4:
	s_or_b64 exec, exec, s[4:5]
.LBB96_5:
	s_or_b64 exec, exec, s[12:13]
	v_mbcnt_lo_u32_b32 v0, -1, 0
	v_mbcnt_hi_u32_b32 v1, -1, v0
	v_and_b32_e32 v0, 64, v1
	v_add_u32_e32 v2, 64, v0
	v_xor_b32_e32 v0, 32, v1
	v_cmp_lt_i32_e32 vcc, v0, v2
	v_cndmask_b32_e32 v0, v1, v0, vcc
	v_lshlrev_b32_e32 v0, 2, v0
	ds_bpermute_b32 v0, v0, v14
	v_xor_b32_e32 v3, 16, v1
	v_cmp_lt_i32_e32 vcc, v3, v2
	v_cndmask_b32_e32 v3, v1, v3, vcc
	v_lshlrev_b32_e32 v3, 2, v3
	s_waitcnt lgkmcnt(0)
	v_add_f32_e32 v0, v14, v0
	ds_bpermute_b32 v3, v3, v0
	v_xor_b32_e32 v4, 8, v1
	v_cmp_lt_i32_e32 vcc, v4, v2
	s_waitcnt lgkmcnt(0)
	v_add_f32_e32 v0, v0, v3
	v_cndmask_b32_e32 v3, v1, v4, vcc
	v_lshlrev_b32_e32 v3, 2, v3
	ds_bpermute_b32 v3, v3, v0
	v_xor_b32_e32 v4, 4, v1
	v_cmp_lt_i32_e32 vcc, v4, v2
	s_waitcnt lgkmcnt(0)
	v_add_f32_e32 v0, v0, v3
	v_cndmask_b32_e32 v3, v1, v4, vcc
	v_lshlrev_b32_e32 v3, 2, v3
	;; [unrolled: 7-line block ×3, first 2 shown]
	ds_bpermute_b32 v3, v3, v0
	v_xor_b32_e32 v4, 1, v1
	v_cmp_lt_i32_e32 vcc, v4, v2
	v_cndmask_b32_e32 v1, v1, v4, vcc
	v_lshlrev_b32_e32 v1, 2, v1
	s_waitcnt lgkmcnt(0)
	v_add_f32_e32 v0, v0, v3
	ds_bpermute_b32 v1, v1, v0
	v_cmp_eq_u32_e32 vcc, 0, v11
	s_and_b64 exec, exec, vcc
	s_cbranch_execz .LBB96_7
; %bb.6:
	s_waitcnt lgkmcnt(0)
	v_add_f32_e32 v0, v0, v1
	s_mul_i32 s7, s7, s1
	v_cvt_f16_f32_e32 v2, v0
	v_add_u32_e32 v0, s7, v9
	v_mov_b32_e32 v1, 0
	v_lshlrev_b64 v[0:1], 1, v[0:1]
	v_mov_b32_e32 v3, s3
	v_add_co_u32_e32 v0, vcc, s2, v0
	v_addc_co_u32_e32 v1, vcc, v3, v1, vcc
	global_store_short v[0:1], v2, off
.LBB96_7:
	s_endpgm
	.section	.rodata,"a",@progbits
	.p2align	6, 0x0
	.amdhsa_kernel _ZL13mul_mat_vec_qIN3c104HalfELi256ELi8E11block_iq1_mLi1EXadL_ZL18vec_dot_iq1_m_q8_1PKvPK10block_q8_1RKiEEEvS4_S4_PT_iii
		.amdhsa_group_segment_fixed_size 0
		.amdhsa_private_segment_fixed_size 0
		.amdhsa_kernarg_size 296
		.amdhsa_user_sgpr_count 6
		.amdhsa_user_sgpr_private_segment_buffer 1
		.amdhsa_user_sgpr_dispatch_ptr 0
		.amdhsa_user_sgpr_queue_ptr 0
		.amdhsa_user_sgpr_kernarg_segment_ptr 1
		.amdhsa_user_sgpr_dispatch_id 0
		.amdhsa_user_sgpr_flat_scratch_init 0
		.amdhsa_user_sgpr_kernarg_preload_length 0
		.amdhsa_user_sgpr_kernarg_preload_offset 0
		.amdhsa_user_sgpr_private_segment_size 0
		.amdhsa_uses_dynamic_stack 0
		.amdhsa_system_sgpr_private_segment_wavefront_offset 0
		.amdhsa_system_sgpr_workgroup_id_x 1
		.amdhsa_system_sgpr_workgroup_id_y 1
		.amdhsa_system_sgpr_workgroup_id_z 0
		.amdhsa_system_sgpr_workgroup_info 0
		.amdhsa_system_vgpr_workitem_id 1
		.amdhsa_next_free_vgpr 44
		.amdhsa_next_free_sgpr 22
		.amdhsa_accum_offset 44
		.amdhsa_reserve_vcc 1
		.amdhsa_reserve_flat_scratch 0
		.amdhsa_float_round_mode_32 0
		.amdhsa_float_round_mode_16_64 0
		.amdhsa_float_denorm_mode_32 3
		.amdhsa_float_denorm_mode_16_64 3
		.amdhsa_dx10_clamp 1
		.amdhsa_ieee_mode 1
		.amdhsa_fp16_overflow 0
		.amdhsa_tg_split 0
		.amdhsa_exception_fp_ieee_invalid_op 0
		.amdhsa_exception_fp_denorm_src 0
		.amdhsa_exception_fp_ieee_div_zero 0
		.amdhsa_exception_fp_ieee_overflow 0
		.amdhsa_exception_fp_ieee_underflow 0
		.amdhsa_exception_fp_ieee_inexact 0
		.amdhsa_exception_int_div_zero 0
	.end_amdhsa_kernel
	.section	.text._ZL13mul_mat_vec_qIN3c104HalfELi256ELi8E11block_iq1_mLi1EXadL_ZL18vec_dot_iq1_m_q8_1PKvPK10block_q8_1RKiEEEvS4_S4_PT_iii,"axG",@progbits,_ZL13mul_mat_vec_qIN3c104HalfELi256ELi8E11block_iq1_mLi1EXadL_ZL18vec_dot_iq1_m_q8_1PKvPK10block_q8_1RKiEEEvS4_S4_PT_iii,comdat
.Lfunc_end96:
	.size	_ZL13mul_mat_vec_qIN3c104HalfELi256ELi8E11block_iq1_mLi1EXadL_ZL18vec_dot_iq1_m_q8_1PKvPK10block_q8_1RKiEEEvS4_S4_PT_iii, .Lfunc_end96-_ZL13mul_mat_vec_qIN3c104HalfELi256ELi8E11block_iq1_mLi1EXadL_ZL18vec_dot_iq1_m_q8_1PKvPK10block_q8_1RKiEEEvS4_S4_PT_iii
                                        ; -- End function
	.section	.AMDGPU.csdata,"",@progbits
; Kernel info:
; codeLenInByte = 1280
; NumSgprs: 26
; NumVgprs: 44
; NumAgprs: 0
; TotalNumVgprs: 44
; ScratchSize: 0
; MemoryBound: 0
; FloatMode: 240
; IeeeMode: 1
; LDSByteSize: 0 bytes/workgroup (compile time only)
; SGPRBlocks: 3
; VGPRBlocks: 5
; NumSGPRsForWavesPerEU: 26
; NumVGPRsForWavesPerEU: 44
; AccumOffset: 44
; Occupancy: 8
; WaveLimiterHint : 0
; COMPUTE_PGM_RSRC2:SCRATCH_EN: 0
; COMPUTE_PGM_RSRC2:USER_SGPR: 6
; COMPUTE_PGM_RSRC2:TRAP_HANDLER: 0
; COMPUTE_PGM_RSRC2:TGID_X_EN: 1
; COMPUTE_PGM_RSRC2:TGID_Y_EN: 1
; COMPUTE_PGM_RSRC2:TGID_Z_EN: 0
; COMPUTE_PGM_RSRC2:TIDIG_COMP_CNT: 1
; COMPUTE_PGM_RSRC3_GFX90A:ACCUM_OFFSET: 10
; COMPUTE_PGM_RSRC3_GFX90A:TG_SPLIT: 0
	.section	.text._ZL13quantize_q8_1IN3c108BFloat16EEvPKT_Pvii,"axG",@progbits,_ZL13quantize_q8_1IN3c108BFloat16EEvPKT_Pvii,comdat
	.globl	_ZL13quantize_q8_1IN3c108BFloat16EEvPKT_Pvii ; -- Begin function _ZL13quantize_q8_1IN3c108BFloat16EEvPKT_Pvii
	.p2align	8
	.type	_ZL13quantize_q8_1IN3c108BFloat16EEvPKT_Pvii,@function
_ZL13quantize_q8_1IN3c108BFloat16EEvPKT_Pvii: ; @_ZL13quantize_q8_1IN3c108BFloat16EEvPKT_Pvii
; %bb.0:
	s_load_dword s2, s[4:5], 0x24
	s_load_dwordx2 s[0:1], s[4:5], 0x10
	s_add_u32 s8, s4, 24
	s_addc_u32 s9, s5, 0
	v_and_b32_e32 v1, 0x3ff, v0
	s_waitcnt lgkmcnt(0)
	s_and_b32 s2, s2, 0xffff
	s_mul_i32 s6, s6, s2
	v_add_u32_e32 v2, s6, v1
	v_cmp_gt_u32_e32 vcc, s1, v2
	s_and_saveexec_b64 s[2:3], vcc
	s_cbranch_execz .LBB97_7
; %bb.1:
	s_load_dword s6, s[8:9], 0xc
	s_load_dwordx2 s[2:3], s[4:5], 0x8
	v_bfe_u32 v0, v0, 10, 10
	v_cmp_gt_u32_e32 vcc, s0, v2
	v_mov_b32_e32 v3, 0
	s_waitcnt lgkmcnt(0)
	s_lshr_b32 s6, s6, 16
	s_mul_i32 s7, s7, s6
	v_add_u32_e32 v0, s7, v0
	v_mov_b32_e32 v1, 0
	s_and_saveexec_b64 s[6:7], vcc
	s_cbranch_execz .LBB97_3
; %bb.2:
	s_load_dwordx2 s[4:5], s[4:5], 0x0
	v_mad_u64_u32 v[4:5], s[8:9], v0, s0, v[2:3]
	v_mov_b32_e32 v5, 0
	v_lshlrev_b64 v[4:5], 1, v[4:5]
	s_waitcnt lgkmcnt(0)
	v_mov_b32_e32 v1, s5
	v_add_co_u32_e32 v4, vcc, s4, v4
	v_addc_co_u32_e32 v5, vcc, v1, v5, vcc
	global_load_ushort v1, v[4:5], off
	s_waitcnt vmcnt(0)
	v_lshlrev_b32_e32 v1, 16, v1
.LBB97_3:
	s_or_b64 exec, exec, s[6:7]
	v_mbcnt_lo_u32_b32 v5, -1, 0
	v_mbcnt_hi_u32_b32 v5, -1, v5
	v_and_b32_e32 v6, 0x60, v5
	v_add_u32_e32 v6, 32, v6
	v_xor_b32_e32 v7, 16, v5
	v_cmp_lt_i32_e32 vcc, v7, v6
	v_cndmask_b32_e32 v7, v5, v7, vcc
	v_and_b32_e32 v4, 0x7fffffff, v1
	v_lshlrev_b32_e32 v7, 2, v7
	ds_bpermute_b32 v4, v7, v4
	v_max_f32_e64 v8, |v1|, |v1|
	ds_bpermute_b32 v7, v7, v1
	s_mov_b32 s6, 0x42fe0000
	s_brev_b32 s0, -2
	s_waitcnt lgkmcnt(1)
	v_max_f32_e32 v4, v4, v4
	v_max_f32_e32 v4, v8, v4
	v_xor_b32_e32 v8, 8, v5
	v_cmp_lt_i32_e32 vcc, v8, v6
	v_cndmask_b32_e32 v8, v5, v8, vcc
	v_lshlrev_b32_e32 v8, 2, v8
	ds_bpermute_b32 v9, v8, v4
	s_waitcnt lgkmcnt(1)
	v_add_f32_e32 v7, v1, v7
	ds_bpermute_b32 v8, v8, v7
	s_waitcnt lgkmcnt(1)
	v_max_f32_e32 v9, v9, v9
	v_max_f32_e32 v4, v4, v9
	v_xor_b32_e32 v9, 4, v5
	v_cmp_lt_i32_e32 vcc, v9, v6
	v_cndmask_b32_e32 v9, v5, v9, vcc
	v_lshlrev_b32_e32 v9, 2, v9
	ds_bpermute_b32 v10, v9, v4
	s_waitcnt lgkmcnt(1)
	v_add_f32_e32 v7, v7, v8
	ds_bpermute_b32 v8, v9, v7
	;; [unrolled: 11-line block ×3, first 2 shown]
	s_waitcnt lgkmcnt(1)
	v_max_f32_e32 v9, v11, v11
	v_max_f32_e32 v4, v4, v9
	v_xor_b32_e32 v9, 1, v5
	v_cmp_lt_i32_e32 vcc, v9, v6
	v_cndmask_b32_e32 v5, v5, v9, vcc
	v_lshlrev_b32_e32 v5, 2, v5
	ds_bpermute_b32 v6, v5, v4
	s_waitcnt lgkmcnt(0)
	v_max_f32_e32 v6, v6, v6
	v_max_f32_e32 v9, v4, v6
	v_div_scale_f32 v6, s[4:5], s6, s6, v9
	v_rcp_f32_e32 v10, v6
	v_add_f32_e32 v4, v7, v8
	ds_bpermute_b32 v5, v5, v4
	v_fma_f32 v7, -v6, v10, 1.0
	v_fmac_f32_e32 v10, v7, v10
	v_div_scale_f32 v7, vcc, v9, s6, v9
	v_mul_f32_e32 v8, v7, v10
	v_fma_f32 v11, -v6, v8, v7
	v_fmac_f32_e32 v8, v11, v10
	v_fma_f32 v6, -v6, v8, v7
	v_div_fmas_f32 v6, v6, v10, v8
	v_div_fixup_f32 v6, v6, s6, v9
	v_cmp_neq_f32_e32 vcc, 0, v9
	s_and_saveexec_b64 s[4:5], vcc
	s_cbranch_execz .LBB97_5
; %bb.4:
	v_div_scale_f32 v3, s[6:7], v6, v6, v1
	v_rcp_f32_e32 v7, v3
	v_div_scale_f32 v8, vcc, v1, v6, v1
	v_fma_f32 v9, -v3, v7, 1.0
	v_fmac_f32_e32 v7, v9, v7
	v_mul_f32_e32 v9, v8, v7
	v_fma_f32 v10, -v3, v9, v8
	v_fmac_f32_e32 v9, v10, v7
	v_fma_f32 v3, -v3, v9, v8
	v_div_fmas_f32 v3, v3, v7, v9
	v_div_fixup_f32 v1, v3, v6, v1
	v_trunc_f32_e32 v3, v1
	v_sub_f32_e32 v7, v1, v3
	v_cmp_ge_f32_e64 s[6:7], |v7|, 0.5
	v_cndmask_b32_e64 v7, 0, 1.0, s[6:7]
	v_bfi_b32 v1, s0, v7, v1
	v_add_f32_e32 v1, v3, v1
	v_cvt_i32_f32_e32 v3, v1
.LBB97_5:
	s_or_b64 exec, exec, s[4:5]
	v_mad_u64_u32 v[0:1], s[0:1], v0, s1, v[2:3]
	v_ashrrev_i32_e32 v1, 31, v0
	v_lshrrev_b32_e32 v1, 27, v1
	v_add_u32_e32 v1, v0, v1
	v_ashrrev_i32_e32 v2, 5, v1
	v_and_b32_e32 v1, 0xffffffe0, v1
	v_sub_u32_e32 v7, v0, v1
	v_mad_i64_i32 v[0:1], s[0:1], v2, 36, s[2:3]
	v_ashrrev_i32_e32 v2, 31, v7
	v_add_co_u32_e32 v8, vcc, v0, v7
	v_addc_co_u32_e32 v9, vcc, v1, v2, vcc
	v_cmp_gt_i32_e32 vcc, 1, v7
	global_store_byte v[8:9], v3, off offset:4
	s_and_b64 exec, exec, vcc
	s_cbranch_execz .LBB97_7
; %bb.6:
	s_waitcnt lgkmcnt(0)
	v_add_f32_e32 v2, v4, v5
	v_cvt_f16_f32_e32 v2, v2
	v_cvt_f16_f32_e32 v3, v6
	v_pack_b32_f16 v2, v3, v2
	global_store_dword v[0:1], v2, off
.LBB97_7:
	s_endpgm
	.section	.rodata,"a",@progbits
	.p2align	6, 0x0
	.amdhsa_kernel _ZL13quantize_q8_1IN3c108BFloat16EEvPKT_Pvii
		.amdhsa_group_segment_fixed_size 0
		.amdhsa_private_segment_fixed_size 0
		.amdhsa_kernarg_size 280
		.amdhsa_user_sgpr_count 6
		.amdhsa_user_sgpr_private_segment_buffer 1
		.amdhsa_user_sgpr_dispatch_ptr 0
		.amdhsa_user_sgpr_queue_ptr 0
		.amdhsa_user_sgpr_kernarg_segment_ptr 1
		.amdhsa_user_sgpr_dispatch_id 0
		.amdhsa_user_sgpr_flat_scratch_init 0
		.amdhsa_user_sgpr_kernarg_preload_length 0
		.amdhsa_user_sgpr_kernarg_preload_offset 0
		.amdhsa_user_sgpr_private_segment_size 0
		.amdhsa_uses_dynamic_stack 0
		.amdhsa_system_sgpr_private_segment_wavefront_offset 0
		.amdhsa_system_sgpr_workgroup_id_x 1
		.amdhsa_system_sgpr_workgroup_id_y 1
		.amdhsa_system_sgpr_workgroup_id_z 0
		.amdhsa_system_sgpr_workgroup_info 0
		.amdhsa_system_vgpr_workitem_id 1
		.amdhsa_next_free_vgpr 12
		.amdhsa_next_free_sgpr 10
		.amdhsa_accum_offset 12
		.amdhsa_reserve_vcc 1
		.amdhsa_reserve_flat_scratch 0
		.amdhsa_float_round_mode_32 0
		.amdhsa_float_round_mode_16_64 0
		.amdhsa_float_denorm_mode_32 3
		.amdhsa_float_denorm_mode_16_64 3
		.amdhsa_dx10_clamp 1
		.amdhsa_ieee_mode 1
		.amdhsa_fp16_overflow 0
		.amdhsa_tg_split 0
		.amdhsa_exception_fp_ieee_invalid_op 0
		.amdhsa_exception_fp_denorm_src 0
		.amdhsa_exception_fp_ieee_div_zero 0
		.amdhsa_exception_fp_ieee_overflow 0
		.amdhsa_exception_fp_ieee_underflow 0
		.amdhsa_exception_fp_ieee_inexact 0
		.amdhsa_exception_int_div_zero 0
	.end_amdhsa_kernel
	.section	.text._ZL13quantize_q8_1IN3c108BFloat16EEvPKT_Pvii,"axG",@progbits,_ZL13quantize_q8_1IN3c108BFloat16EEvPKT_Pvii,comdat
.Lfunc_end97:
	.size	_ZL13quantize_q8_1IN3c108BFloat16EEvPKT_Pvii, .Lfunc_end97-_ZL13quantize_q8_1IN3c108BFloat16EEvPKT_Pvii
                                        ; -- End function
	.section	.AMDGPU.csdata,"",@progbits
; Kernel info:
; codeLenInByte = 804
; NumSgprs: 14
; NumVgprs: 12
; NumAgprs: 0
; TotalNumVgprs: 12
; ScratchSize: 0
; MemoryBound: 0
; FloatMode: 240
; IeeeMode: 1
; LDSByteSize: 0 bytes/workgroup (compile time only)
; SGPRBlocks: 1
; VGPRBlocks: 1
; NumSGPRsForWavesPerEU: 14
; NumVGPRsForWavesPerEU: 12
; AccumOffset: 12
; Occupancy: 8
; WaveLimiterHint : 0
; COMPUTE_PGM_RSRC2:SCRATCH_EN: 0
; COMPUTE_PGM_RSRC2:USER_SGPR: 6
; COMPUTE_PGM_RSRC2:TRAP_HANDLER: 0
; COMPUTE_PGM_RSRC2:TGID_X_EN: 1
; COMPUTE_PGM_RSRC2:TGID_Y_EN: 1
; COMPUTE_PGM_RSRC2:TGID_Z_EN: 0
; COMPUTE_PGM_RSRC2:TIDIG_COMP_CNT: 1
; COMPUTE_PGM_RSRC3_GFX90A:ACCUM_OFFSET: 2
; COMPUTE_PGM_RSRC3_GFX90A:TG_SPLIT: 0
	.section	.text._ZL13mul_mat_vec_qIN3c108BFloat16ELi32ELi4E10block_q4_0Li2EXadL_ZL17vec_dot_q4_0_q8_1PKvPK10block_q8_1RKiEEEvS4_S4_PT_iii,"axG",@progbits,_ZL13mul_mat_vec_qIN3c108BFloat16ELi32ELi4E10block_q4_0Li2EXadL_ZL17vec_dot_q4_0_q8_1PKvPK10block_q8_1RKiEEEvS4_S4_PT_iii,comdat
	.globl	_ZL13mul_mat_vec_qIN3c108BFloat16ELi32ELi4E10block_q4_0Li2EXadL_ZL17vec_dot_q4_0_q8_1PKvPK10block_q8_1RKiEEEvS4_S4_PT_iii ; -- Begin function _ZL13mul_mat_vec_qIN3c108BFloat16ELi32ELi4E10block_q4_0Li2EXadL_ZL17vec_dot_q4_0_q8_1PKvPK10block_q8_1RKiEEEvS4_S4_PT_iii
	.p2align	8
	.type	_ZL13mul_mat_vec_qIN3c108BFloat16ELi32ELi4E10block_q4_0Li2EXadL_ZL17vec_dot_q4_0_q8_1PKvPK10block_q8_1RKiEEEvS4_S4_PT_iii,@function
_ZL13mul_mat_vec_qIN3c108BFloat16ELi32ELi4E10block_q4_0Li2EXadL_ZL17vec_dot_q4_0_q8_1PKvPK10block_q8_1RKiEEEvS4_S4_PT_iii: ; @_ZL13mul_mat_vec_qIN3c108BFloat16ELi32ELi4E10block_q4_0Li2EXadL_ZL17vec_dot_q4_0_q8_1PKvPK10block_q8_1RKiEEEvS4_S4_PT_iii
; %bb.0:
	s_load_dword s8, s[4:5], 0x34
	s_load_dwordx4 s[0:3], s[4:5], 0x18
	v_bfe_u32 v1, v0, 10, 10
	s_waitcnt lgkmcnt(0)
	s_lshr_b32 s3, s8, 16
	s_mul_i32 s6, s6, s3
	v_add_u32_e32 v1, s6, v1
	s_cmp_lt_u32 s7, s2
	v_cmp_gt_u32_e32 vcc, s1, v1
	s_cselect_b64 s[2:3], -1, 0
	s_and_b64 s[2:3], s[2:3], vcc
	s_and_saveexec_b64 s[8:9], s[2:3]
	s_cbranch_execz .LBB98_7
; %bb.1:
	s_load_dwordx2 s[2:3], s[4:5], 0x10
	s_ashr_i32 s6, s0, 31
	s_lshr_b32 s6, s6, 27
	s_add_i32 s6, s0, s6
	v_and_b32_e32 v4, 0x3ff, v0
	s_ashr_i32 s6, s6, 5
	v_lshrrev_b32_e32 v6, 1, v4
	v_cmp_gt_u32_e32 vcc, s6, v6
	v_mov_b32_e32 v5, 0
	s_and_saveexec_b64 s[12:13], vcc
	s_cbranch_execz .LBB98_5
; %bb.2:
	s_addk_i32 s0, 0x1ff
	s_load_dwordx4 s[8:11], s[4:5], 0x0
	s_ashr_i32 s4, s0, 31
	s_lshr_b32 s4, s4, 23
	s_add_i32 s0, s0, s4
	s_ashr_i32 s0, s0, 9
	s_mul_i32 s0, s7, s0
	v_lshlrev_b32_e32 v0, 3, v4
	v_mul_lo_u32 v7, v1, s6
	s_lshl_b32 s0, s0, 4
	v_and_b32_e32 v0, 8, v0
	v_mov_b32_e32 v5, 0
	s_mov_b64 s[4:5], 0
	v_mov_b32_e32 v3, 4.0
.LBB98_3:                               ; =>This Inner Loop Header: Depth=1
	v_add_u32_e32 v2, v7, v6
	s_waitcnt lgkmcnt(0)
	v_mad_i64_i32 v[8:9], s[14:15], v2, 18, s[8:9]
	v_add_u32_e32 v10, s0, v6
	v_add_co_u32_e32 v12, vcc, v8, v0
	v_mad_i64_i32 v[10:11], s[14:15], v10, 36, s[10:11]
	v_addc_co_u32_e32 v13, vcc, 0, v9, vcc
	v_add_co_u32_e32 v14, vcc, v10, v0
	v_addc_co_u32_e32 v15, vcc, 0, v11, vcc
	global_load_dwordx2 v[16:17], v[14:15], off offset:4
	global_load_dwordx2 v[18:19], v[14:15], off offset:20
	global_load_dword v2, v[12:13], off offset:2
	global_load_dword v20, v[12:13], off offset:6
	global_load_dword v21, v[10:11], off
	global_load_ushort v22, v[8:9], off
	v_mov_b32_e32 v10, 0
	v_add_u32_e32 v6, 32, v6
	v_cmp_le_u32_e32 vcc, s6, v6
	s_or_b64 s[4:5], vcc, s[4:5]
	s_waitcnt vmcnt(3)
	v_and_b32_e32 v11, 0xf0f0f0f, v2
	v_lshrrev_b32_e32 v2, 4, v2
	v_and_b32_e32 v2, 0xf0f0f0f, v2
	v_dot4c_i32_i8_e32 v10, v11, v16
	s_waitcnt vmcnt(2)
	v_and_b32_e32 v12, 0xf0f0f0f, v20
	v_lshrrev_b32_e32 v13, 4, v20
	v_dot4c_i32_i8_e32 v10, v2, v18
	v_and_b32_e32 v11, 0xf0f0f0f, v13
	v_dot4c_i32_i8_e32 v10, v12, v17
	v_dot4c_i32_i8_e32 v10, v11, v19
	s_waitcnt vmcnt(1)
	v_cvt_f32_f16_e32 v8, v21
	v_cvt_f32_f16_sdwa v9, v21 dst_sel:DWORD dst_unused:UNUSED_PAD src0_sel:WORD_1
	v_cvt_f32_i32_e32 v2, v10
	v_pk_mul_f32 v[8:9], v[2:3], v[8:9]
	v_sub_f32_e32 v2, v8, v9
	s_waitcnt vmcnt(0)
	v_fma_mix_f32 v5, v2, v22, v5 op_sel_hi:[0,1,0]
	s_andn2_b64 exec, exec, s[4:5]
	s_cbranch_execnz .LBB98_3
; %bb.4:
	s_or_b64 exec, exec, s[4:5]
.LBB98_5:
	s_or_b64 exec, exec, s[12:13]
	v_mbcnt_lo_u32_b32 v0, -1, 0
	v_mbcnt_hi_u32_b32 v2, -1, v0
	v_and_b32_e32 v0, 64, v2
	v_add_u32_e32 v3, 64, v0
	v_xor_b32_e32 v0, 32, v2
	v_cmp_lt_i32_e32 vcc, v0, v3
	v_cndmask_b32_e32 v0, v2, v0, vcc
	v_lshlrev_b32_e32 v0, 2, v0
	ds_bpermute_b32 v0, v0, v5
	v_xor_b32_e32 v6, 16, v2
	v_cmp_lt_i32_e32 vcc, v6, v3
	s_waitcnt lgkmcnt(0)
	v_add_f32_e32 v0, v5, v0
	v_cndmask_b32_e32 v5, v2, v6, vcc
	v_lshlrev_b32_e32 v5, 2, v5
	ds_bpermute_b32 v5, v5, v0
	v_xor_b32_e32 v6, 8, v2
	v_cmp_lt_i32_e32 vcc, v6, v3
	s_waitcnt lgkmcnt(0)
	v_add_f32_e32 v0, v0, v5
	;; [unrolled: 7-line block ×4, first 2 shown]
	v_cndmask_b32_e32 v5, v2, v6, vcc
	v_lshlrev_b32_e32 v5, 2, v5
	ds_bpermute_b32 v5, v5, v0
	v_xor_b32_e32 v6, 1, v2
	v_cmp_lt_i32_e32 vcc, v6, v3
	v_cndmask_b32_e32 v2, v2, v6, vcc
	v_lshlrev_b32_e32 v2, 2, v2
	s_waitcnt lgkmcnt(0)
	v_add_f32_e32 v0, v0, v5
	ds_bpermute_b32 v2, v2, v0
	v_cmp_eq_u32_e32 vcc, 0, v4
	s_and_b64 exec, exec, vcc
	s_cbranch_execz .LBB98_7
; %bb.6:
	s_waitcnt lgkmcnt(0)
	v_add_f32_e32 v0, v0, v2
	v_bfe_u32 v2, v0, 16, 1
	s_movk_i32 s0, 0x7fff
	s_mul_i32 s7, s7, s1
	v_add3_u32 v2, v0, v2, s0
	v_cmp_o_f32_e32 vcc, v0, v0
	v_add_u32_e32 v0, s7, v1
	v_mov_b32_e32 v1, 0
	v_lshrrev_b32_e32 v2, 16, v2
	v_mov_b32_e32 v3, 0x7fc0
	v_lshlrev_b64 v[0:1], 1, v[0:1]
	v_cndmask_b32_e32 v2, v3, v2, vcc
	v_mov_b32_e32 v3, s3
	v_add_co_u32_e32 v0, vcc, s2, v0
	v_addc_co_u32_e32 v1, vcc, v3, v1, vcc
	global_store_short v[0:1], v2, off
.LBB98_7:
	s_endpgm
	.section	.rodata,"a",@progbits
	.p2align	6, 0x0
	.amdhsa_kernel _ZL13mul_mat_vec_qIN3c108BFloat16ELi32ELi4E10block_q4_0Li2EXadL_ZL17vec_dot_q4_0_q8_1PKvPK10block_q8_1RKiEEEvS4_S4_PT_iii
		.amdhsa_group_segment_fixed_size 0
		.amdhsa_private_segment_fixed_size 0
		.amdhsa_kernarg_size 296
		.amdhsa_user_sgpr_count 6
		.amdhsa_user_sgpr_private_segment_buffer 1
		.amdhsa_user_sgpr_dispatch_ptr 0
		.amdhsa_user_sgpr_queue_ptr 0
		.amdhsa_user_sgpr_kernarg_segment_ptr 1
		.amdhsa_user_sgpr_dispatch_id 0
		.amdhsa_user_sgpr_flat_scratch_init 0
		.amdhsa_user_sgpr_kernarg_preload_length 0
		.amdhsa_user_sgpr_kernarg_preload_offset 0
		.amdhsa_user_sgpr_private_segment_size 0
		.amdhsa_uses_dynamic_stack 0
		.amdhsa_system_sgpr_private_segment_wavefront_offset 0
		.amdhsa_system_sgpr_workgroup_id_x 1
		.amdhsa_system_sgpr_workgroup_id_y 1
		.amdhsa_system_sgpr_workgroup_id_z 0
		.amdhsa_system_sgpr_workgroup_info 0
		.amdhsa_system_vgpr_workitem_id 1
		.amdhsa_next_free_vgpr 23
		.amdhsa_next_free_sgpr 16
		.amdhsa_accum_offset 24
		.amdhsa_reserve_vcc 1
		.amdhsa_reserve_flat_scratch 0
		.amdhsa_float_round_mode_32 0
		.amdhsa_float_round_mode_16_64 0
		.amdhsa_float_denorm_mode_32 3
		.amdhsa_float_denorm_mode_16_64 3
		.amdhsa_dx10_clamp 1
		.amdhsa_ieee_mode 1
		.amdhsa_fp16_overflow 0
		.amdhsa_tg_split 0
		.amdhsa_exception_fp_ieee_invalid_op 0
		.amdhsa_exception_fp_denorm_src 0
		.amdhsa_exception_fp_ieee_div_zero 0
		.amdhsa_exception_fp_ieee_overflow 0
		.amdhsa_exception_fp_ieee_underflow 0
		.amdhsa_exception_fp_ieee_inexact 0
		.amdhsa_exception_int_div_zero 0
	.end_amdhsa_kernel
	.section	.text._ZL13mul_mat_vec_qIN3c108BFloat16ELi32ELi4E10block_q4_0Li2EXadL_ZL17vec_dot_q4_0_q8_1PKvPK10block_q8_1RKiEEEvS4_S4_PT_iii,"axG",@progbits,_ZL13mul_mat_vec_qIN3c108BFloat16ELi32ELi4E10block_q4_0Li2EXadL_ZL17vec_dot_q4_0_q8_1PKvPK10block_q8_1RKiEEEvS4_S4_PT_iii,comdat
.Lfunc_end98:
	.size	_ZL13mul_mat_vec_qIN3c108BFloat16ELi32ELi4E10block_q4_0Li2EXadL_ZL17vec_dot_q4_0_q8_1PKvPK10block_q8_1RKiEEEvS4_S4_PT_iii, .Lfunc_end98-_ZL13mul_mat_vec_qIN3c108BFloat16ELi32ELi4E10block_q4_0Li2EXadL_ZL17vec_dot_q4_0_q8_1PKvPK10block_q8_1RKiEEEvS4_S4_PT_iii
                                        ; -- End function
	.section	.AMDGPU.csdata,"",@progbits
; Kernel info:
; codeLenInByte = 724
; NumSgprs: 20
; NumVgprs: 23
; NumAgprs: 0
; TotalNumVgprs: 23
; ScratchSize: 0
; MemoryBound: 0
; FloatMode: 240
; IeeeMode: 1
; LDSByteSize: 0 bytes/workgroup (compile time only)
; SGPRBlocks: 2
; VGPRBlocks: 2
; NumSGPRsForWavesPerEU: 20
; NumVGPRsForWavesPerEU: 23
; AccumOffset: 24
; Occupancy: 8
; WaveLimiterHint : 0
; COMPUTE_PGM_RSRC2:SCRATCH_EN: 0
; COMPUTE_PGM_RSRC2:USER_SGPR: 6
; COMPUTE_PGM_RSRC2:TRAP_HANDLER: 0
; COMPUTE_PGM_RSRC2:TGID_X_EN: 1
; COMPUTE_PGM_RSRC2:TGID_Y_EN: 1
; COMPUTE_PGM_RSRC2:TGID_Z_EN: 0
; COMPUTE_PGM_RSRC2:TIDIG_COMP_CNT: 1
; COMPUTE_PGM_RSRC3_GFX90A:ACCUM_OFFSET: 5
; COMPUTE_PGM_RSRC3_GFX90A:TG_SPLIT: 0
	.section	.text._ZL13mul_mat_vec_qIN3c108BFloat16ELi32ELi4E10block_q4_1Li2EXadL_ZL17vec_dot_q4_1_q8_1PKvPK10block_q8_1RKiEEEvS4_S4_PT_iii,"axG",@progbits,_ZL13mul_mat_vec_qIN3c108BFloat16ELi32ELi4E10block_q4_1Li2EXadL_ZL17vec_dot_q4_1_q8_1PKvPK10block_q8_1RKiEEEvS4_S4_PT_iii,comdat
	.globl	_ZL13mul_mat_vec_qIN3c108BFloat16ELi32ELi4E10block_q4_1Li2EXadL_ZL17vec_dot_q4_1_q8_1PKvPK10block_q8_1RKiEEEvS4_S4_PT_iii ; -- Begin function _ZL13mul_mat_vec_qIN3c108BFloat16ELi32ELi4E10block_q4_1Li2EXadL_ZL17vec_dot_q4_1_q8_1PKvPK10block_q8_1RKiEEEvS4_S4_PT_iii
	.p2align	8
	.type	_ZL13mul_mat_vec_qIN3c108BFloat16ELi32ELi4E10block_q4_1Li2EXadL_ZL17vec_dot_q4_1_q8_1PKvPK10block_q8_1RKiEEEvS4_S4_PT_iii,@function
_ZL13mul_mat_vec_qIN3c108BFloat16ELi32ELi4E10block_q4_1Li2EXadL_ZL17vec_dot_q4_1_q8_1PKvPK10block_q8_1RKiEEEvS4_S4_PT_iii: ; @_ZL13mul_mat_vec_qIN3c108BFloat16ELi32ELi4E10block_q4_1Li2EXadL_ZL17vec_dot_q4_1_q8_1PKvPK10block_q8_1RKiEEEvS4_S4_PT_iii
; %bb.0:
	s_load_dword s8, s[4:5], 0x34
	s_load_dwordx4 s[0:3], s[4:5], 0x18
	v_bfe_u32 v1, v0, 10, 10
	s_waitcnt lgkmcnt(0)
	s_lshr_b32 s3, s8, 16
	s_mul_i32 s6, s6, s3
	v_add_u32_e32 v1, s6, v1
	s_cmp_lt_u32 s7, s2
	v_cmp_gt_u32_e32 vcc, s1, v1
	s_cselect_b64 s[2:3], -1, 0
	s_and_b64 s[2:3], s[2:3], vcc
	s_and_saveexec_b64 s[8:9], s[2:3]
	s_cbranch_execz .LBB99_7
; %bb.1:
	s_load_dwordx2 s[2:3], s[4:5], 0x10
	s_ashr_i32 s6, s0, 31
	s_lshr_b32 s6, s6, 27
	s_add_i32 s6, s0, s6
	v_and_b32_e32 v2, 0x3ff, v0
	s_ashr_i32 s6, s6, 5
	v_lshrrev_b32_e32 v4, 1, v2
	v_cmp_gt_u32_e32 vcc, s6, v4
	v_mov_b32_e32 v3, 0
	s_and_saveexec_b64 s[12:13], vcc
	s_cbranch_execz .LBB99_5
; %bb.2:
	s_addk_i32 s0, 0x1ff
	s_load_dwordx4 s[8:11], s[4:5], 0x0
	s_ashr_i32 s4, s0, 31
	s_lshr_b32 s4, s4, 23
	s_add_i32 s0, s0, s4
	s_ashr_i32 s0, s0, 9
	s_mul_i32 s0, s7, s0
	v_lshlrev_b32_e32 v0, 3, v2
	v_mul_lo_u32 v5, v1, s6
	s_lshl_b32 s0, s0, 4
	v_and_b32_e32 v0, 8, v0
	v_mov_b32_e32 v3, 0
	s_mov_b64 s[4:5], 0
	s_mov_b32 s14, 0.5
.LBB99_3:                               ; =>This Inner Loop Header: Depth=1
	v_add_u32_e32 v6, v5, v4
	s_waitcnt lgkmcnt(0)
	v_mad_i64_i32 v[6:7], s[16:17], v6, 20, s[8:9]
	v_add_u32_e32 v8, s0, v4
	v_add_co_u32_e32 v10, vcc, v6, v0
	v_mad_i64_i32 v[8:9], s[16:17], v8, 36, s[10:11]
	v_addc_co_u32_e32 v11, vcc, 0, v7, vcc
	v_add_co_u32_e32 v12, vcc, v8, v0
	v_addc_co_u32_e32 v13, vcc, 0, v9, vcc
	global_load_dword v20, v[6:7], off
	global_load_dwordx2 v[14:15], v[10:11], off offset:4
	global_load_dwordx2 v[16:17], v[12:13], off offset:4
	;; [unrolled: 1-line block ×3, first 2 shown]
	global_load_dword v21, v[8:9], off
	v_mov_b32_e32 v6, 0
	v_add_u32_e32 v4, 32, v4
	v_cmp_le_u32_e32 vcc, s6, v4
	s_or_b64 s[4:5], vcc, s[4:5]
	s_waitcnt vmcnt(3)
	v_and_b32_e32 v8, 0xf0f0f0f, v14
	v_lshrrev_b32_e32 v9, 4, v14
	v_and_b32_e32 v9, 0xf0f0f0f, v9
	s_waitcnt vmcnt(2)
	v_dot4c_i32_i8_e32 v6, v8, v16
	v_and_b32_e32 v10, 0xf0f0f0f, v15
	v_lshrrev_b32_e32 v11, 4, v15
	s_waitcnt vmcnt(1)
	v_dot4c_i32_i8_e32 v6, v9, v18
	v_and_b32_e32 v8, 0xf0f0f0f, v11
	v_dot4c_i32_i8_e32 v6, v10, v17
	s_waitcnt vmcnt(0)
	v_pk_mul_f16 v7, v20, v21
	v_dot4c_i32_i8_e32 v6, v8, v19
	v_cvt_f32_f16_e32 v12, v7
	s_nop 1
	v_cvt_f32_i32_e32 v6, v6
	v_mul_f32_e32 v6, v6, v12
	v_fma_mix_f32 v6, v7, s14, v6 op_sel:[1,0,0] op_sel_hi:[1,0,0]
	v_add_f32_e32 v3, v3, v6
	s_andn2_b64 exec, exec, s[4:5]
	s_cbranch_execnz .LBB99_3
; %bb.4:
	s_or_b64 exec, exec, s[4:5]
.LBB99_5:
	s_or_b64 exec, exec, s[12:13]
	v_mbcnt_lo_u32_b32 v0, -1, 0
	v_mbcnt_hi_u32_b32 v4, -1, v0
	v_and_b32_e32 v0, 64, v4
	v_add_u32_e32 v5, 64, v0
	v_xor_b32_e32 v0, 32, v4
	v_cmp_lt_i32_e32 vcc, v0, v5
	v_cndmask_b32_e32 v0, v4, v0, vcc
	v_lshlrev_b32_e32 v0, 2, v0
	ds_bpermute_b32 v0, v0, v3
	v_xor_b32_e32 v6, 16, v4
	v_cmp_lt_i32_e32 vcc, v6, v5
	s_waitcnt lgkmcnt(0)
	v_add_f32_e32 v0, v3, v0
	v_cndmask_b32_e32 v3, v4, v6, vcc
	v_lshlrev_b32_e32 v3, 2, v3
	ds_bpermute_b32 v3, v3, v0
	v_xor_b32_e32 v6, 8, v4
	v_cmp_lt_i32_e32 vcc, v6, v5
	s_waitcnt lgkmcnt(0)
	v_add_f32_e32 v0, v0, v3
	;; [unrolled: 7-line block ×5, first 2 shown]
	v_cndmask_b32_e32 v3, v4, v6, vcc
	v_lshlrev_b32_e32 v3, 2, v3
	ds_bpermute_b32 v3, v3, v0
	v_cmp_eq_u32_e32 vcc, 0, v2
	s_and_b64 exec, exec, vcc
	s_cbranch_execz .LBB99_7
; %bb.6:
	s_waitcnt lgkmcnt(0)
	v_add_f32_e32 v0, v0, v3
	v_bfe_u32 v2, v0, 16, 1
	s_movk_i32 s0, 0x7fff
	s_mul_i32 s7, s7, s1
	v_add3_u32 v2, v0, v2, s0
	v_cmp_o_f32_e32 vcc, v0, v0
	v_add_u32_e32 v0, s7, v1
	v_mov_b32_e32 v1, 0
	v_lshrrev_b32_e32 v2, 16, v2
	v_mov_b32_e32 v3, 0x7fc0
	v_lshlrev_b64 v[0:1], 1, v[0:1]
	v_cndmask_b32_e32 v2, v3, v2, vcc
	v_mov_b32_e32 v3, s3
	v_add_co_u32_e32 v0, vcc, s2, v0
	v_addc_co_u32_e32 v1, vcc, v3, v1, vcc
	global_store_short v[0:1], v2, off
.LBB99_7:
	s_endpgm
	.section	.rodata,"a",@progbits
	.p2align	6, 0x0
	.amdhsa_kernel _ZL13mul_mat_vec_qIN3c108BFloat16ELi32ELi4E10block_q4_1Li2EXadL_ZL17vec_dot_q4_1_q8_1PKvPK10block_q8_1RKiEEEvS4_S4_PT_iii
		.amdhsa_group_segment_fixed_size 0
		.amdhsa_private_segment_fixed_size 0
		.amdhsa_kernarg_size 296
		.amdhsa_user_sgpr_count 6
		.amdhsa_user_sgpr_private_segment_buffer 1
		.amdhsa_user_sgpr_dispatch_ptr 0
		.amdhsa_user_sgpr_queue_ptr 0
		.amdhsa_user_sgpr_kernarg_segment_ptr 1
		.amdhsa_user_sgpr_dispatch_id 0
		.amdhsa_user_sgpr_flat_scratch_init 0
		.amdhsa_user_sgpr_kernarg_preload_length 0
		.amdhsa_user_sgpr_kernarg_preload_offset 0
		.amdhsa_user_sgpr_private_segment_size 0
		.amdhsa_uses_dynamic_stack 0
		.amdhsa_system_sgpr_private_segment_wavefront_offset 0
		.amdhsa_system_sgpr_workgroup_id_x 1
		.amdhsa_system_sgpr_workgroup_id_y 1
		.amdhsa_system_sgpr_workgroup_id_z 0
		.amdhsa_system_sgpr_workgroup_info 0
		.amdhsa_system_vgpr_workitem_id 1
		.amdhsa_next_free_vgpr 22
		.amdhsa_next_free_sgpr 18
		.amdhsa_accum_offset 24
		.amdhsa_reserve_vcc 1
		.amdhsa_reserve_flat_scratch 0
		.amdhsa_float_round_mode_32 0
		.amdhsa_float_round_mode_16_64 0
		.amdhsa_float_denorm_mode_32 3
		.amdhsa_float_denorm_mode_16_64 3
		.amdhsa_dx10_clamp 1
		.amdhsa_ieee_mode 1
		.amdhsa_fp16_overflow 0
		.amdhsa_tg_split 0
		.amdhsa_exception_fp_ieee_invalid_op 0
		.amdhsa_exception_fp_denorm_src 0
		.amdhsa_exception_fp_ieee_div_zero 0
		.amdhsa_exception_fp_ieee_overflow 0
		.amdhsa_exception_fp_ieee_underflow 0
		.amdhsa_exception_fp_ieee_inexact 0
		.amdhsa_exception_int_div_zero 0
	.end_amdhsa_kernel
	.section	.text._ZL13mul_mat_vec_qIN3c108BFloat16ELi32ELi4E10block_q4_1Li2EXadL_ZL17vec_dot_q4_1_q8_1PKvPK10block_q8_1RKiEEEvS4_S4_PT_iii,"axG",@progbits,_ZL13mul_mat_vec_qIN3c108BFloat16ELi32ELi4E10block_q4_1Li2EXadL_ZL17vec_dot_q4_1_q8_1PKvPK10block_q8_1RKiEEEvS4_S4_PT_iii,comdat
.Lfunc_end99:
	.size	_ZL13mul_mat_vec_qIN3c108BFloat16ELi32ELi4E10block_q4_1Li2EXadL_ZL17vec_dot_q4_1_q8_1PKvPK10block_q8_1RKiEEEvS4_S4_PT_iii, .Lfunc_end99-_ZL13mul_mat_vec_qIN3c108BFloat16ELi32ELi4E10block_q4_1Li2EXadL_ZL17vec_dot_q4_1_q8_1PKvPK10block_q8_1RKiEEEvS4_S4_PT_iii
                                        ; -- End function
	.section	.AMDGPU.csdata,"",@progbits
; Kernel info:
; codeLenInByte = 716
; NumSgprs: 22
; NumVgprs: 22
; NumAgprs: 0
; TotalNumVgprs: 22
; ScratchSize: 0
; MemoryBound: 0
; FloatMode: 240
; IeeeMode: 1
; LDSByteSize: 0 bytes/workgroup (compile time only)
; SGPRBlocks: 2
; VGPRBlocks: 2
; NumSGPRsForWavesPerEU: 22
; NumVGPRsForWavesPerEU: 22
; AccumOffset: 24
; Occupancy: 8
; WaveLimiterHint : 0
; COMPUTE_PGM_RSRC2:SCRATCH_EN: 0
; COMPUTE_PGM_RSRC2:USER_SGPR: 6
; COMPUTE_PGM_RSRC2:TRAP_HANDLER: 0
; COMPUTE_PGM_RSRC2:TGID_X_EN: 1
; COMPUTE_PGM_RSRC2:TGID_Y_EN: 1
; COMPUTE_PGM_RSRC2:TGID_Z_EN: 0
; COMPUTE_PGM_RSRC2:TIDIG_COMP_CNT: 1
; COMPUTE_PGM_RSRC3_GFX90A:ACCUM_OFFSET: 5
; COMPUTE_PGM_RSRC3_GFX90A:TG_SPLIT: 0
	.section	.text._ZL13mul_mat_vec_qIN3c108BFloat16ELi32ELi4E10block_q5_0Li2EXadL_ZL17vec_dot_q5_0_q8_1PKvPK10block_q8_1RKiEEEvS4_S4_PT_iii,"axG",@progbits,_ZL13mul_mat_vec_qIN3c108BFloat16ELi32ELi4E10block_q5_0Li2EXadL_ZL17vec_dot_q5_0_q8_1PKvPK10block_q8_1RKiEEEvS4_S4_PT_iii,comdat
	.globl	_ZL13mul_mat_vec_qIN3c108BFloat16ELi32ELi4E10block_q5_0Li2EXadL_ZL17vec_dot_q5_0_q8_1PKvPK10block_q8_1RKiEEEvS4_S4_PT_iii ; -- Begin function _ZL13mul_mat_vec_qIN3c108BFloat16ELi32ELi4E10block_q5_0Li2EXadL_ZL17vec_dot_q5_0_q8_1PKvPK10block_q8_1RKiEEEvS4_S4_PT_iii
	.p2align	8
	.type	_ZL13mul_mat_vec_qIN3c108BFloat16ELi32ELi4E10block_q5_0Li2EXadL_ZL17vec_dot_q5_0_q8_1PKvPK10block_q8_1RKiEEEvS4_S4_PT_iii,@function
_ZL13mul_mat_vec_qIN3c108BFloat16ELi32ELi4E10block_q5_0Li2EXadL_ZL17vec_dot_q5_0_q8_1PKvPK10block_q8_1RKiEEEvS4_S4_PT_iii: ; @_ZL13mul_mat_vec_qIN3c108BFloat16ELi32ELi4E10block_q5_0Li2EXadL_ZL17vec_dot_q5_0_q8_1PKvPK10block_q8_1RKiEEEvS4_S4_PT_iii
; %bb.0:
	s_load_dword s8, s[4:5], 0x34
	s_load_dwordx4 s[0:3], s[4:5], 0x18
	v_bfe_u32 v1, v0, 10, 10
	s_waitcnt lgkmcnt(0)
	s_lshr_b32 s3, s8, 16
	s_mul_i32 s6, s6, s3
	v_add_u32_e32 v1, s6, v1
	s_cmp_lt_u32 s7, s2
	v_cmp_gt_u32_e32 vcc, s1, v1
	s_cselect_b64 s[2:3], -1, 0
	s_and_b64 s[2:3], s[2:3], vcc
	s_and_saveexec_b64 s[8:9], s[2:3]
	s_cbranch_execz .LBB100_7
; %bb.1:
	s_load_dwordx2 s[2:3], s[4:5], 0x10
	s_ashr_i32 s6, s0, 31
	s_lshr_b32 s6, s6, 27
	s_add_i32 s6, s0, s6
	v_and_b32_e32 v4, 0x3ff, v0
	s_ashr_i32 s6, s6, 5
	v_lshrrev_b32_e32 v6, 1, v4
	v_cmp_gt_u32_e32 vcc, s6, v6
	v_mov_b32_e32 v5, 0
	s_and_saveexec_b64 s[12:13], vcc
	s_cbranch_execz .LBB100_5
; %bb.2:
	s_addk_i32 s0, 0x1ff
	s_load_dwordx4 s[8:11], s[4:5], 0x0
	s_ashr_i32 s4, s0, 31
	s_lshr_b32 s4, s4, 23
	s_add_i32 s0, s0, s4
	s_ashr_i32 s0, s0, 9
	v_lshlrev_b32_e32 v0, 3, v4
	s_mul_i32 s0, s7, s0
	v_and_b32_e32 v0, 8, v0
	v_mul_lo_u32 v7, v1, s6
	s_lshl_b32 s0, s0, 4
	v_mov_b32_e32 v5, 0
	v_or_b32_e32 v8, 4, v0
	s_mov_b64 s[4:5], 0
	s_mov_b32 s14, 0x1000706
	v_mov_b32_e32 v3, 0x41000000
.LBB100_3:                              ; =>This Inner Loop Header: Depth=1
	v_add_u32_e32 v2, v7, v6
	v_add_u32_e32 v9, s0, v6
	s_waitcnt lgkmcnt(0)
	v_mad_i64_i32 v[10:11], s[16:17], v2, 22, s[8:9]
	v_mad_i64_i32 v[12:13], s[16:17], v9, 36, s[10:11]
	global_load_dword v9, v[10:11], off
	global_load_ushort v2, v[10:11], off offset:4
	v_add_co_u32_e32 v10, vcc, v10, v0
	v_addc_co_u32_e32 v11, vcc, 0, v11, vcc
	v_add_co_u32_e32 v14, vcc, v12, v0
	v_addc_co_u32_e32 v15, vcc, 0, v13, vcc
	global_load_dwordx2 v[16:17], v[14:15], off offset:4
	global_load_dwordx2 v[18:19], v[14:15], off offset:20
	global_load_dword v20, v[10:11], off offset:6
	global_load_dword v21, v[10:11], off offset:10
	global_load_dword v22, v[12:13], off
	v_mov_b32_e32 v12, 0
	v_add_u32_e32 v6, 32, v6
	v_cmp_le_u32_e32 vcc, s6, v6
	s_or_b64 s[4:5], vcc, s[4:5]
	s_waitcnt vmcnt(5)
	v_perm_b32 v2, v9, v2, s14
	v_ashrrev_i32_e32 v13, v0, v2
	v_lshlrev_b32_e32 v23, 11, v13
	v_ashrrev_i32_e32 v2, v8, v2
	v_lshlrev_b32_e32 v24, 18, v13
	v_lshlrev_b32_e32 v25, 25, v13
	v_lshrrev_b32_e32 v26, 12, v13
	s_waitcnt vmcnt(2)
	v_and_b32_e32 v14, 0xf0f0f0f, v20
	v_lshrrev_b32_e32 v27, 5, v13
	s_waitcnt vmcnt(0)
	v_cvt_f32_f16_e32 v10, v22
	v_cvt_f32_f16_sdwa v11, v22 dst_sel:DWORD dst_unused:UNUSED_PAD src0_sel:WORD_1
	v_lshlrev_b32_e32 v22, 4, v13
	v_lshlrev_b32_e32 v28, 2, v13
	v_and_b32_e32 v22, 16, v22
	v_and_b32_e32 v23, 0x1000, v23
	v_lshrrev_b32_e32 v15, 4, v20
	v_lshlrev_b32_e32 v13, 9, v13
	v_lshlrev_b32_e32 v29, 4, v2
	;; [unrolled: 1-line block ×4, first 2 shown]
	v_and_b32_e32 v24, 0x100000, v24
	v_and_b32_e32 v25, 0x10000000, v25
	;; [unrolled: 1-line block ×5, first 2 shown]
	v_or3_b32 v14, v22, v14, v23
	v_and_b32_e32 v15, 0xf0f0f0f, v15
	v_lshlrev_b32_e32 v32, 25, v2
	v_lshrrev_b32_e32 v33, 12, v2
	v_lshrrev_b32_e32 v34, 5, v2
	v_lshlrev_b32_e32 v35, 2, v2
	v_and_b32_e32 v13, 0x10000000, v13
	v_and_b32_e32 v29, 16, v29
	;; [unrolled: 1-line block ×4, first 2 shown]
	v_or3_b32 v22, v27, v26, v28
	v_or3_b32 v14, v14, v24, v25
	v_and_b32_e32 v20, 0xf0f0f0f, v21
	v_lshrrev_b32_e32 v21, 4, v21
	v_lshlrev_b32_e32 v2, 9, v2
	v_and_b32_e32 v32, 0x10000000, v32
	v_and_b32_e32 v33, 16, v33
	;; [unrolled: 1-line block ×4, first 2 shown]
	v_or3_b32 v23, v30, v29, v31
	v_or3_b32 v13, v22, v13, v15
	v_dot4c_i32_i8_e32 v12, v14, v16
	v_and_b32_e32 v21, 0xf0f0f0f, v21
	v_and_b32_e32 v2, 0x10000000, v2
	v_or3_b32 v26, v34, v33, v35
	v_or3_b32 v15, v23, v32, v20
	v_dot4c_i32_i8_e32 v12, v13, v18
	v_or3_b32 v2, v26, v2, v21
	v_dot4c_i32_i8_e32 v12, v15, v17
	v_dot4c_i32_i8_e32 v12, v2, v19
	s_nop 2
	v_cvt_f32_i32_e32 v2, v12
	v_pk_mul_f32 v[10:11], v[2:3], v[10:11]
	v_sub_f32_e32 v2, v10, v11
	v_fma_mix_f32 v5, v2, v9, v5 op_sel_hi:[0,1,0]
	s_andn2_b64 exec, exec, s[4:5]
	s_cbranch_execnz .LBB100_3
; %bb.4:
	s_or_b64 exec, exec, s[4:5]
.LBB100_5:
	s_or_b64 exec, exec, s[12:13]
	v_mbcnt_lo_u32_b32 v0, -1, 0
	v_mbcnt_hi_u32_b32 v2, -1, v0
	v_and_b32_e32 v0, 64, v2
	v_add_u32_e32 v3, 64, v0
	v_xor_b32_e32 v0, 32, v2
	v_cmp_lt_i32_e32 vcc, v0, v3
	v_cndmask_b32_e32 v0, v2, v0, vcc
	v_lshlrev_b32_e32 v0, 2, v0
	ds_bpermute_b32 v0, v0, v5
	v_xor_b32_e32 v6, 16, v2
	v_cmp_lt_i32_e32 vcc, v6, v3
	s_waitcnt lgkmcnt(0)
	v_add_f32_e32 v0, v5, v0
	v_cndmask_b32_e32 v5, v2, v6, vcc
	v_lshlrev_b32_e32 v5, 2, v5
	ds_bpermute_b32 v5, v5, v0
	v_xor_b32_e32 v6, 8, v2
	v_cmp_lt_i32_e32 vcc, v6, v3
	s_waitcnt lgkmcnt(0)
	v_add_f32_e32 v0, v0, v5
	;; [unrolled: 7-line block ×4, first 2 shown]
	v_cndmask_b32_e32 v5, v2, v6, vcc
	v_lshlrev_b32_e32 v5, 2, v5
	ds_bpermute_b32 v5, v5, v0
	v_xor_b32_e32 v6, 1, v2
	v_cmp_lt_i32_e32 vcc, v6, v3
	v_cndmask_b32_e32 v2, v2, v6, vcc
	v_lshlrev_b32_e32 v2, 2, v2
	s_waitcnt lgkmcnt(0)
	v_add_f32_e32 v0, v0, v5
	ds_bpermute_b32 v2, v2, v0
	v_cmp_eq_u32_e32 vcc, 0, v4
	s_and_b64 exec, exec, vcc
	s_cbranch_execz .LBB100_7
; %bb.6:
	s_waitcnt lgkmcnt(0)
	v_add_f32_e32 v0, v0, v2
	v_bfe_u32 v2, v0, 16, 1
	s_movk_i32 s0, 0x7fff
	s_mul_i32 s7, s7, s1
	v_add3_u32 v2, v0, v2, s0
	v_cmp_o_f32_e32 vcc, v0, v0
	v_add_u32_e32 v0, s7, v1
	v_mov_b32_e32 v1, 0
	v_lshrrev_b32_e32 v2, 16, v2
	v_mov_b32_e32 v3, 0x7fc0
	v_lshlrev_b64 v[0:1], 1, v[0:1]
	v_cndmask_b32_e32 v2, v3, v2, vcc
	v_mov_b32_e32 v3, s3
	v_add_co_u32_e32 v0, vcc, s2, v0
	v_addc_co_u32_e32 v1, vcc, v3, v1, vcc
	global_store_short v[0:1], v2, off
.LBB100_7:
	s_endpgm
	.section	.rodata,"a",@progbits
	.p2align	6, 0x0
	.amdhsa_kernel _ZL13mul_mat_vec_qIN3c108BFloat16ELi32ELi4E10block_q5_0Li2EXadL_ZL17vec_dot_q5_0_q8_1PKvPK10block_q8_1RKiEEEvS4_S4_PT_iii
		.amdhsa_group_segment_fixed_size 0
		.amdhsa_private_segment_fixed_size 0
		.amdhsa_kernarg_size 296
		.amdhsa_user_sgpr_count 6
		.amdhsa_user_sgpr_private_segment_buffer 1
		.amdhsa_user_sgpr_dispatch_ptr 0
		.amdhsa_user_sgpr_queue_ptr 0
		.amdhsa_user_sgpr_kernarg_segment_ptr 1
		.amdhsa_user_sgpr_dispatch_id 0
		.amdhsa_user_sgpr_flat_scratch_init 0
		.amdhsa_user_sgpr_kernarg_preload_length 0
		.amdhsa_user_sgpr_kernarg_preload_offset 0
		.amdhsa_user_sgpr_private_segment_size 0
		.amdhsa_uses_dynamic_stack 0
		.amdhsa_system_sgpr_private_segment_wavefront_offset 0
		.amdhsa_system_sgpr_workgroup_id_x 1
		.amdhsa_system_sgpr_workgroup_id_y 1
		.amdhsa_system_sgpr_workgroup_id_z 0
		.amdhsa_system_sgpr_workgroup_info 0
		.amdhsa_system_vgpr_workitem_id 1
		.amdhsa_next_free_vgpr 36
		.amdhsa_next_free_sgpr 18
		.amdhsa_accum_offset 36
		.amdhsa_reserve_vcc 1
		.amdhsa_reserve_flat_scratch 0
		.amdhsa_float_round_mode_32 0
		.amdhsa_float_round_mode_16_64 0
		.amdhsa_float_denorm_mode_32 3
		.amdhsa_float_denorm_mode_16_64 3
		.amdhsa_dx10_clamp 1
		.amdhsa_ieee_mode 1
		.amdhsa_fp16_overflow 0
		.amdhsa_tg_split 0
		.amdhsa_exception_fp_ieee_invalid_op 0
		.amdhsa_exception_fp_denorm_src 0
		.amdhsa_exception_fp_ieee_div_zero 0
		.amdhsa_exception_fp_ieee_overflow 0
		.amdhsa_exception_fp_ieee_underflow 0
		.amdhsa_exception_fp_ieee_inexact 0
		.amdhsa_exception_int_div_zero 0
	.end_amdhsa_kernel
	.section	.text._ZL13mul_mat_vec_qIN3c108BFloat16ELi32ELi4E10block_q5_0Li2EXadL_ZL17vec_dot_q5_0_q8_1PKvPK10block_q8_1RKiEEEvS4_S4_PT_iii,"axG",@progbits,_ZL13mul_mat_vec_qIN3c108BFloat16ELi32ELi4E10block_q5_0Li2EXadL_ZL17vec_dot_q5_0_q8_1PKvPK10block_q8_1RKiEEEvS4_S4_PT_iii,comdat
.Lfunc_end100:
	.size	_ZL13mul_mat_vec_qIN3c108BFloat16ELi32ELi4E10block_q5_0Li2EXadL_ZL17vec_dot_q5_0_q8_1PKvPK10block_q8_1RKiEEEvS4_S4_PT_iii, .Lfunc_end100-_ZL13mul_mat_vec_qIN3c108BFloat16ELi32ELi4E10block_q5_0Li2EXadL_ZL17vec_dot_q5_0_q8_1PKvPK10block_q8_1RKiEEEvS4_S4_PT_iii
                                        ; -- End function
	.section	.AMDGPU.csdata,"",@progbits
; Kernel info:
; codeLenInByte = 1004
; NumSgprs: 22
; NumVgprs: 36
; NumAgprs: 0
; TotalNumVgprs: 36
; ScratchSize: 0
; MemoryBound: 0
; FloatMode: 240
; IeeeMode: 1
; LDSByteSize: 0 bytes/workgroup (compile time only)
; SGPRBlocks: 2
; VGPRBlocks: 4
; NumSGPRsForWavesPerEU: 22
; NumVGPRsForWavesPerEU: 36
; AccumOffset: 36
; Occupancy: 8
; WaveLimiterHint : 0
; COMPUTE_PGM_RSRC2:SCRATCH_EN: 0
; COMPUTE_PGM_RSRC2:USER_SGPR: 6
; COMPUTE_PGM_RSRC2:TRAP_HANDLER: 0
; COMPUTE_PGM_RSRC2:TGID_X_EN: 1
; COMPUTE_PGM_RSRC2:TGID_Y_EN: 1
; COMPUTE_PGM_RSRC2:TGID_Z_EN: 0
; COMPUTE_PGM_RSRC2:TIDIG_COMP_CNT: 1
; COMPUTE_PGM_RSRC3_GFX90A:ACCUM_OFFSET: 8
; COMPUTE_PGM_RSRC3_GFX90A:TG_SPLIT: 0
	.section	.text._ZL13mul_mat_vec_qIN3c108BFloat16ELi32ELi4E10block_q5_1Li2EXadL_ZL17vec_dot_q5_1_q8_1PKvPK10block_q8_1RKiEEEvS4_S4_PT_iii,"axG",@progbits,_ZL13mul_mat_vec_qIN3c108BFloat16ELi32ELi4E10block_q5_1Li2EXadL_ZL17vec_dot_q5_1_q8_1PKvPK10block_q8_1RKiEEEvS4_S4_PT_iii,comdat
	.globl	_ZL13mul_mat_vec_qIN3c108BFloat16ELi32ELi4E10block_q5_1Li2EXadL_ZL17vec_dot_q5_1_q8_1PKvPK10block_q8_1RKiEEEvS4_S4_PT_iii ; -- Begin function _ZL13mul_mat_vec_qIN3c108BFloat16ELi32ELi4E10block_q5_1Li2EXadL_ZL17vec_dot_q5_1_q8_1PKvPK10block_q8_1RKiEEEvS4_S4_PT_iii
	.p2align	8
	.type	_ZL13mul_mat_vec_qIN3c108BFloat16ELi32ELi4E10block_q5_1Li2EXadL_ZL17vec_dot_q5_1_q8_1PKvPK10block_q8_1RKiEEEvS4_S4_PT_iii,@function
_ZL13mul_mat_vec_qIN3c108BFloat16ELi32ELi4E10block_q5_1Li2EXadL_ZL17vec_dot_q5_1_q8_1PKvPK10block_q8_1RKiEEEvS4_S4_PT_iii: ; @_ZL13mul_mat_vec_qIN3c108BFloat16ELi32ELi4E10block_q5_1Li2EXadL_ZL17vec_dot_q5_1_q8_1PKvPK10block_q8_1RKiEEEvS4_S4_PT_iii
; %bb.0:
	s_load_dword s8, s[4:5], 0x34
	s_load_dwordx4 s[0:3], s[4:5], 0x18
	v_bfe_u32 v1, v0, 10, 10
	s_waitcnt lgkmcnt(0)
	s_lshr_b32 s3, s8, 16
	s_mul_i32 s6, s6, s3
	v_add_u32_e32 v1, s6, v1
	s_cmp_lt_u32 s7, s2
	v_cmp_gt_u32_e32 vcc, s1, v1
	s_cselect_b64 s[2:3], -1, 0
	s_and_b64 s[2:3], s[2:3], vcc
	s_and_saveexec_b64 s[8:9], s[2:3]
	s_cbranch_execz .LBB101_7
; %bb.1:
	s_load_dwordx2 s[2:3], s[4:5], 0x10
	s_ashr_i32 s6, s0, 31
	s_lshr_b32 s6, s6, 27
	s_add_i32 s6, s0, s6
	v_and_b32_e32 v2, 0x3ff, v0
	s_ashr_i32 s6, s6, 5
	v_lshrrev_b32_e32 v4, 1, v2
	v_cmp_gt_u32_e32 vcc, s6, v4
	v_mov_b32_e32 v3, 0
	s_and_saveexec_b64 s[12:13], vcc
	s_cbranch_execz .LBB101_5
; %bb.2:
	s_addk_i32 s0, 0x1ff
	s_load_dwordx4 s[8:11], s[4:5], 0x0
	s_ashr_i32 s4, s0, 31
	s_lshr_b32 s4, s4, 23
	s_add_i32 s0, s0, s4
	s_ashr_i32 s0, s0, 9
	v_lshlrev_b32_e32 v0, 3, v2
	s_mul_i32 s0, s7, s0
	v_and_b32_e32 v0, 8, v0
	v_mul_lo_u32 v5, v1, s6
	s_lshl_b32 s0, s0, 4
	v_mov_b32_e32 v3, 0
	v_or_b32_e32 v6, 4, v0
	s_mov_b64 s[4:5], 0
	s_mov_b32 s14, 0.5
.LBB101_3:                              ; =>This Inner Loop Header: Depth=1
	v_add_u32_e32 v7, v5, v4
	s_waitcnt lgkmcnt(0)
	v_mad_i64_i32 v[8:9], s[16:17], v7, 24, s[8:9]
	v_add_u32_e32 v10, s0, v4
	global_load_dwordx2 v[12:13], v[8:9], off
	v_add_co_u32_e32 v8, vcc, v8, v0
	v_mad_i64_i32 v[10:11], s[16:17], v10, 36, s[10:11]
	v_addc_co_u32_e32 v9, vcc, 0, v9, vcc
	v_add_co_u32_e32 v14, vcc, v10, v0
	v_addc_co_u32_e32 v15, vcc, 0, v11, vcc
	global_load_dwordx2 v[16:17], v[8:9], off offset:8
	global_load_dwordx2 v[18:19], v[14:15], off offset:4
	;; [unrolled: 1-line block ×3, first 2 shown]
	global_load_dword v7, v[10:11], off
	v_mov_b32_e32 v8, 0
	v_add_u32_e32 v4, 32, v4
	v_cmp_le_u32_e32 vcc, s6, v4
	s_or_b64 s[4:5], vcc, s[4:5]
	s_waitcnt vmcnt(4)
	v_ashrrev_i32_e32 v9, v0, v13
	v_ashrrev_i32_e32 v10, v6, v13
	v_lshlrev_b32_e32 v13, 11, v9
	v_lshlrev_b32_e32 v14, 18, v9
	;; [unrolled: 1-line block ×3, first 2 shown]
	v_lshrrev_b32_e32 v22, 12, v9
	v_lshrrev_b32_e32 v23, 5, v9
	v_lshlrev_b32_e32 v24, 2, v9
	s_waitcnt vmcnt(3)
	v_and_b32_e32 v11, 0xf0f0f0f, v16
	v_and_b32_e32 v13, 0x1000, v13
	v_lshrrev_b32_e32 v16, 4, v16
	s_waitcnt vmcnt(0)
	v_pk_mul_f16 v7, v12, v7
	v_lshlrev_b32_e32 v12, 4, v9
	v_and_b32_e32 v12, 16, v12
	v_lshlrev_b32_e32 v9, 9, v9
	v_lshlrev_b32_e32 v26, 4, v10
	v_lshlrev_b32_e32 v27, 11, v10
	v_lshlrev_b32_e32 v28, 18, v10
	v_and_b32_e32 v14, 0x100000, v14
	v_and_b32_e32 v15, 0x10000000, v15
	;; [unrolled: 1-line block ×5, first 2 shown]
	v_or3_b32 v11, v12, v11, v13
	v_lshlrev_b32_e32 v29, 25, v10
	v_lshrrev_b32_e32 v30, 12, v10
	v_lshrrev_b32_e32 v31, 5, v10
	v_lshlrev_b32_e32 v32, 2, v10
	v_and_b32_e32 v16, 0xf0f0f0f, v16
	v_and_b32_e32 v9, 0x10000000, v9
	;; [unrolled: 1-line block ×5, first 2 shown]
	v_or3_b32 v12, v23, v22, v24
	v_or3_b32 v11, v11, v14, v15
	v_and_b32_e32 v25, 0xf0f0f0f, v17
	v_lshrrev_b32_e32 v17, 4, v17
	v_lshlrev_b32_e32 v10, 9, v10
	v_and_b32_e32 v29, 0x10000000, v29
	v_and_b32_e32 v30, 16, v30
	;; [unrolled: 1-line block ×4, first 2 shown]
	v_or3_b32 v13, v27, v26, v28
	v_or3_b32 v9, v12, v9, v16
	v_dot4c_i32_i8_e32 v8, v11, v18
	v_and_b32_e32 v17, 0xf0f0f0f, v17
	v_and_b32_e32 v10, 0x10000000, v10
	v_or3_b32 v22, v31, v30, v32
	v_or3_b32 v12, v13, v29, v25
	v_dot4c_i32_i8_e32 v8, v9, v20
	v_or3_b32 v10, v22, v10, v17
	v_dot4c_i32_i8_e32 v8, v12, v19
	v_dot4c_i32_i8_e32 v8, v10, v21
	v_cvt_f32_f16_e32 v33, v7
	s_nop 1
	v_cvt_f32_i32_e32 v8, v8
	v_mul_f32_e32 v8, v33, v8
	v_fma_mix_f32 v7, v7, s14, v8 op_sel:[1,0,0] op_sel_hi:[1,0,0]
	v_add_f32_e32 v3, v3, v7
	s_andn2_b64 exec, exec, s[4:5]
	s_cbranch_execnz .LBB101_3
; %bb.4:
	s_or_b64 exec, exec, s[4:5]
.LBB101_5:
	s_or_b64 exec, exec, s[12:13]
	v_mbcnt_lo_u32_b32 v0, -1, 0
	v_mbcnt_hi_u32_b32 v4, -1, v0
	v_and_b32_e32 v0, 64, v4
	v_add_u32_e32 v5, 64, v0
	v_xor_b32_e32 v0, 32, v4
	v_cmp_lt_i32_e32 vcc, v0, v5
	v_cndmask_b32_e32 v0, v4, v0, vcc
	v_lshlrev_b32_e32 v0, 2, v0
	ds_bpermute_b32 v0, v0, v3
	v_xor_b32_e32 v6, 16, v4
	v_cmp_lt_i32_e32 vcc, v6, v5
	s_waitcnt lgkmcnt(0)
	v_add_f32_e32 v0, v3, v0
	v_cndmask_b32_e32 v3, v4, v6, vcc
	v_lshlrev_b32_e32 v3, 2, v3
	ds_bpermute_b32 v3, v3, v0
	v_xor_b32_e32 v6, 8, v4
	v_cmp_lt_i32_e32 vcc, v6, v5
	s_waitcnt lgkmcnt(0)
	v_add_f32_e32 v0, v0, v3
	;; [unrolled: 7-line block ×5, first 2 shown]
	v_cndmask_b32_e32 v3, v4, v6, vcc
	v_lshlrev_b32_e32 v3, 2, v3
	ds_bpermute_b32 v3, v3, v0
	v_cmp_eq_u32_e32 vcc, 0, v2
	s_and_b64 exec, exec, vcc
	s_cbranch_execz .LBB101_7
; %bb.6:
	s_waitcnt lgkmcnt(0)
	v_add_f32_e32 v0, v0, v3
	v_bfe_u32 v2, v0, 16, 1
	s_movk_i32 s0, 0x7fff
	s_mul_i32 s7, s7, s1
	v_add3_u32 v2, v0, v2, s0
	v_cmp_o_f32_e32 vcc, v0, v0
	v_add_u32_e32 v0, s7, v1
	v_mov_b32_e32 v1, 0
	v_lshrrev_b32_e32 v2, 16, v2
	v_mov_b32_e32 v3, 0x7fc0
	v_lshlrev_b64 v[0:1], 1, v[0:1]
	v_cndmask_b32_e32 v2, v3, v2, vcc
	v_mov_b32_e32 v3, s3
	v_add_co_u32_e32 v0, vcc, s2, v0
	v_addc_co_u32_e32 v1, vcc, v3, v1, vcc
	global_store_short v[0:1], v2, off
.LBB101_7:
	s_endpgm
	.section	.rodata,"a",@progbits
	.p2align	6, 0x0
	.amdhsa_kernel _ZL13mul_mat_vec_qIN3c108BFloat16ELi32ELi4E10block_q5_1Li2EXadL_ZL17vec_dot_q5_1_q8_1PKvPK10block_q8_1RKiEEEvS4_S4_PT_iii
		.amdhsa_group_segment_fixed_size 0
		.amdhsa_private_segment_fixed_size 0
		.amdhsa_kernarg_size 296
		.amdhsa_user_sgpr_count 6
		.amdhsa_user_sgpr_private_segment_buffer 1
		.amdhsa_user_sgpr_dispatch_ptr 0
		.amdhsa_user_sgpr_queue_ptr 0
		.amdhsa_user_sgpr_kernarg_segment_ptr 1
		.amdhsa_user_sgpr_dispatch_id 0
		.amdhsa_user_sgpr_flat_scratch_init 0
		.amdhsa_user_sgpr_kernarg_preload_length 0
		.amdhsa_user_sgpr_kernarg_preload_offset 0
		.amdhsa_user_sgpr_private_segment_size 0
		.amdhsa_uses_dynamic_stack 0
		.amdhsa_system_sgpr_private_segment_wavefront_offset 0
		.amdhsa_system_sgpr_workgroup_id_x 1
		.amdhsa_system_sgpr_workgroup_id_y 1
		.amdhsa_system_sgpr_workgroup_id_z 0
		.amdhsa_system_sgpr_workgroup_info 0
		.amdhsa_system_vgpr_workitem_id 1
		.amdhsa_next_free_vgpr 34
		.amdhsa_next_free_sgpr 18
		.amdhsa_accum_offset 36
		.amdhsa_reserve_vcc 1
		.amdhsa_reserve_flat_scratch 0
		.amdhsa_float_round_mode_32 0
		.amdhsa_float_round_mode_16_64 0
		.amdhsa_float_denorm_mode_32 3
		.amdhsa_float_denorm_mode_16_64 3
		.amdhsa_dx10_clamp 1
		.amdhsa_ieee_mode 1
		.amdhsa_fp16_overflow 0
		.amdhsa_tg_split 0
		.amdhsa_exception_fp_ieee_invalid_op 0
		.amdhsa_exception_fp_denorm_src 0
		.amdhsa_exception_fp_ieee_div_zero 0
		.amdhsa_exception_fp_ieee_overflow 0
		.amdhsa_exception_fp_ieee_underflow 0
		.amdhsa_exception_fp_ieee_inexact 0
		.amdhsa_exception_int_div_zero 0
	.end_amdhsa_kernel
	.section	.text._ZL13mul_mat_vec_qIN3c108BFloat16ELi32ELi4E10block_q5_1Li2EXadL_ZL17vec_dot_q5_1_q8_1PKvPK10block_q8_1RKiEEEvS4_S4_PT_iii,"axG",@progbits,_ZL13mul_mat_vec_qIN3c108BFloat16ELi32ELi4E10block_q5_1Li2EXadL_ZL17vec_dot_q5_1_q8_1PKvPK10block_q8_1RKiEEEvS4_S4_PT_iii,comdat
.Lfunc_end101:
	.size	_ZL13mul_mat_vec_qIN3c108BFloat16ELi32ELi4E10block_q5_1Li2EXadL_ZL17vec_dot_q5_1_q8_1PKvPK10block_q8_1RKiEEEvS4_S4_PT_iii, .Lfunc_end101-_ZL13mul_mat_vec_qIN3c108BFloat16ELi32ELi4E10block_q5_1Li2EXadL_ZL17vec_dot_q5_1_q8_1PKvPK10block_q8_1RKiEEEvS4_S4_PT_iii
                                        ; -- End function
	.section	.AMDGPU.csdata,"",@progbits
; Kernel info:
; codeLenInByte = 964
; NumSgprs: 22
; NumVgprs: 34
; NumAgprs: 0
; TotalNumVgprs: 34
; ScratchSize: 0
; MemoryBound: 0
; FloatMode: 240
; IeeeMode: 1
; LDSByteSize: 0 bytes/workgroup (compile time only)
; SGPRBlocks: 2
; VGPRBlocks: 4
; NumSGPRsForWavesPerEU: 22
; NumVGPRsForWavesPerEU: 34
; AccumOffset: 36
; Occupancy: 8
; WaveLimiterHint : 0
; COMPUTE_PGM_RSRC2:SCRATCH_EN: 0
; COMPUTE_PGM_RSRC2:USER_SGPR: 6
; COMPUTE_PGM_RSRC2:TRAP_HANDLER: 0
; COMPUTE_PGM_RSRC2:TGID_X_EN: 1
; COMPUTE_PGM_RSRC2:TGID_Y_EN: 1
; COMPUTE_PGM_RSRC2:TGID_Z_EN: 0
; COMPUTE_PGM_RSRC2:TIDIG_COMP_CNT: 1
; COMPUTE_PGM_RSRC3_GFX90A:ACCUM_OFFSET: 8
; COMPUTE_PGM_RSRC3_GFX90A:TG_SPLIT: 0
	.section	.text._ZL13mul_mat_vec_qIN3c108BFloat16ELi32ELi8E10block_q8_0Li2EXadL_ZL17vec_dot_q8_0_q8_1PKvPK10block_q8_1RKiEEEvS4_S4_PT_iii,"axG",@progbits,_ZL13mul_mat_vec_qIN3c108BFloat16ELi32ELi8E10block_q8_0Li2EXadL_ZL17vec_dot_q8_0_q8_1PKvPK10block_q8_1RKiEEEvS4_S4_PT_iii,comdat
	.globl	_ZL13mul_mat_vec_qIN3c108BFloat16ELi32ELi8E10block_q8_0Li2EXadL_ZL17vec_dot_q8_0_q8_1PKvPK10block_q8_1RKiEEEvS4_S4_PT_iii ; -- Begin function _ZL13mul_mat_vec_qIN3c108BFloat16ELi32ELi8E10block_q8_0Li2EXadL_ZL17vec_dot_q8_0_q8_1PKvPK10block_q8_1RKiEEEvS4_S4_PT_iii
	.p2align	8
	.type	_ZL13mul_mat_vec_qIN3c108BFloat16ELi32ELi8E10block_q8_0Li2EXadL_ZL17vec_dot_q8_0_q8_1PKvPK10block_q8_1RKiEEEvS4_S4_PT_iii,@function
_ZL13mul_mat_vec_qIN3c108BFloat16ELi32ELi8E10block_q8_0Li2EXadL_ZL17vec_dot_q8_0_q8_1PKvPK10block_q8_1RKiEEEvS4_S4_PT_iii: ; @_ZL13mul_mat_vec_qIN3c108BFloat16ELi32ELi8E10block_q8_0Li2EXadL_ZL17vec_dot_q8_0_q8_1PKvPK10block_q8_1RKiEEEvS4_S4_PT_iii
; %bb.0:
	s_load_dword s8, s[4:5], 0x34
	s_load_dwordx4 s[0:3], s[4:5], 0x18
	v_bfe_u32 v1, v0, 10, 10
	s_waitcnt lgkmcnt(0)
	s_lshr_b32 s3, s8, 16
	s_mul_i32 s6, s6, s3
	v_add_u32_e32 v1, s6, v1
	s_cmp_lt_u32 s7, s2
	v_cmp_gt_u32_e32 vcc, s1, v1
	s_cselect_b64 s[2:3], -1, 0
	s_and_b64 s[2:3], s[2:3], vcc
	s_and_saveexec_b64 s[8:9], s[2:3]
	s_cbranch_execz .LBB102_7
; %bb.1:
	s_load_dwordx2 s[2:3], s[4:5], 0x10
	s_ashr_i32 s6, s0, 31
	s_lshr_b32 s6, s6, 27
	s_add_i32 s6, s0, s6
	v_and_b32_e32 v2, 0x3ff, v0
	s_ashr_i32 s6, s6, 5
	v_lshrrev_b32_e32 v4, 2, v2
	v_cmp_gt_u32_e32 vcc, s6, v4
	v_mov_b32_e32 v3, 0
	s_and_saveexec_b64 s[12:13], vcc
	s_cbranch_execz .LBB102_5
; %bb.2:
	s_addk_i32 s0, 0x1ff
	s_load_dwordx4 s[8:11], s[4:5], 0x0
	s_ashr_i32 s4, s0, 31
	s_lshr_b32 s4, s4, 23
	s_add_i32 s0, s0, s4
	s_ashr_i32 s0, s0, 9
	s_mul_i32 s0, s7, s0
	v_lshlrev_b32_e32 v0, 3, v2
	v_mul_lo_u32 v5, v1, s6
	s_lshl_b32 s0, s0, 4
	v_and_b32_e32 v0, 24, v0
	v_mov_b32_e32 v3, 0
	s_mov_b64 s[4:5], 0
.LBB102_3:                              ; =>This Inner Loop Header: Depth=1
	v_add_u32_e32 v6, v5, v4
	s_waitcnt lgkmcnt(0)
	v_mad_i64_i32 v[6:7], s[14:15], v6, 34, s[8:9]
	v_add_u32_e32 v8, s0, v4
	v_add_co_u32_e32 v10, vcc, v6, v0
	v_mad_i64_i32 v[8:9], s[14:15], v8, 36, s[10:11]
	v_addc_co_u32_e32 v11, vcc, 0, v7, vcc
	v_add_co_u32_e32 v12, vcc, v8, v0
	v_addc_co_u32_e32 v13, vcc, 0, v9, vcc
	global_load_ushort v18, v[6:7], off
	global_load_dwordx2 v[14:15], v[10:11], off offset:2
	global_load_dwordx2 v[16:17], v[12:13], off offset:4
	global_load_dword v19, v[8:9], off
	v_mov_b32_e32 v6, 0
	v_add_u32_e32 v4, 16, v4
	v_cmp_le_u32_e32 vcc, s6, v4
	s_or_b64 s[4:5], vcc, s[4:5]
	s_waitcnt vmcnt(3)
	v_cvt_f32_f16_e32 v7, v18
	s_waitcnt vmcnt(1)
	v_dot4c_i32_i8_e32 v6, v14, v16
	s_waitcnt vmcnt(0)
	v_cvt_f32_f16_e32 v8, v19
	v_dot4c_i32_i8_e32 v6, v15, v17
	v_mul_f32_e32 v7, v7, v8
	s_nop 1
	v_cvt_f32_i32_e32 v6, v6
	v_fmac_f32_e32 v3, v7, v6
	s_andn2_b64 exec, exec, s[4:5]
	s_cbranch_execnz .LBB102_3
; %bb.4:
	s_or_b64 exec, exec, s[4:5]
.LBB102_5:
	s_or_b64 exec, exec, s[12:13]
	v_mbcnt_lo_u32_b32 v0, -1, 0
	v_mbcnt_hi_u32_b32 v4, -1, v0
	v_and_b32_e32 v0, 64, v4
	v_add_u32_e32 v5, 64, v0
	v_xor_b32_e32 v0, 32, v4
	v_cmp_lt_i32_e32 vcc, v0, v5
	v_cndmask_b32_e32 v0, v4, v0, vcc
	v_lshlrev_b32_e32 v0, 2, v0
	ds_bpermute_b32 v0, v0, v3
	v_xor_b32_e32 v6, 16, v4
	v_cmp_lt_i32_e32 vcc, v6, v5
	s_waitcnt lgkmcnt(0)
	v_add_f32_e32 v0, v3, v0
	v_cndmask_b32_e32 v3, v4, v6, vcc
	v_lshlrev_b32_e32 v3, 2, v3
	ds_bpermute_b32 v3, v3, v0
	v_xor_b32_e32 v6, 8, v4
	v_cmp_lt_i32_e32 vcc, v6, v5
	s_waitcnt lgkmcnt(0)
	v_add_f32_e32 v0, v0, v3
	;; [unrolled: 7-line block ×5, first 2 shown]
	v_cndmask_b32_e32 v3, v4, v6, vcc
	v_lshlrev_b32_e32 v3, 2, v3
	ds_bpermute_b32 v3, v3, v0
	v_cmp_eq_u32_e32 vcc, 0, v2
	s_and_b64 exec, exec, vcc
	s_cbranch_execz .LBB102_7
; %bb.6:
	s_waitcnt lgkmcnt(0)
	v_add_f32_e32 v0, v0, v3
	v_bfe_u32 v2, v0, 16, 1
	s_movk_i32 s0, 0x7fff
	s_mul_i32 s7, s7, s1
	v_add3_u32 v2, v0, v2, s0
	v_cmp_o_f32_e32 vcc, v0, v0
	v_add_u32_e32 v0, s7, v1
	v_mov_b32_e32 v1, 0
	v_lshrrev_b32_e32 v2, 16, v2
	v_mov_b32_e32 v3, 0x7fc0
	v_lshlrev_b64 v[0:1], 1, v[0:1]
	v_cndmask_b32_e32 v2, v3, v2, vcc
	v_mov_b32_e32 v3, s3
	v_add_co_u32_e32 v0, vcc, s2, v0
	v_addc_co_u32_e32 v1, vcc, v3, v1, vcc
	global_store_short v[0:1], v2, off
.LBB102_7:
	s_endpgm
	.section	.rodata,"a",@progbits
	.p2align	6, 0x0
	.amdhsa_kernel _ZL13mul_mat_vec_qIN3c108BFloat16ELi32ELi8E10block_q8_0Li2EXadL_ZL17vec_dot_q8_0_q8_1PKvPK10block_q8_1RKiEEEvS4_S4_PT_iii
		.amdhsa_group_segment_fixed_size 0
		.amdhsa_private_segment_fixed_size 0
		.amdhsa_kernarg_size 296
		.amdhsa_user_sgpr_count 6
		.amdhsa_user_sgpr_private_segment_buffer 1
		.amdhsa_user_sgpr_dispatch_ptr 0
		.amdhsa_user_sgpr_queue_ptr 0
		.amdhsa_user_sgpr_kernarg_segment_ptr 1
		.amdhsa_user_sgpr_dispatch_id 0
		.amdhsa_user_sgpr_flat_scratch_init 0
		.amdhsa_user_sgpr_kernarg_preload_length 0
		.amdhsa_user_sgpr_kernarg_preload_offset 0
		.amdhsa_user_sgpr_private_segment_size 0
		.amdhsa_uses_dynamic_stack 0
		.amdhsa_system_sgpr_private_segment_wavefront_offset 0
		.amdhsa_system_sgpr_workgroup_id_x 1
		.amdhsa_system_sgpr_workgroup_id_y 1
		.amdhsa_system_sgpr_workgroup_id_z 0
		.amdhsa_system_sgpr_workgroup_info 0
		.amdhsa_system_vgpr_workitem_id 1
		.amdhsa_next_free_vgpr 20
		.amdhsa_next_free_sgpr 16
		.amdhsa_accum_offset 20
		.amdhsa_reserve_vcc 1
		.amdhsa_reserve_flat_scratch 0
		.amdhsa_float_round_mode_32 0
		.amdhsa_float_round_mode_16_64 0
		.amdhsa_float_denorm_mode_32 3
		.amdhsa_float_denorm_mode_16_64 3
		.amdhsa_dx10_clamp 1
		.amdhsa_ieee_mode 1
		.amdhsa_fp16_overflow 0
		.amdhsa_tg_split 0
		.amdhsa_exception_fp_ieee_invalid_op 0
		.amdhsa_exception_fp_denorm_src 0
		.amdhsa_exception_fp_ieee_div_zero 0
		.amdhsa_exception_fp_ieee_overflow 0
		.amdhsa_exception_fp_ieee_underflow 0
		.amdhsa_exception_fp_ieee_inexact 0
		.amdhsa_exception_int_div_zero 0
	.end_amdhsa_kernel
	.section	.text._ZL13mul_mat_vec_qIN3c108BFloat16ELi32ELi8E10block_q8_0Li2EXadL_ZL17vec_dot_q8_0_q8_1PKvPK10block_q8_1RKiEEEvS4_S4_PT_iii,"axG",@progbits,_ZL13mul_mat_vec_qIN3c108BFloat16ELi32ELi8E10block_q8_0Li2EXadL_ZL17vec_dot_q8_0_q8_1PKvPK10block_q8_1RKiEEEvS4_S4_PT_iii,comdat
.Lfunc_end102:
	.size	_ZL13mul_mat_vec_qIN3c108BFloat16ELi32ELi8E10block_q8_0Li2EXadL_ZL17vec_dot_q8_0_q8_1PKvPK10block_q8_1RKiEEEvS4_S4_PT_iii, .Lfunc_end102-_ZL13mul_mat_vec_qIN3c108BFloat16ELi32ELi8E10block_q8_0Li2EXadL_ZL17vec_dot_q8_0_q8_1PKvPK10block_q8_1RKiEEEvS4_S4_PT_iii
                                        ; -- End function
	.section	.AMDGPU.csdata,"",@progbits
; Kernel info:
; codeLenInByte = 640
; NumSgprs: 20
; NumVgprs: 20
; NumAgprs: 0
; TotalNumVgprs: 20
; ScratchSize: 0
; MemoryBound: 0
; FloatMode: 240
; IeeeMode: 1
; LDSByteSize: 0 bytes/workgroup (compile time only)
; SGPRBlocks: 2
; VGPRBlocks: 2
; NumSGPRsForWavesPerEU: 20
; NumVGPRsForWavesPerEU: 20
; AccumOffset: 20
; Occupancy: 8
; WaveLimiterHint : 0
; COMPUTE_PGM_RSRC2:SCRATCH_EN: 0
; COMPUTE_PGM_RSRC2:USER_SGPR: 6
; COMPUTE_PGM_RSRC2:TRAP_HANDLER: 0
; COMPUTE_PGM_RSRC2:TGID_X_EN: 1
; COMPUTE_PGM_RSRC2:TGID_Y_EN: 1
; COMPUTE_PGM_RSRC2:TGID_Z_EN: 0
; COMPUTE_PGM_RSRC2:TIDIG_COMP_CNT: 1
; COMPUTE_PGM_RSRC3_GFX90A:ACCUM_OFFSET: 4
; COMPUTE_PGM_RSRC3_GFX90A:TG_SPLIT: 0
	.section	.text._ZL13mul_mat_vec_qIN3c108BFloat16ELi256ELi16E10block_q2_KLi1EXadL_ZL17vec_dot_q2_K_q8_1PKvPK10block_q8_1RKiEEEvS4_S4_PT_iii,"axG",@progbits,_ZL13mul_mat_vec_qIN3c108BFloat16ELi256ELi16E10block_q2_KLi1EXadL_ZL17vec_dot_q2_K_q8_1PKvPK10block_q8_1RKiEEEvS4_S4_PT_iii,comdat
	.globl	_ZL13mul_mat_vec_qIN3c108BFloat16ELi256ELi16E10block_q2_KLi1EXadL_ZL17vec_dot_q2_K_q8_1PKvPK10block_q8_1RKiEEEvS4_S4_PT_iii ; -- Begin function _ZL13mul_mat_vec_qIN3c108BFloat16ELi256ELi16E10block_q2_KLi1EXadL_ZL17vec_dot_q2_K_q8_1PKvPK10block_q8_1RKiEEEvS4_S4_PT_iii
	.p2align	8
	.type	_ZL13mul_mat_vec_qIN3c108BFloat16ELi256ELi16E10block_q2_KLi1EXadL_ZL17vec_dot_q2_K_q8_1PKvPK10block_q8_1RKiEEEvS4_S4_PT_iii,@function
_ZL13mul_mat_vec_qIN3c108BFloat16ELi256ELi16E10block_q2_KLi1EXadL_ZL17vec_dot_q2_K_q8_1PKvPK10block_q8_1RKiEEEvS4_S4_PT_iii: ; @_ZL13mul_mat_vec_qIN3c108BFloat16ELi256ELi16E10block_q2_KLi1EXadL_ZL17vec_dot_q2_K_q8_1PKvPK10block_q8_1RKiEEEvS4_S4_PT_iii
; %bb.0:
	s_load_dword s8, s[4:5], 0x34
	s_load_dwordx4 s[0:3], s[4:5], 0x18
	v_bfe_u32 v1, v0, 10, 10
	s_waitcnt lgkmcnt(0)
	s_lshr_b32 s3, s8, 16
	s_mul_i32 s6, s6, s3
	v_add_u32_e32 v10, s6, v1
	s_cmp_lt_u32 s7, s2
	v_cmp_gt_u32_e32 vcc, s1, v10
	s_cselect_b64 s[2:3], -1, 0
	s_and_b64 s[2:3], s[2:3], vcc
	s_and_saveexec_b64 s[8:9], s[2:3]
	s_cbranch_execz .LBB103_7
; %bb.1:
	s_load_dwordx2 s[2:3], s[4:5], 0x10
	s_ashr_i32 s6, s0, 31
	s_lshr_b32 s6, s6, 24
	s_add_i32 s6, s0, s6
	v_and_b32_e32 v11, 0x3ff, v0
	s_ashr_i32 s6, s6, 8
	v_lshrrev_b32_e32 v12, 4, v11
	v_cmp_gt_u32_e32 vcc, s6, v12
	v_mov_b32_e32 v1, 0
	s_and_saveexec_b64 s[8:9], vcc
	s_cbranch_execz .LBB103_5
; %bb.2:
	v_and_b32_e32 v3, 15, v11
	s_load_dwordx4 s[12:15], s[4:5], 0x0
	s_addk_i32 s0, 0x1ff
	v_cmp_lt_u32_e32 vcc, 7, v3
	s_ashr_i32 s4, s0, 31
	v_cndmask_b32_e64 v0, 0, 1, vcc
	s_lshr_b32 s4, s4, 23
	v_lshlrev_b32_e32 v6, 2, v0
	v_add_u32_e32 v0, -8, v3
	v_cmp_gt_u32_e32 vcc, 8, v3
	s_add_i32 s0, s0, s4
	v_cndmask_b32_e32 v0, v0, v3, vcc
	s_ashr_i32 s0, s0, 9
	v_lshlrev_b32_e32 v2, 2, v3
	v_mov_b32_e32 v1, 0
	v_sub_u32_e32 v3, v3, v0
	v_cmp_lt_u32_e32 vcc, 3, v0
	s_mul_i32 s0, s7, s0
	v_lshlrev_b64 v[4:5], 2, v[0:1]
	v_addc_co_u32_e32 v0, vcc, 0, v3, vcc
	s_waitcnt lgkmcnt(0)
	v_mad_u64_u32 v[6:7], s[4:5], v6, 36, s[14:15]
	v_lshlrev_b32_e32 v8, 3, v12
	v_mul_lo_u32 v13, v10, s6
	v_ashrrev_i32_e32 v3, 31, v0
	v_lshl_add_u32 v14, s0, 4, v8
	s_mov_b64 s[4:5], 0
	s_movk_i32 s0, 0x54
	v_pk_mov_b32 v[8:9], s[12:13], s[12:13] op_sel:[0,1]
	s_movk_i32 s10, 0x48
	s_movk_i32 s11, 0x6c
	s_mov_b32 s12, 0x1010101
.LBB103_3:                              ; =>This Inner Loop Header: Depth=1
	v_mad_i64_i32 v[16:17], s[14:15], v14, 36, v[6:7]
	v_add_co_u32_e32 v20, vcc, v16, v4
	v_add_u32_e32 v15, v13, v12
	v_addc_co_u32_e32 v21, vcc, v17, v5, vcc
	v_mad_i64_i32 v[18:19], s[14:15], v15, s0, v[8:9]
	v_add_co_u32_e32 v15, vcc, 36, v16
	v_addc_co_u32_e32 v25, vcc, 0, v17, vcc
	v_add_co_u32_e32 v26, vcc, s10, v16
	v_addc_co_u32_e32 v27, vcc, 0, v17, vcc
	;; [unrolled: 2-line block ×6, first 2 shown]
	v_add_co_u32_e32 v28, vcc, v28, v4
	global_load_dword v32, v[16:17], off
	global_load_dword v33, v[16:17], off offset:36
	global_load_dword v34, v[16:17], off offset:72
	v_addc_co_u32_e32 v29, vcc, v29, v5, vcc
	v_add_co_u32_e32 v30, vcc, v18, v0
	v_addc_co_u32_e32 v31, vcc, v19, v3, vcc
	global_load_dword v15, v[20:21], off offset:4
	global_load_dword v35, v[24:25], off offset:4
	;; [unrolled: 1-line block ×6, first 2 shown]
	global_load_ubyte v40, v[30:31], off
	global_load_ubyte v41, v[30:31], off offset:2
	global_load_ubyte v42, v[30:31], off offset:4
	;; [unrolled: 1-line block ×3, first 2 shown]
	global_load_dword v44, v[18:19], off offset:80
	v_mov_b32_e32 v17, 0
	v_mov_b32_e32 v19, 0
	;; [unrolled: 1-line block ×8, first 2 shown]
	v_add_u32_e32 v12, 4, v12
	v_cmp_le_u32_e32 vcc, s6, v12
	v_add_u32_e32 v14, 32, v14
	s_or_b64 s[4:5], vcc, s[4:5]
	s_waitcnt vmcnt(13)
	v_cvt_f32_f16_e32 v16, v32
	s_waitcnt vmcnt(12)
	v_cvt_f32_f16_e32 v18, v33
	;; [unrolled: 2-line block ×4, first 2 shown]
	s_waitcnt vmcnt(5)
	v_and_b32_e32 v29, 0x3030303, v39
	s_waitcnt vmcnt(4)
	v_and_b32_e32 v31, 15, v40
	v_lshrrev_b32_e32 v32, 4, v40
	v_lshrrev_b32_e32 v33, 2, v39
	s_waitcnt vmcnt(3)
	v_lshrrev_b32_e32 v38, 4, v41
	v_lshrrev_b32_e32 v40, 4, v39
	;; [unrolled: 1-line block ×3, first 2 shown]
	v_and_b32_e32 v34, 15, v41
	s_waitcnt vmcnt(2)
	v_and_b32_e32 v41, 15, v42
	v_lshrrev_b32_e32 v42, 4, v42
	v_dot4c_i32_i8_e32 v17, v29, v15
	v_mul_lo_u32 v29, v32, s12
	v_and_b32_e32 v32, 0x3030303, v33
	v_mul_lo_u32 v33, v38, s12
	v_and_b32_e32 v38, 0x3030303, v40
	v_and_b32_e32 v39, 0x3030303, v39
	s_waitcnt vmcnt(1)
	v_and_b32_e32 v45, 15, v43
	v_lshrrev_b32_e32 v43, 4, v43
	v_mul_lo_u32 v40, v42, s12
	v_mul_lo_u32 v17, v31, v17
	v_dot4c_i32_i8_e32 v19, v29, v15
	v_dot4c_i32_i8_e32 v21, v32, v35
	;; [unrolled: 1-line block ×4, first 2 shown]
	v_mul_lo_u32 v42, v43, s12
	v_dot4c_i32_i8_e32 v23, v33, v35
	v_dot4c_i32_i8_e32 v28, v40, v36
	v_mul_lo_u32 v15, v34, v21
	v_mul_lo_u32 v21, v41, v26
	;; [unrolled: 1-line block ×3, first 2 shown]
	v_cvt_f32_i32_e32 v27, v19
	v_cvt_f32_i32_e32 v26, v17
	v_dot4c_i32_i8_e32 v30, v42, v37
	v_cvt_f32_i32_e32 v29, v23
	v_cvt_f32_i32_e32 v31, v28
	;; [unrolled: 1-line block ×6, first 2 shown]
	s_waitcnt vmcnt(0)
	v_cvt_f32_f16_e32 v24, v44
	v_cvt_f32_f16_sdwa v25, v44 dst_sel:DWORD dst_unused:UNUSED_PAD src0_sel:WORD_1
	v_pk_fma_f32 v[16:17], v[16:17], v[26:27], 0 op_sel_hi:[0,1,0]
	v_pk_fma_f32 v[16:17], v[18:19], v[28:29], v[16:17] op_sel_hi:[0,1,1]
	;; [unrolled: 1-line block ×4, first 2 shown]
	v_pk_mul_f32 v[16:17], v[16:17], v[24:25]
	v_sub_f32_e32 v15, v16, v17
	v_add_f32_e32 v1, v1, v15
	s_andn2_b64 exec, exec, s[4:5]
	s_cbranch_execnz .LBB103_3
; %bb.4:
	s_or_b64 exec, exec, s[4:5]
.LBB103_5:
	s_or_b64 exec, exec, s[8:9]
	v_mbcnt_lo_u32_b32 v0, -1, 0
	v_mbcnt_hi_u32_b32 v2, -1, v0
	v_and_b32_e32 v0, 64, v2
	v_add_u32_e32 v3, 64, v0
	v_xor_b32_e32 v0, 32, v2
	v_cmp_lt_i32_e32 vcc, v0, v3
	v_cndmask_b32_e32 v0, v2, v0, vcc
	v_lshlrev_b32_e32 v0, 2, v0
	ds_bpermute_b32 v0, v0, v1
	v_xor_b32_e32 v4, 16, v2
	v_cmp_lt_i32_e32 vcc, v4, v3
	s_waitcnt lgkmcnt(0)
	v_add_f32_e32 v0, v1, v0
	v_cndmask_b32_e32 v1, v2, v4, vcc
	v_lshlrev_b32_e32 v1, 2, v1
	ds_bpermute_b32 v1, v1, v0
	v_xor_b32_e32 v4, 8, v2
	v_cmp_lt_i32_e32 vcc, v4, v3
	s_waitcnt lgkmcnt(0)
	v_add_f32_e32 v0, v0, v1
	;; [unrolled: 7-line block ×5, first 2 shown]
	v_cndmask_b32_e32 v1, v2, v4, vcc
	v_lshlrev_b32_e32 v1, 2, v1
	ds_bpermute_b32 v1, v1, v0
	v_cmp_eq_u32_e32 vcc, 0, v11
	s_and_b64 exec, exec, vcc
	s_cbranch_execz .LBB103_7
; %bb.6:
	s_waitcnt lgkmcnt(0)
	v_add_f32_e32 v0, v0, v1
	v_bfe_u32 v1, v0, 16, 1
	s_movk_i32 s0, 0x7fff
	v_add3_u32 v1, v0, v1, s0
	v_lshrrev_b32_e32 v1, 16, v1
	v_mov_b32_e32 v2, 0x7fc0
	v_cmp_o_f32_e32 vcc, v0, v0
	s_mul_i32 s7, s7, s1
	v_cndmask_b32_e32 v2, v2, v1, vcc
	v_add_u32_e32 v0, s7, v10
	v_mov_b32_e32 v1, 0
	v_lshlrev_b64 v[0:1], 1, v[0:1]
	v_mov_b32_e32 v3, s3
	v_add_co_u32_e32 v0, vcc, s2, v0
	v_addc_co_u32_e32 v1, vcc, v3, v1, vcc
	global_store_short v[0:1], v2, off
.LBB103_7:
	s_endpgm
	.section	.rodata,"a",@progbits
	.p2align	6, 0x0
	.amdhsa_kernel _ZL13mul_mat_vec_qIN3c108BFloat16ELi256ELi16E10block_q2_KLi1EXadL_ZL17vec_dot_q2_K_q8_1PKvPK10block_q8_1RKiEEEvS4_S4_PT_iii
		.amdhsa_group_segment_fixed_size 0
		.amdhsa_private_segment_fixed_size 0
		.amdhsa_kernarg_size 296
		.amdhsa_user_sgpr_count 6
		.amdhsa_user_sgpr_private_segment_buffer 1
		.amdhsa_user_sgpr_dispatch_ptr 0
		.amdhsa_user_sgpr_queue_ptr 0
		.amdhsa_user_sgpr_kernarg_segment_ptr 1
		.amdhsa_user_sgpr_dispatch_id 0
		.amdhsa_user_sgpr_flat_scratch_init 0
		.amdhsa_user_sgpr_kernarg_preload_length 0
		.amdhsa_user_sgpr_kernarg_preload_offset 0
		.amdhsa_user_sgpr_private_segment_size 0
		.amdhsa_uses_dynamic_stack 0
		.amdhsa_system_sgpr_private_segment_wavefront_offset 0
		.amdhsa_system_sgpr_workgroup_id_x 1
		.amdhsa_system_sgpr_workgroup_id_y 1
		.amdhsa_system_sgpr_workgroup_id_z 0
		.amdhsa_system_sgpr_workgroup_info 0
		.amdhsa_system_vgpr_workitem_id 1
		.amdhsa_next_free_vgpr 46
		.amdhsa_next_free_sgpr 16
		.amdhsa_accum_offset 48
		.amdhsa_reserve_vcc 1
		.amdhsa_reserve_flat_scratch 0
		.amdhsa_float_round_mode_32 0
		.amdhsa_float_round_mode_16_64 0
		.amdhsa_float_denorm_mode_32 3
		.amdhsa_float_denorm_mode_16_64 3
		.amdhsa_dx10_clamp 1
		.amdhsa_ieee_mode 1
		.amdhsa_fp16_overflow 0
		.amdhsa_tg_split 0
		.amdhsa_exception_fp_ieee_invalid_op 0
		.amdhsa_exception_fp_denorm_src 0
		.amdhsa_exception_fp_ieee_div_zero 0
		.amdhsa_exception_fp_ieee_overflow 0
		.amdhsa_exception_fp_ieee_underflow 0
		.amdhsa_exception_fp_ieee_inexact 0
		.amdhsa_exception_int_div_zero 0
	.end_amdhsa_kernel
	.section	.text._ZL13mul_mat_vec_qIN3c108BFloat16ELi256ELi16E10block_q2_KLi1EXadL_ZL17vec_dot_q2_K_q8_1PKvPK10block_q8_1RKiEEEvS4_S4_PT_iii,"axG",@progbits,_ZL13mul_mat_vec_qIN3c108BFloat16ELi256ELi16E10block_q2_KLi1EXadL_ZL17vec_dot_q2_K_q8_1PKvPK10block_q8_1RKiEEEvS4_S4_PT_iii,comdat
.Lfunc_end103:
	.size	_ZL13mul_mat_vec_qIN3c108BFloat16ELi256ELi16E10block_q2_KLi1EXadL_ZL17vec_dot_q2_K_q8_1PKvPK10block_q8_1RKiEEEvS4_S4_PT_iii, .Lfunc_end103-_ZL13mul_mat_vec_qIN3c108BFloat16ELi256ELi16E10block_q2_KLi1EXadL_ZL17vec_dot_q2_K_q8_1PKvPK10block_q8_1RKiEEEvS4_S4_PT_iii
                                        ; -- End function
	.section	.AMDGPU.csdata,"",@progbits
; Kernel info:
; codeLenInByte = 1176
; NumSgprs: 20
; NumVgprs: 46
; NumAgprs: 0
; TotalNumVgprs: 46
; ScratchSize: 0
; MemoryBound: 0
; FloatMode: 240
; IeeeMode: 1
; LDSByteSize: 0 bytes/workgroup (compile time only)
; SGPRBlocks: 2
; VGPRBlocks: 5
; NumSGPRsForWavesPerEU: 20
; NumVGPRsForWavesPerEU: 46
; AccumOffset: 48
; Occupancy: 8
; WaveLimiterHint : 0
; COMPUTE_PGM_RSRC2:SCRATCH_EN: 0
; COMPUTE_PGM_RSRC2:USER_SGPR: 6
; COMPUTE_PGM_RSRC2:TRAP_HANDLER: 0
; COMPUTE_PGM_RSRC2:TGID_X_EN: 1
; COMPUTE_PGM_RSRC2:TGID_Y_EN: 1
; COMPUTE_PGM_RSRC2:TGID_Z_EN: 0
; COMPUTE_PGM_RSRC2:TIDIG_COMP_CNT: 1
; COMPUTE_PGM_RSRC3_GFX90A:ACCUM_OFFSET: 11
; COMPUTE_PGM_RSRC3_GFX90A:TG_SPLIT: 0
	.section	.text._ZL13mul_mat_vec_qIN3c108BFloat16ELi256ELi16E10block_q3_KLi1EXadL_ZL17vec_dot_q3_K_q8_1PKvPK10block_q8_1RKiEEEvS4_S4_PT_iii,"axG",@progbits,_ZL13mul_mat_vec_qIN3c108BFloat16ELi256ELi16E10block_q3_KLi1EXadL_ZL17vec_dot_q3_K_q8_1PKvPK10block_q8_1RKiEEEvS4_S4_PT_iii,comdat
	.globl	_ZL13mul_mat_vec_qIN3c108BFloat16ELi256ELi16E10block_q3_KLi1EXadL_ZL17vec_dot_q3_K_q8_1PKvPK10block_q8_1RKiEEEvS4_S4_PT_iii ; -- Begin function _ZL13mul_mat_vec_qIN3c108BFloat16ELi256ELi16E10block_q3_KLi1EXadL_ZL17vec_dot_q3_K_q8_1PKvPK10block_q8_1RKiEEEvS4_S4_PT_iii
	.p2align	8
	.type	_ZL13mul_mat_vec_qIN3c108BFloat16ELi256ELi16E10block_q3_KLi1EXadL_ZL17vec_dot_q3_K_q8_1PKvPK10block_q8_1RKiEEEvS4_S4_PT_iii,@function
_ZL13mul_mat_vec_qIN3c108BFloat16ELi256ELi16E10block_q3_KLi1EXadL_ZL17vec_dot_q3_K_q8_1PKvPK10block_q8_1RKiEEEvS4_S4_PT_iii: ; @_ZL13mul_mat_vec_qIN3c108BFloat16ELi256ELi16E10block_q3_KLi1EXadL_ZL17vec_dot_q3_K_q8_1PKvPK10block_q8_1RKiEEEvS4_S4_PT_iii
; %bb.0:
	s_load_dword s0, s[4:5], 0x34
	s_load_dwordx4 s[8:11], s[4:5], 0x18
	v_bfe_u32 v1, v0, 10, 10
	s_waitcnt lgkmcnt(0)
	s_lshr_b32 s0, s0, 16
	s_mul_i32 s6, s6, s0
	v_add_u32_e32 v26, s6, v1
	s_cmp_lt_u32 s7, s10
	v_cmp_gt_u32_e32 vcc, s9, v26
	s_cselect_b64 s[0:1], -1, 0
	s_and_b64 s[0:1], s[0:1], vcc
	s_and_saveexec_b64 s[2:3], s[0:1]
	s_cbranch_execz .LBB104_7
; %bb.1:
	s_load_dwordx2 s[2:3], s[4:5], 0x10
	s_ashr_i32 s0, s8, 31
	s_lshr_b32 s0, s0, 24
	s_add_i32 s0, s8, s0
	v_and_b32_e32 v27, 0x3ff, v0
	s_ashr_i32 s6, s0, 8
	v_lshrrev_b32_e32 v28, 4, v27
	v_cmp_gt_u32_e32 vcc, s6, v28
	v_mov_b32_e32 v1, 0
	s_and_saveexec_b64 s[10:11], vcc
	s_cbranch_execz .LBB104_5
; %bb.2:
	v_and_b32_e32 v3, 15, v27
	v_cmp_lt_u32_e32 vcc, 7, v3
	v_cndmask_b32_e64 v0, 0, 1, vcc
	v_lshlrev_b32_e32 v30, 2, v0
	v_add_u32_e32 v0, -8, v3
	v_cmp_gt_u32_e32 vcc, 8, v3
	v_cndmask_b32_e32 v0, v0, v3, vcc
	v_lshlrev_b32_e32 v2, 2, v3
	v_sub_u32_e32 v3, v3, v0
	v_cmp_lt_u32_e32 vcc, 3, v0
	v_addc_co_u32_e32 v16, vcc, 0, v3, vcc
	v_mov_b32_e32 v17, 7
	v_add_u16_e32 v10, 2, v16
	v_mov_b32_e32 v18, 5
	v_mov_b32_e32 v21, 6
	v_lshrrev_b16_sdwa v11, v17, sext(v10) dst_sel:DWORD dst_unused:UNUSED_PAD src0_sel:DWORD src1_sel:BYTE_0
	v_lshrrev_b16_sdwa v8, v18, v11 dst_sel:DWORD dst_unused:UNUSED_PAD src0_sel:DWORD src1_sel:BYTE_0
	v_lshrrev_b16_sdwa v11, v21, v11 dst_sel:DWORD dst_unused:UNUSED_PAD src0_sel:DWORD src1_sel:BYTE_0
	v_mov_b32_e32 v20, 2
	v_add_u16_e32 v11, v10, v11
	v_add_u16_e32 v14, 4, v16
	v_mov_b32_e32 v22, 1
	v_ashrrev_i16_sdwa v12, v20, sext(v11) dst_sel:DWORD dst_unused:UNUSED_PAD src0_sel:DWORD src1_sel:BYTE_0
	v_lshrrev_b16_sdwa v15, v17, sext(v14) dst_sel:DWORD dst_unused:UNUSED_PAD src0_sel:DWORD src1_sel:BYTE_0
	v_lshlrev_b32_sdwa v34, v22, sext(v12) dst_sel:DWORD dst_unused:UNUSED_PAD src0_sel:DWORD src1_sel:WORD_0
	v_lshrrev_b16_sdwa v12, v18, v15 dst_sel:DWORD dst_unused:UNUSED_PAD src0_sel:DWORD src1_sel:BYTE_0
	v_lshrrev_b16_sdwa v15, v21, v15 dst_sel:DWORD dst_unused:UNUSED_PAD src0_sel:DWORD src1_sel:BYTE_0
	v_mov_b32_e32 v1, 0
	v_lshrrev_b16_sdwa v6, v17, sext(v16) dst_sel:DWORD dst_unused:UNUSED_PAD src0_sel:DWORD src1_sel:BYTE_0
	v_add_u16_e32 v15, v14, v15
	v_lshlrev_b64 v[4:5], 2, v[0:1]
	v_lshrrev_b16_sdwa v0, v18, v6 dst_sel:DWORD dst_unused:UNUSED_PAD src0_sel:DWORD src1_sel:BYTE_0
	v_lshrrev_b16_sdwa v6, v21, v6 dst_sel:DWORD dst_unused:UNUSED_PAD src0_sel:DWORD src1_sel:BYTE_0
	v_lshrrev_b16_sdwa v23, v20, sext(v15) dst_sel:DWORD dst_unused:UNUSED_PAD src0_sel:DWORD src1_sel:BYTE_0
	v_add_u16_e32 v0, v16, v0
	v_mov_b32_e32 v19, 3
	v_add_u16_e32 v6, v16, v6
	v_lshlrev_b32_sdwa v36, v22, v23 dst_sel:DWORD dst_unused:UNUSED_PAD src0_sel:DWORD src1_sel:BYTE_0
	v_add_u16_e32 v23, 6, v16
	s_add_i32 s0, s8, 0x1ff
	v_lshrrev_b16_sdwa v3, v19, sext(v0) dst_sel:DWORD dst_unused:UNUSED_PAD src0_sel:DWORD src1_sel:BYTE_0
	v_and_b32_e32 v0, 0xf8, v0
	v_ashrrev_i16_sdwa v7, v20, sext(v6) dst_sel:DWORD dst_unused:UNUSED_PAD src0_sel:DWORD src1_sel:BYTE_0
	v_and_b32_e32 v6, 0xfc, v6
	v_lshrrev_b16_sdwa v24, v17, sext(v23) dst_sel:DWORD dst_unused:UNUSED_PAD src0_sel:DWORD src1_sel:BYTE_0
	s_load_dwordx4 s[12:15], s[4:5], 0x0
	s_ashr_i32 s1, s0, 31
	v_sub_u16_e32 v0, v16, v0
	v_sub_u16_e32 v6, v16, v6
	v_lshrrev_b16_sdwa v16, v18, v24 dst_sel:DWORD dst_unused:UNUSED_PAD src0_sel:DWORD src1_sel:BYTE_0
	v_lshrrev_b16_sdwa v18, v21, v24 dst_sel:DWORD dst_unused:UNUSED_PAD src0_sel:DWORD src1_sel:BYTE_0
	s_lshr_b32 s1, s1, 23
	v_add_u16_e32 v8, v10, v8
	v_add_u16_e32 v12, v14, v12
	;; [unrolled: 1-line block ×4, first 2 shown]
	s_add_i32 s0, s0, s1
	v_lshrrev_b16_sdwa v9, v19, sext(v8) dst_sel:DWORD dst_unused:UNUSED_PAD src0_sel:DWORD src1_sel:BYTE_0
	v_and_b32_e32 v8, 0xf8, v8
	v_and_b32_e32 v11, 0xfc, v11
	v_lshrrev_b16_sdwa v13, v19, sext(v12) dst_sel:DWORD dst_unused:UNUSED_PAD src0_sel:DWORD src1_sel:BYTE_0
	v_and_b32_e32 v12, 0xf8, v12
	v_and_b32_e32 v15, 0xfc, v15
	v_lshrrev_b16_sdwa v17, v19, sext(v16) dst_sel:DWORD dst_unused:UNUSED_PAD src0_sel:DWORD src1_sel:BYTE_0
	v_and_b32_e32 v16, 0xf8, v16
	v_lshrrev_b16_sdwa v19, v20, sext(v18) dst_sel:DWORD dst_unused:UNUSED_PAD src0_sel:DWORD src1_sel:BYTE_0
	v_and_b32_e32 v18, 0xfc, v18
	s_ashr_i32 s0, s0, 9
	v_sub_u16_e32 v8, v10, v8
	v_sub_u16_e32 v10, v10, v11
	;; [unrolled: 1-line block ×6, first 2 shown]
	s_mul_i32 s4, s7, s0
	v_bfe_i32 v0, v0, 0, 8
	v_lshlrev_b32_sdwa v32, v22, sext(v7) dst_sel:DWORD dst_unused:UNUSED_PAD src0_sel:DWORD src1_sel:WORD_0
	v_bfe_i32 v6, v6, 0, 8
	v_bfe_i32 v8, v8, 0, 8
	;; [unrolled: 1-line block ×6, first 2 shown]
	v_lshlrev_b32_sdwa v38, v22, v19 dst_sel:DWORD dst_unused:UNUSED_PAD src0_sel:DWORD src1_sel:BYTE_0
	v_bfe_i32 v18, v18, 0, 8
	v_lshlrev_b32_e32 v22, 3, v28
	v_mul_lo_u32 v29, v26, s6
	v_lshlrev_b32_sdwa v31, v20, v3 dst_sel:DWORD dst_unused:UNUSED_PAD src0_sel:DWORD src1_sel:BYTE_0
	v_ashrrev_i32_e32 v3, 31, v0
	v_ashrrev_i32_e32 v7, 31, v6
	v_lshlrev_b32_sdwa v33, v20, v9 dst_sel:DWORD dst_unused:UNUSED_PAD src0_sel:DWORD src1_sel:BYTE_0
	v_ashrrev_i32_e32 v9, 31, v8
	v_ashrrev_i32_e32 v11, 31, v10
	;; [unrolled: 3-line block ×4, first 2 shown]
	s_waitcnt lgkmcnt(0)
	v_mad_u64_u32 v[20:21], s[0:1], v30, 36, s[14:15]
	v_lshl_add_u32 v39, s4, 4, v22
	s_mov_b64 s[4:5], 0
	s_movk_i32 s8, 0x6e
	s_movk_i32 s14, 0x48
	;; [unrolled: 1-line block ×3, first 2 shown]
.LBB104_3:                              ; =>This Inner Loop Header: Depth=1
	v_add_u32_e32 v40, v29, v28
	v_pk_mov_b32 v[24:25], s[12:13], s[12:13] op_sel:[0,1]
	v_mad_i64_i32 v[22:23], s[0:1], v39, 36, v[20:21]
	v_mad_i64_i32 v[24:25], s[0:1], v40, s8, v[24:25]
	v_add_co_u32_e32 v40, vcc, s14, v22
	v_addc_co_u32_e32 v41, vcc, 0, v23, vcc
	v_add_co_u32_e32 v42, vcc, s15, v22
	v_addc_co_u32_e32 v43, vcc, 0, v23, vcc
	;; [unrolled: 2-line block ×4, first 2 shown]
	global_load_dword v46, v[44:45], off
	v_add_co_u32_e32 v44, vcc, v24, v2
	v_add_co_u32_e64 v40, s[0:1], v40, v4
	v_addc_co_u32_e32 v45, vcc, 0, v25, vcc
	v_addc_co_u32_e64 v41, s[0:1], v41, v5, s[0:1]
	global_load_dword v47, v[44:45], off offset:32
	global_load_dword v48, v[40:41], off offset:4
	;; [unrolled: 1-line block ×3, first 2 shown]
	v_mov_b32_e32 v56, 0
	v_mov_b32_e32 v57, 0
	;; [unrolled: 1-line block ×4, first 2 shown]
	v_add_u32_e32 v28, 4, v28
	v_add_u32_e32 v39, 32, v39
	global_load_dword v58, v[22:23], off offset:108
	s_waitcnt vmcnt(4)
	v_ashrrev_i32_e32 v40, v30, v46
	v_not_b32_e32 v42, v40
	v_and_b32_e32 v43, 0x4040404, v42
	s_waitcnt vmcnt(3)
	v_lshrrev_b32_e32 v40, 4, v47
	v_and_b32_e32 v41, 0x3030303, v40
	v_bfe_u32 v40, v40, 24, 2
	v_sub_u16_sdwa v40, v40, v43 dst_sel:BYTE_1 dst_unused:UNUSED_PAD src0_sel:DWORD src1_sel:BYTE_3
	v_sub_u16_e32 v44, v41, v43
	v_sub_u16_sdwa v45, v41, v43 dst_sel:BYTE_1 dst_unused:UNUSED_PAD src0_sel:BYTE_1 src1_sel:BYTE_1
	v_sub_u16_sdwa v41, v41, v43 dst_sel:DWORD dst_unused:UNUSED_PAD src0_sel:WORD_1 src1_sel:WORD_1
	v_or_b32_sdwa v43, v44, v45 dst_sel:DWORD dst_unused:UNUSED_PAD src0_sel:BYTE_0 src1_sel:DWORD
	v_or_b32_sdwa v40, v41, v40 dst_sel:WORD_1 dst_unused:UNUSED_PAD src0_sel:BYTE_0 src1_sel:DWORD
	v_or_b32_sdwa v40, v43, v40 dst_sel:DWORD dst_unused:UNUSED_PAD src0_sel:WORD_0 src1_sel:DWORD
	s_waitcnt vmcnt(2)
	v_dot4c_i32_i8_e32 v56, v40, v48
	v_add_co_u32_e32 v40, vcc, v22, v4
	v_addc_co_u32_e32 v41, vcc, v23, v5, vcc
	global_load_dword v43, v[40:41], off offset:4
	v_add_co_u32_e32 v40, vcc, 36, v22
	v_addc_co_u32_e32 v41, vcc, 0, v23, vcc
	v_add_co_u32_e32 v40, vcc, v40, v4
	v_addc_co_u32_e32 v41, vcc, v41, v5, vcc
	global_load_dword v40, v[40:41], off offset:4
	v_lshlrev_b32_e32 v41, 2, v42
	v_and_b32_e32 v41, 0x4040404, v41
	v_bfe_u32 v44, v47, 24, 2
	v_and_b32_e32 v45, 0x3030303, v47
	v_sub_u16_sdwa v44, v44, v41 dst_sel:BYTE_1 dst_unused:UNUSED_PAD src0_sel:DWORD src1_sel:BYTE_3
	v_sub_u16_e32 v46, v45, v41
	v_sub_u16_sdwa v48, v45, v41 dst_sel:BYTE_1 dst_unused:UNUSED_PAD src0_sel:BYTE_1 src1_sel:BYTE_1
	v_sub_u16_sdwa v41, v45, v41 dst_sel:DWORD dst_unused:UNUSED_PAD src0_sel:WORD_1 src1_sel:WORD_1
	v_or_b32_sdwa v45, v46, v48 dst_sel:DWORD dst_unused:UNUSED_PAD src0_sel:BYTE_0 src1_sel:DWORD
	v_or_b32_sdwa v41, v41, v44 dst_sel:WORD_1 dst_unused:UNUSED_PAD src0_sel:BYTE_0 src1_sel:DWORD
	v_or_b32_sdwa v41, v45, v41 dst_sel:DWORD dst_unused:UNUSED_PAD src0_sel:WORD_0 src1_sel:DWORD
	v_lshlrev_b32_e32 v44, 1, v42
	v_and_b32_e32 v44, 0x4040404, v44
	v_lshrrev_b32_e32 v42, 1, v42
	v_and_b32_e32 v42, 0x4040404, v42
	s_waitcnt vmcnt(1)
	v_dot4c_i32_i8_e32 v57, v41, v43
	v_lshrrev_b32_e32 v41, 2, v47
	v_and_b32_e32 v43, 0x3030303, v41
	v_bfe_u32 v41, v41, 24, 2
	v_sub_u16_sdwa v41, v41, v44 dst_sel:BYTE_1 dst_unused:UNUSED_PAD src0_sel:DWORD src1_sel:BYTE_3
	v_sub_u16_e32 v45, v43, v44
	v_sub_u16_sdwa v46, v43, v44 dst_sel:BYTE_1 dst_unused:UNUSED_PAD src0_sel:BYTE_1 src1_sel:BYTE_1
	v_sub_u16_sdwa v43, v43, v44 dst_sel:DWORD dst_unused:UNUSED_PAD src0_sel:WORD_1 src1_sel:WORD_1
	v_or_b32_sdwa v44, v45, v46 dst_sel:DWORD dst_unused:UNUSED_PAD src0_sel:BYTE_0 src1_sel:DWORD
	v_or_b32_sdwa v41, v43, v41 dst_sel:WORD_1 dst_unused:UNUSED_PAD src0_sel:BYTE_0 src1_sel:DWORD
	v_or_b32_sdwa v41, v44, v41 dst_sel:DWORD dst_unused:UNUSED_PAD src0_sel:WORD_0 src1_sel:DWORD
	s_waitcnt vmcnt(0)
	v_dot4c_i32_i8_e32 v59, v41, v40
	v_lshrrev_b32_e32 v40, 6, v47
	v_lshrrev_b32_e32 v41, 30, v47
	v_and_b32_e32 v40, 0x3030303, v40
	v_sub_u16_sdwa v41, v41, v42 dst_sel:BYTE_1 dst_unused:UNUSED_PAD src0_sel:DWORD src1_sel:BYTE_3
	v_sub_u16_e32 v43, v40, v42
	v_sub_u16_sdwa v44, v40, v42 dst_sel:BYTE_1 dst_unused:UNUSED_PAD src0_sel:BYTE_1 src1_sel:BYTE_1
	v_sub_u16_sdwa v40, v40, v42 dst_sel:DWORD dst_unused:UNUSED_PAD src0_sel:WORD_1 src1_sel:WORD_1
	v_or_b32_sdwa v42, v43, v44 dst_sel:DWORD dst_unused:UNUSED_PAD src0_sel:BYTE_0 src1_sel:DWORD
	v_or_b32_sdwa v40, v40, v41 dst_sel:WORD_1 dst_unused:UNUSED_PAD src0_sel:BYTE_0 src1_sel:DWORD
	v_or_b32_sdwa v40, v42, v40 dst_sel:DWORD dst_unused:UNUSED_PAD src0_sel:WORD_0 src1_sel:DWORD
	v_dot4c_i32_i8_e32 v60, v40, v49
	v_add_co_u32_e32 v40, vcc, v24, v0
	v_addc_co_u32_e32 v41, vcc, v25, v3, vcc
	v_add_co_u32_e32 v42, vcc, v24, v6
	v_addc_co_u32_e32 v43, vcc, v25, v7, vcc
	;; [unrolled: 2-line block ×8, first 2 shown]
	global_load_ushort v61, v[24:25], off offset:108
	global_load_ubyte v62, v[40:41], off offset:96
	global_load_ubyte v63, v[42:43], off offset:104
                                        ; kill: killed $vgpr40 killed $vgpr41
                                        ; kill: killed $vgpr24 killed $vgpr25
                                        ; kill: killed $vgpr42 killed $vgpr43
	s_nop 0
	global_load_ubyte v24, v[44:45], off offset:96
	global_load_ubyte v25, v[46:47], off offset:104
	;; [unrolled: 1-line block ×6, first 2 shown]
                                        ; kill: killed $vgpr44 killed $vgpr45
                                        ; kill: killed $vgpr48 killed $vgpr49
                                        ; kill: killed $vgpr46 killed $vgpr47
                                        ; kill: killed $vgpr50 killed $vgpr51
                                        ; kill: killed $vgpr52 killed $vgpr53
                                        ; kill: killed $vgpr54 killed $vgpr55
	global_load_dword v44, v[22:23], off
	global_load_dword v45, v[22:23], off offset:36
	global_load_dword v46, v[22:23], off offset:72
	v_cmp_le_u32_e32 vcc, s6, v28
	s_or_b64 s[4:5], vcc, s[4:5]
	s_waitcnt vmcnt(10)
	v_bfe_u32 v22, v62, v31, 4
	s_waitcnt vmcnt(9)
	v_lshrrev_b32_e32 v23, v32, v63
	v_lshlrev_b32_e32 v23, 4, v23
	v_and_or_b32 v22, v23, 48, v22
	v_subrev_u32_e32 v22, 32, v22
	s_waitcnt vmcnt(8)
	v_bfe_u32 v23, v24, v33, 4
	s_waitcnt vmcnt(7)
	v_lshrrev_b32_e32 v24, v34, v25
	v_lshlrev_b32_e32 v24, 4, v24
	s_waitcnt vmcnt(5)
	v_lshrrev_b32_e32 v25, v36, v41
	v_and_or_b32 v23, v24, 48, v23
	v_bfe_u32 v24, v40, v35, 4
	v_lshlrev_b32_e32 v25, 4, v25
	s_waitcnt vmcnt(3)
	v_lshrrev_b32_e32 v40, v38, v43
	v_and_or_b32 v24, v25, 48, v24
	v_bfe_u32 v25, v42, v37, 4
	v_lshlrev_b32_e32 v40, 4, v40
	v_mul_lo_u32 v22, v22, v57
	v_subrev_u32_e32 v23, 32, v23
	v_and_or_b32 v25, v40, 48, v25
	v_subrev_u32_e32 v24, 32, v24
	v_mul_lo_u32 v23, v23, v59
	v_cvt_f32_i32_e32 v22, v22
	v_mul_lo_u32 v24, v24, v56
	v_subrev_u32_e32 v25, 32, v25
	v_cvt_f32_i32_e32 v23, v23
	v_mul_lo_u32 v25, v25, v60
	v_cvt_f32_i32_e32 v24, v24
	v_cvt_f32_i32_e32 v25, v25
	s_waitcnt vmcnt(2)
	v_fma_mix_f32 v22, v44, v22, 0 op_sel_hi:[1,0,0]
	s_waitcnt vmcnt(1)
	v_fma_mix_f32 v22, v45, v23, v22 op_sel_hi:[1,0,0]
	;; [unrolled: 2-line block ×3, first 2 shown]
	v_fma_mix_f32 v22, v58, v25, v22 op_sel_hi:[1,0,0]
	v_fma_mix_f32 v1, v22, v61, v1 op_sel_hi:[0,1,0]
	s_andn2_b64 exec, exec, s[4:5]
	s_cbranch_execnz .LBB104_3
; %bb.4:
	s_or_b64 exec, exec, s[4:5]
.LBB104_5:
	s_or_b64 exec, exec, s[10:11]
	v_mbcnt_lo_u32_b32 v0, -1, 0
	v_mbcnt_hi_u32_b32 v2, -1, v0
	v_and_b32_e32 v0, 64, v2
	v_add_u32_e32 v3, 64, v0
	v_xor_b32_e32 v0, 32, v2
	v_cmp_lt_i32_e32 vcc, v0, v3
	v_cndmask_b32_e32 v0, v2, v0, vcc
	v_lshlrev_b32_e32 v0, 2, v0
	ds_bpermute_b32 v0, v0, v1
	v_xor_b32_e32 v4, 16, v2
	v_cmp_lt_i32_e32 vcc, v4, v3
	s_waitcnt lgkmcnt(0)
	v_add_f32_e32 v0, v1, v0
	v_cndmask_b32_e32 v1, v2, v4, vcc
	v_lshlrev_b32_e32 v1, 2, v1
	ds_bpermute_b32 v1, v1, v0
	v_xor_b32_e32 v4, 8, v2
	v_cmp_lt_i32_e32 vcc, v4, v3
	s_waitcnt lgkmcnt(0)
	v_add_f32_e32 v0, v0, v1
	;; [unrolled: 7-line block ×5, first 2 shown]
	v_cndmask_b32_e32 v1, v2, v4, vcc
	v_lshlrev_b32_e32 v1, 2, v1
	ds_bpermute_b32 v1, v1, v0
	v_cmp_eq_u32_e32 vcc, 0, v27
	s_and_b64 exec, exec, vcc
	s_cbranch_execz .LBB104_7
; %bb.6:
	s_waitcnt lgkmcnt(0)
	v_add_f32_e32 v0, v0, v1
	v_bfe_u32 v1, v0, 16, 1
	s_movk_i32 s0, 0x7fff
	v_add3_u32 v1, v0, v1, s0
	v_lshrrev_b32_e32 v1, 16, v1
	v_mov_b32_e32 v2, 0x7fc0
	v_cmp_o_f32_e32 vcc, v0, v0
	s_mul_i32 s7, s7, s9
	v_cndmask_b32_e32 v2, v2, v1, vcc
	v_add_u32_e32 v0, s7, v26
	v_mov_b32_e32 v1, 0
	v_lshlrev_b64 v[0:1], 1, v[0:1]
	v_mov_b32_e32 v3, s3
	v_add_co_u32_e32 v0, vcc, s2, v0
	v_addc_co_u32_e32 v1, vcc, v3, v1, vcc
	global_store_short v[0:1], v2, off
.LBB104_7:
	s_endpgm
	.section	.rodata,"a",@progbits
	.p2align	6, 0x0
	.amdhsa_kernel _ZL13mul_mat_vec_qIN3c108BFloat16ELi256ELi16E10block_q3_KLi1EXadL_ZL17vec_dot_q3_K_q8_1PKvPK10block_q8_1RKiEEEvS4_S4_PT_iii
		.amdhsa_group_segment_fixed_size 0
		.amdhsa_private_segment_fixed_size 0
		.amdhsa_kernarg_size 296
		.amdhsa_user_sgpr_count 6
		.amdhsa_user_sgpr_private_segment_buffer 1
		.amdhsa_user_sgpr_dispatch_ptr 0
		.amdhsa_user_sgpr_queue_ptr 0
		.amdhsa_user_sgpr_kernarg_segment_ptr 1
		.amdhsa_user_sgpr_dispatch_id 0
		.amdhsa_user_sgpr_flat_scratch_init 0
		.amdhsa_user_sgpr_kernarg_preload_length 0
		.amdhsa_user_sgpr_kernarg_preload_offset 0
		.amdhsa_user_sgpr_private_segment_size 0
		.amdhsa_uses_dynamic_stack 0
		.amdhsa_system_sgpr_private_segment_wavefront_offset 0
		.amdhsa_system_sgpr_workgroup_id_x 1
		.amdhsa_system_sgpr_workgroup_id_y 1
		.amdhsa_system_sgpr_workgroup_id_z 0
		.amdhsa_system_sgpr_workgroup_info 0
		.amdhsa_system_vgpr_workitem_id 1
		.amdhsa_next_free_vgpr 64
		.amdhsa_next_free_sgpr 16
		.amdhsa_accum_offset 64
		.amdhsa_reserve_vcc 1
		.amdhsa_reserve_flat_scratch 0
		.amdhsa_float_round_mode_32 0
		.amdhsa_float_round_mode_16_64 0
		.amdhsa_float_denorm_mode_32 3
		.amdhsa_float_denorm_mode_16_64 3
		.amdhsa_dx10_clamp 1
		.amdhsa_ieee_mode 1
		.amdhsa_fp16_overflow 0
		.amdhsa_tg_split 0
		.amdhsa_exception_fp_ieee_invalid_op 0
		.amdhsa_exception_fp_denorm_src 0
		.amdhsa_exception_fp_ieee_div_zero 0
		.amdhsa_exception_fp_ieee_overflow 0
		.amdhsa_exception_fp_ieee_underflow 0
		.amdhsa_exception_fp_ieee_inexact 0
		.amdhsa_exception_int_div_zero 0
	.end_amdhsa_kernel
	.section	.text._ZL13mul_mat_vec_qIN3c108BFloat16ELi256ELi16E10block_q3_KLi1EXadL_ZL17vec_dot_q3_K_q8_1PKvPK10block_q8_1RKiEEEvS4_S4_PT_iii,"axG",@progbits,_ZL13mul_mat_vec_qIN3c108BFloat16ELi256ELi16E10block_q3_KLi1EXadL_ZL17vec_dot_q3_K_q8_1PKvPK10block_q8_1RKiEEEvS4_S4_PT_iii,comdat
.Lfunc_end104:
	.size	_ZL13mul_mat_vec_qIN3c108BFloat16ELi256ELi16E10block_q3_KLi1EXadL_ZL17vec_dot_q3_K_q8_1PKvPK10block_q8_1RKiEEEvS4_S4_PT_iii, .Lfunc_end104-_ZL13mul_mat_vec_qIN3c108BFloat16ELi256ELi16E10block_q3_KLi1EXadL_ZL17vec_dot_q3_K_q8_1PKvPK10block_q8_1RKiEEEvS4_S4_PT_iii
                                        ; -- End function
	.section	.AMDGPU.csdata,"",@progbits
; Kernel info:
; codeLenInByte = 2036
; NumSgprs: 20
; NumVgprs: 64
; NumAgprs: 0
; TotalNumVgprs: 64
; ScratchSize: 0
; MemoryBound: 0
; FloatMode: 240
; IeeeMode: 1
; LDSByteSize: 0 bytes/workgroup (compile time only)
; SGPRBlocks: 2
; VGPRBlocks: 7
; NumSGPRsForWavesPerEU: 20
; NumVGPRsForWavesPerEU: 64
; AccumOffset: 64
; Occupancy: 8
; WaveLimiterHint : 0
; COMPUTE_PGM_RSRC2:SCRATCH_EN: 0
; COMPUTE_PGM_RSRC2:USER_SGPR: 6
; COMPUTE_PGM_RSRC2:TRAP_HANDLER: 0
; COMPUTE_PGM_RSRC2:TGID_X_EN: 1
; COMPUTE_PGM_RSRC2:TGID_Y_EN: 1
; COMPUTE_PGM_RSRC2:TGID_Z_EN: 0
; COMPUTE_PGM_RSRC2:TIDIG_COMP_CNT: 1
; COMPUTE_PGM_RSRC3_GFX90A:ACCUM_OFFSET: 15
; COMPUTE_PGM_RSRC3_GFX90A:TG_SPLIT: 0
	.section	.text._ZL13mul_mat_vec_qIN3c108BFloat16ELi256ELi32E10block_q4_KLi2EXadL_ZL17vec_dot_q4_K_q8_1PKvPK10block_q8_1RKiEEEvS4_S4_PT_iii,"axG",@progbits,_ZL13mul_mat_vec_qIN3c108BFloat16ELi256ELi32E10block_q4_KLi2EXadL_ZL17vec_dot_q4_K_q8_1PKvPK10block_q8_1RKiEEEvS4_S4_PT_iii,comdat
	.globl	_ZL13mul_mat_vec_qIN3c108BFloat16ELi256ELi32E10block_q4_KLi2EXadL_ZL17vec_dot_q4_K_q8_1PKvPK10block_q8_1RKiEEEvS4_S4_PT_iii ; -- Begin function _ZL13mul_mat_vec_qIN3c108BFloat16ELi256ELi32E10block_q4_KLi2EXadL_ZL17vec_dot_q4_K_q8_1PKvPK10block_q8_1RKiEEEvS4_S4_PT_iii
	.p2align	8
	.type	_ZL13mul_mat_vec_qIN3c108BFloat16ELi256ELi32E10block_q4_KLi2EXadL_ZL17vec_dot_q4_K_q8_1PKvPK10block_q8_1RKiEEEvS4_S4_PT_iii,@function
_ZL13mul_mat_vec_qIN3c108BFloat16ELi256ELi32E10block_q4_KLi2EXadL_ZL17vec_dot_q4_K_q8_1PKvPK10block_q8_1RKiEEEvS4_S4_PT_iii: ; @_ZL13mul_mat_vec_qIN3c108BFloat16ELi256ELi32E10block_q4_KLi2EXadL_ZL17vec_dot_q4_K_q8_1PKvPK10block_q8_1RKiEEEvS4_S4_PT_iii
; %bb.0:
	s_load_dword s0, s[4:5], 0x34
	s_load_dwordx4 s[8:11], s[4:5], 0x18
	v_bfe_u32 v1, v0, 10, 10
	s_waitcnt lgkmcnt(0)
	s_lshr_b32 s0, s0, 16
	s_mul_i32 s6, s6, s0
	v_add_u32_e32 v1, s6, v1
	s_cmp_lt_u32 s7, s10
	v_cmp_gt_u32_e32 vcc, s9, v1
	s_cselect_b64 s[0:1], -1, 0
	s_and_b64 s[0:1], s[0:1], vcc
	s_and_saveexec_b64 s[2:3], s[0:1]
	s_cbranch_execz .LBB105_11
; %bb.1:
	s_load_dwordx2 s[2:3], s[4:5], 0x10
	s_ashr_i32 s0, s8, 31
	s_lshr_b32 s0, s0, 24
	s_add_i32 s0, s8, s0
	v_and_b32_e32 v3, 0x3ff, v0
	s_ashr_i32 s6, s0, 8
	v_lshrrev_b32_e32 v13, 4, v3
	v_cmp_gt_u32_e32 vcc, s6, v13
	v_mov_b32_e32 v12, 0
	s_and_saveexec_b64 s[10:11], vcc
	s_cbranch_execz .LBB105_9
; %bb.2:
	s_add_i32 s0, s8, 0x1ff
	s_load_dwordx4 s[12:15], s[4:5], 0x0
	s_ashr_i32 s1, s0, 31
	s_lshr_b32 s1, s1, 23
	s_add_i32 s0, s0, s1
	v_lshlrev_b32_e32 v0, 1, v3
	s_ashr_i32 s0, s0, 9
	v_and_b32_e32 v4, 30, v0
	v_bfe_u32 v8, v0, 3, 2
	s_mul_i32 s4, s7, s0
	v_and_b32_e32 v10, 3, v3
	v_cmp_lt_u32_e32 vcc, 15, v4
	v_lshlrev_b32_e32 v4, 1, v8
	v_lshlrev_b32_e32 v6, 3, v13
	v_mul_lo_u32 v14, v1, s6
	v_lshlrev_b32_e32 v0, 5, v8
	v_mov_b32_e32 v12, 0
	v_lshlrev_b32_e32 v2, 2, v10
	s_waitcnt lgkmcnt(0)
	v_mad_u64_u32 v[4:5], s[0:1], v4, 36, s[14:15]
	v_lshl_add_u32 v15, s4, 4, v6
	s_mov_b64 s[4:5], 0
	s_movk_i32 s8, 0x90
	v_pk_mov_b32 v[6:7], s[12:13], s[12:13] op_sel:[0,1]
	v_lshlrev_b32_e32 v16, 1, v8
	s_mov_b32 s12, 0x5040100
	s_mov_b32 s13, 0x30303030
	v_lshlrev_b32_e32 v17, 2, v10
	s_branch .LBB105_4
.LBB105_3:                              ;   in Loop: Header=BB105_4 Depth=1
	s_or_b64 exec, exec, s[0:1]
	v_mad_i64_i32 v[10:11], s[0:1], v15, 36, v[4:5]
	v_add_co_u32_e64 v22, s[0:1], v10, v17
	global_load_dword v21, v[10:11], off
	v_addc_co_u32_e64 v23, s[0:1], 0, v11, s[0:1]
	global_load_dword v24, v[8:9], off
	global_load_dword v25, v[22:23], off offset:20
	global_load_dword v26, v[22:23], off offset:40
	;; [unrolled: 1-line block ×5, first 2 shown]
	s_waitcnt vmcnt(8)
	v_and_b32_e32 v11, 0xf0f0f0f, v19
	v_mov_b32_e32 v23, 0
	v_mov_b32_e32 v30, 0
	v_lshrrev_b32_e32 v10, 4, v19
	v_pk_lshrrev_b16 v8, 8, v20 op_sel_hi:[0,1]
	s_waitcnt vmcnt(7)
	v_and_b32_e32 v22, 0xf0f0f0f, v18
	v_and_b32_e32 v9, 0xff00ff, v20
	v_lshrrev_b32_e32 v18, 4, v18
	v_mov_b32_e32 v19, 0
	v_mov_b32_e32 v20, 0
	v_and_b32_e32 v31, 0xf0f0f0f, v10
	v_and_b32_e32 v32, 0xf0f0f0f, v18
	v_lshrrev_b32_e32 v34, 16, v9
	v_and_b32_e32 v35, 0xff, v9
	v_lshrrev_b32_e32 v33, 16, v8
	v_and_b32_e32 v8, 0xff, v8
	v_add_u32_e32 v13, 4, v13
	v_cmp_le_u32_e64 s[0:1], s6, v13
	s_or_b64 s[4:5], s[0:1], s[4:5]
	v_add_u32_e32 v15, 32, v15
	s_waitcnt vmcnt(5)
	v_cvt_f32_f16_sdwa v9, v24 dst_sel:DWORD dst_unused:UNUSED_PAD src0_sel:WORD_1
	s_waitcnt vmcnt(3)
	v_dot4c_i32_i8_e32 v19, v31, v26
	v_dot4c_i32_i8_e32 v20, 0x1010101, v26
	v_cvt_f32_f16_e32 v10, v21
	s_waitcnt vmcnt(0)
	v_dot4c_i32_i8_e32 v23, v11, v29
	v_dot4c_i32_i8_e32 v30, 0x1010101, v29
	;; [unrolled: 1-line block ×6, first 2 shown]
	v_mul_lo_u32 v11, v23, v35
	v_mul_lo_u32 v21, v30, v34
	;; [unrolled: 1-line block ×4, first 2 shown]
	v_cvt_f32_i32_e32 v21, v21
	v_cvt_f32_i32_e32 v20, v11
	v_cvt_f32_f16_e32 v18, v28
	v_cvt_f32_i32_e32 v23, v19
	v_cvt_f32_i32_e32 v22, v8
	v_cvt_f32_f16_e32 v8, v24
	v_pk_fma_f32 v[10:11], v[10:11], v[20:21], 0 op_sel_hi:[0,1,0]
	v_pk_fma_f32 v[10:11], v[18:19], v[22:23], v[10:11] op_sel_hi:[0,1,1]
	v_pk_mul_f32 v[8:9], v[10:11], v[8:9]
	v_sub_f32_e32 v8, v8, v9
	v_add_f32_e32 v12, v12, v8
	s_andn2_b64 exec, exec, s[4:5]
	s_cbranch_execz .LBB105_8
.LBB105_4:                              ; =>This Inner Loop Header: Depth=1
	v_add_u32_e32 v8, v14, v13
	v_mad_i64_i32 v[8:9], s[0:1], v8, s8, v[6:7]
	v_add_co_u32_e64 v10, s[0:1], v8, v0
	v_addc_co_u32_e64 v11, s[0:1], 0, v9, s[0:1]
	v_add_co_u32_e64 v10, s[0:1], v10, v2
	v_addc_co_u32_e64 v11, s[0:1], 0, v11, s[0:1]
	global_load_dword v19, v[10:11], off offset:16
	global_load_dword v18, v[10:11], off offset:32
	v_add_co_u32_e64 v10, s[0:1], v8, v16
	v_addc_co_u32_e64 v11, s[0:1], 0, v9, s[0:1]
                                        ; implicit-def: $vgpr20
	s_and_saveexec_b64 s[0:1], vcc
	s_xor_b64 s[0:1], exec, s[0:1]
	s_cbranch_execz .LBB105_6
; %bb.5:                                ;   in Loop: Header=BB105_4 Depth=1
	global_load_ushort v20, v[10:11], off
	global_load_ushort v21, v[10:11], off offset:8
	global_load_ushort v22, v[10:11], off offset:4
	s_waitcnt vmcnt(1)
	v_lshrrev_b16_e32 v10, 4, v21
	s_waitcnt vmcnt(0)
	v_perm_b32 v11, v22, v20, s12
	v_perm_b32 v10, v10, v21, s12
	v_and_b32_e32 v10, 0xf0f0f0f, v10
	v_pk_lshrrev_b16 v11, 2, v11 op_sel_hi:[0,1]
	v_and_or_b32 v20, v11, s13, v10
                                        ; implicit-def: $vgpr10_vgpr11
.LBB105_6:                              ;   in Loop: Header=BB105_4 Depth=1
	s_andn2_saveexec_b64 s[0:1], s[0:1]
	s_cbranch_execz .LBB105_3
; %bb.7:                                ;   in Loop: Header=BB105_4 Depth=1
	global_load_ushort v20, v[10:11], off offset:4
	global_load_ushort v21, v[10:11], off offset:8
	s_waitcnt vmcnt(0)
	v_perm_b32 v10, v21, v20, s12
	v_and_b32_e32 v20, 0x3f3f3f3f, v10
	s_branch .LBB105_3
.LBB105_8:
	s_or_b64 exec, exec, s[4:5]
.LBB105_9:
	s_or_b64 exec, exec, s[10:11]
	v_mbcnt_lo_u32_b32 v0, -1, 0
	v_mbcnt_hi_u32_b32 v2, -1, v0
	v_and_b32_e32 v0, 64, v2
	v_add_u32_e32 v4, 64, v0
	v_xor_b32_e32 v0, 32, v2
	v_cmp_lt_i32_e32 vcc, v0, v4
	v_cndmask_b32_e32 v0, v2, v0, vcc
	v_lshlrev_b32_e32 v0, 2, v0
	ds_bpermute_b32 v0, v0, v12
	v_xor_b32_e32 v5, 16, v2
	v_cmp_lt_i32_e32 vcc, v5, v4
	v_cndmask_b32_e32 v5, v2, v5, vcc
	v_lshlrev_b32_e32 v5, 2, v5
	s_waitcnt lgkmcnt(0)
	v_add_f32_e32 v0, v12, v0
	ds_bpermute_b32 v5, v5, v0
	v_xor_b32_e32 v6, 8, v2
	v_cmp_lt_i32_e32 vcc, v6, v4
	s_waitcnt lgkmcnt(0)
	v_add_f32_e32 v0, v0, v5
	v_cndmask_b32_e32 v5, v2, v6, vcc
	v_lshlrev_b32_e32 v5, 2, v5
	ds_bpermute_b32 v5, v5, v0
	v_xor_b32_e32 v6, 4, v2
	v_cmp_lt_i32_e32 vcc, v6, v4
	s_waitcnt lgkmcnt(0)
	v_add_f32_e32 v0, v0, v5
	v_cndmask_b32_e32 v5, v2, v6, vcc
	v_lshlrev_b32_e32 v5, 2, v5
	;; [unrolled: 7-line block ×3, first 2 shown]
	ds_bpermute_b32 v5, v5, v0
	v_xor_b32_e32 v6, 1, v2
	v_cmp_lt_i32_e32 vcc, v6, v4
	v_cndmask_b32_e32 v2, v2, v6, vcc
	v_lshlrev_b32_e32 v2, 2, v2
	s_waitcnt lgkmcnt(0)
	v_add_f32_e32 v0, v0, v5
	ds_bpermute_b32 v2, v2, v0
	v_cmp_eq_u32_e32 vcc, 0, v3
	s_and_b64 exec, exec, vcc
	s_cbranch_execz .LBB105_11
; %bb.10:
	s_waitcnt lgkmcnt(0)
	v_add_f32_e32 v0, v0, v2
	v_bfe_u32 v2, v0, 16, 1
	s_movk_i32 s0, 0x7fff
	s_mul_i32 s7, s7, s9
	v_add3_u32 v2, v0, v2, s0
	v_cmp_o_f32_e32 vcc, v0, v0
	v_add_u32_e32 v0, s7, v1
	v_mov_b32_e32 v1, 0
	v_lshrrev_b32_e32 v2, 16, v2
	v_mov_b32_e32 v3, 0x7fc0
	v_lshlrev_b64 v[0:1], 1, v[0:1]
	v_cndmask_b32_e32 v2, v3, v2, vcc
	v_mov_b32_e32 v3, s3
	v_add_co_u32_e32 v0, vcc, s2, v0
	v_addc_co_u32_e32 v1, vcc, v3, v1, vcc
	global_store_short v[0:1], v2, off
.LBB105_11:
	s_endpgm
	.section	.rodata,"a",@progbits
	.p2align	6, 0x0
	.amdhsa_kernel _ZL13mul_mat_vec_qIN3c108BFloat16ELi256ELi32E10block_q4_KLi2EXadL_ZL17vec_dot_q4_K_q8_1PKvPK10block_q8_1RKiEEEvS4_S4_PT_iii
		.amdhsa_group_segment_fixed_size 0
		.amdhsa_private_segment_fixed_size 0
		.amdhsa_kernarg_size 296
		.amdhsa_user_sgpr_count 6
		.amdhsa_user_sgpr_private_segment_buffer 1
		.amdhsa_user_sgpr_dispatch_ptr 0
		.amdhsa_user_sgpr_queue_ptr 0
		.amdhsa_user_sgpr_kernarg_segment_ptr 1
		.amdhsa_user_sgpr_dispatch_id 0
		.amdhsa_user_sgpr_flat_scratch_init 0
		.amdhsa_user_sgpr_kernarg_preload_length 0
		.amdhsa_user_sgpr_kernarg_preload_offset 0
		.amdhsa_user_sgpr_private_segment_size 0
		.amdhsa_uses_dynamic_stack 0
		.amdhsa_system_sgpr_private_segment_wavefront_offset 0
		.amdhsa_system_sgpr_workgroup_id_x 1
		.amdhsa_system_sgpr_workgroup_id_y 1
		.amdhsa_system_sgpr_workgroup_id_z 0
		.amdhsa_system_sgpr_workgroup_info 0
		.amdhsa_system_vgpr_workitem_id 1
		.amdhsa_next_free_vgpr 36
		.amdhsa_next_free_sgpr 16
		.amdhsa_accum_offset 36
		.amdhsa_reserve_vcc 1
		.amdhsa_reserve_flat_scratch 0
		.amdhsa_float_round_mode_32 0
		.amdhsa_float_round_mode_16_64 0
		.amdhsa_float_denorm_mode_32 3
		.amdhsa_float_denorm_mode_16_64 3
		.amdhsa_dx10_clamp 1
		.amdhsa_ieee_mode 1
		.amdhsa_fp16_overflow 0
		.amdhsa_tg_split 0
		.amdhsa_exception_fp_ieee_invalid_op 0
		.amdhsa_exception_fp_denorm_src 0
		.amdhsa_exception_fp_ieee_div_zero 0
		.amdhsa_exception_fp_ieee_overflow 0
		.amdhsa_exception_fp_ieee_underflow 0
		.amdhsa_exception_fp_ieee_inexact 0
		.amdhsa_exception_int_div_zero 0
	.end_amdhsa_kernel
	.section	.text._ZL13mul_mat_vec_qIN3c108BFloat16ELi256ELi32E10block_q4_KLi2EXadL_ZL17vec_dot_q4_K_q8_1PKvPK10block_q8_1RKiEEEvS4_S4_PT_iii,"axG",@progbits,_ZL13mul_mat_vec_qIN3c108BFloat16ELi256ELi32E10block_q4_KLi2EXadL_ZL17vec_dot_q4_K_q8_1PKvPK10block_q8_1RKiEEEvS4_S4_PT_iii,comdat
.Lfunc_end105:
	.size	_ZL13mul_mat_vec_qIN3c108BFloat16ELi256ELi32E10block_q4_KLi2EXadL_ZL17vec_dot_q4_K_q8_1PKvPK10block_q8_1RKiEEEvS4_S4_PT_iii, .Lfunc_end105-_ZL13mul_mat_vec_qIN3c108BFloat16ELi256ELi32E10block_q4_KLi2EXadL_ZL17vec_dot_q4_K_q8_1PKvPK10block_q8_1RKiEEEvS4_S4_PT_iii
                                        ; -- End function
	.section	.AMDGPU.csdata,"",@progbits
; Kernel info:
; codeLenInByte = 1176
; NumSgprs: 20
; NumVgprs: 36
; NumAgprs: 0
; TotalNumVgprs: 36
; ScratchSize: 0
; MemoryBound: 0
; FloatMode: 240
; IeeeMode: 1
; LDSByteSize: 0 bytes/workgroup (compile time only)
; SGPRBlocks: 2
; VGPRBlocks: 4
; NumSGPRsForWavesPerEU: 20
; NumVGPRsForWavesPerEU: 36
; AccumOffset: 36
; Occupancy: 8
; WaveLimiterHint : 0
; COMPUTE_PGM_RSRC2:SCRATCH_EN: 0
; COMPUTE_PGM_RSRC2:USER_SGPR: 6
; COMPUTE_PGM_RSRC2:TRAP_HANDLER: 0
; COMPUTE_PGM_RSRC2:TGID_X_EN: 1
; COMPUTE_PGM_RSRC2:TGID_Y_EN: 1
; COMPUTE_PGM_RSRC2:TGID_Z_EN: 0
; COMPUTE_PGM_RSRC2:TIDIG_COMP_CNT: 1
; COMPUTE_PGM_RSRC3_GFX90A:ACCUM_OFFSET: 8
; COMPUTE_PGM_RSRC3_GFX90A:TG_SPLIT: 0
	.section	.text._ZL13mul_mat_vec_qIN3c108BFloat16ELi256ELi32E10block_q5_KLi2EXadL_ZL17vec_dot_q5_K_q8_1PKvPK10block_q8_1RKiEEEvS4_S4_PT_iii,"axG",@progbits,_ZL13mul_mat_vec_qIN3c108BFloat16ELi256ELi32E10block_q5_KLi2EXadL_ZL17vec_dot_q5_K_q8_1PKvPK10block_q8_1RKiEEEvS4_S4_PT_iii,comdat
	.globl	_ZL13mul_mat_vec_qIN3c108BFloat16ELi256ELi32E10block_q5_KLi2EXadL_ZL17vec_dot_q5_K_q8_1PKvPK10block_q8_1RKiEEEvS4_S4_PT_iii ; -- Begin function _ZL13mul_mat_vec_qIN3c108BFloat16ELi256ELi32E10block_q5_KLi2EXadL_ZL17vec_dot_q5_K_q8_1PKvPK10block_q8_1RKiEEEvS4_S4_PT_iii
	.p2align	8
	.type	_ZL13mul_mat_vec_qIN3c108BFloat16ELi256ELi32E10block_q5_KLi2EXadL_ZL17vec_dot_q5_K_q8_1PKvPK10block_q8_1RKiEEEvS4_S4_PT_iii,@function
_ZL13mul_mat_vec_qIN3c108BFloat16ELi256ELi32E10block_q5_KLi2EXadL_ZL17vec_dot_q5_K_q8_1PKvPK10block_q8_1RKiEEEvS4_S4_PT_iii: ; @_ZL13mul_mat_vec_qIN3c108BFloat16ELi256ELi32E10block_q5_KLi2EXadL_ZL17vec_dot_q5_K_q8_1PKvPK10block_q8_1RKiEEEvS4_S4_PT_iii
; %bb.0:
	s_load_dword s0, s[4:5], 0x34
	s_load_dwordx4 s[8:11], s[4:5], 0x18
	v_bfe_u32 v1, v0, 10, 10
	s_waitcnt lgkmcnt(0)
	s_lshr_b32 s0, s0, 16
	s_mul_i32 s6, s6, s0
	v_add_u32_e32 v1, s6, v1
	s_cmp_lt_u32 s7, s10
	v_cmp_gt_u32_e32 vcc, s9, v1
	s_cselect_b64 s[0:1], -1, 0
	s_and_b64 s[0:1], s[0:1], vcc
	s_and_saveexec_b64 s[2:3], s[0:1]
	s_cbranch_execz .LBB106_11
; %bb.1:
	s_load_dwordx2 s[2:3], s[4:5], 0x10
	s_ashr_i32 s0, s8, 31
	s_lshr_b32 s0, s0, 24
	s_add_i32 s0, s8, s0
	v_and_b32_e32 v3, 0x3ff, v0
	s_ashr_i32 s6, s0, 8
	v_lshrrev_b32_e32 v13, 4, v3
	v_cmp_gt_u32_e32 vcc, s6, v13
	v_mov_b32_e32 v12, 0
	s_and_saveexec_b64 s[10:11], vcc
	s_cbranch_execz .LBB106_9
; %bb.2:
	s_add_i32 s0, s8, 0x1ff
	s_load_dwordx4 s[12:15], s[4:5], 0x0
	s_ashr_i32 s1, s0, 31
	s_lshr_b32 s1, s1, 23
	s_add_i32 s0, s0, s1
	v_lshlrev_b32_e32 v0, 1, v3
	s_ashr_i32 s0, s0, 9
	v_bfe_u32 v8, v0, 3, 2
	s_mul_i32 s4, s7, s0
	v_and_b32_e32 v4, 30, v0
	v_and_b32_e32 v10, 3, v3
	v_lshlrev_b32_e32 v15, 1, v8
	v_lshlrev_b32_e32 v6, 3, v13
	v_mul_lo_u32 v14, v1, s6
	v_lshlrev_b32_e32 v0, 5, v8
	v_mov_b32_e32 v12, 0
	v_lshlrev_b32_e32 v2, 2, v10
	v_cmp_lt_u32_e32 vcc, 15, v4
	s_waitcnt lgkmcnt(0)
	v_mad_u64_u32 v[4:5], s[0:1], v15, 36, s[14:15]
	v_lshl_add_u32 v16, s4, 4, v6
	s_mov_b64 s[4:5], 0
	s_movk_i32 s8, 0xb0
	v_pk_mov_b32 v[6:7], s[12:13], s[12:13] op_sel:[0,1]
	v_lshlrev_b32_e32 v17, 1, v8
	s_mov_b32 s12, 0x5040100
	s_mov_b32 s13, 0x30303030
	v_lshlrev_b32_e32 v18, 2, v10
	s_mov_b32 s14, 0x10101010
	s_branch .LBB106_4
.LBB106_3:                              ;   in Loop: Header=BB106_4 Depth=1
	s_or_b64 exec, exec, s[0:1]
	v_mad_i64_i32 v[10:11], s[0:1], v16, 36, v[4:5]
	v_add_co_u32_e64 v24, s[0:1], v10, v18
	global_load_dword v26, v[10:11], off
	v_addc_co_u32_e64 v25, s[0:1], 0, v11, s[0:1]
	global_load_dword v27, v[8:9], off
	global_load_dword v28, v[24:25], off offset:20
	global_load_dword v29, v[24:25], off offset:40
	;; [unrolled: 1-line block ×5, first 2 shown]
	s_waitcnt vmcnt(7)
	v_ashrrev_i32_e32 v9, v15, v22
	v_ashrrev_i32_e32 v10, v15, v21
	v_and_b32_e32 v21, 0xf0f0f0f, v19
	v_lshrrev_b32_e32 v19, 4, v19
	v_lshlrev_b32_e32 v35, 4, v9
	v_and_b32_e32 v11, 0xf0f0f0f, v20
	v_mov_b32_e32 v22, 0
	v_mov_b32_e32 v24, 0
	v_lshrrev_b32_e32 v20, 4, v20
	v_lshlrev_b32_e32 v34, 4, v10
	v_and_b32_e32 v19, 0xf0f0f0f, v19
	v_lshlrev_b32_e32 v9, 3, v9
	v_and_or_b32 v21, v35, s14, v21
	v_pk_lshrrev_b16 v8, 8, v23 op_sel_hi:[0,1]
	v_and_b32_e32 v23, 0xff00ff, v23
	v_mov_b32_e32 v25, 0
	v_mov_b32_e32 v33, 0
	v_and_b32_e32 v20, 0xf0f0f0f, v20
	v_lshlrev_b32_e32 v10, 3, v10
	v_and_or_b32 v11, v34, s14, v11
	v_and_or_b32 v19, v9, s14, v19
	v_lshrrev_b32_e32 v37, 16, v23
	v_and_b32_e32 v23, 0xff, v23
	v_and_or_b32 v34, v10, s14, v20
	v_lshrrev_b32_e32 v36, 16, v8
	v_and_b32_e32 v8, 0xff, v8
	v_add_u32_e32 v13, 4, v13
	v_cmp_le_u32_e64 s[0:1], s6, v13
	s_or_b64 s[4:5], s[0:1], s[4:5]
	v_add_u32_e32 v16, 32, v16
	s_waitcnt vmcnt(5)
	v_cvt_f32_f16_sdwa v9, v27 dst_sel:DWORD dst_unused:UNUSED_PAD src0_sel:WORD_1
	s_waitcnt vmcnt(4)
	v_dot4c_i32_i8_e32 v22, v21, v28
	v_dot4c_i32_i8_e32 v24, 0x1010101, v28
	s_waitcnt vmcnt(2)
	v_dot4c_i32_i8_e32 v25, v19, v30
	v_dot4c_i32_i8_e32 v33, 0x1010101, v30
	;; [unrolled: 3-line block ×3, first 2 shown]
	v_dot4c_i32_i8_e32 v25, v34, v29
	v_dot4c_i32_i8_e32 v33, 0x1010101, v29
	v_mul_lo_u32 v11, v22, v23
	v_mul_lo_u32 v19, v24, v37
	v_cvt_f32_f16_e32 v10, v26
	v_mul_lo_u32 v8, v25, v8
	v_mul_lo_u32 v21, v33, v36
	v_cvt_f32_i32_e32 v23, v19
	v_cvt_f32_i32_e32 v22, v11
	v_cvt_f32_f16_e32 v20, v31
	v_cvt_f32_i32_e32 v25, v21
	v_cvt_f32_i32_e32 v24, v8
	v_cvt_f32_f16_e32 v8, v27
	v_pk_fma_f32 v[10:11], v[10:11], v[22:23], 0 op_sel_hi:[0,1,0]
	v_pk_fma_f32 v[10:11], v[20:21], v[24:25], v[10:11] op_sel_hi:[0,1,1]
	v_pk_mul_f32 v[8:9], v[10:11], v[8:9]
	v_sub_f32_e32 v8, v8, v9
	v_add_f32_e32 v12, v12, v8
	s_andn2_b64 exec, exec, s[4:5]
	s_cbranch_execz .LBB106_8
.LBB106_4:                              ; =>This Inner Loop Header: Depth=1
	v_add_u32_e32 v8, v14, v13
	v_mad_i64_i32 v[8:9], s[0:1], v8, s8, v[6:7]
	v_add_co_u32_e64 v10, s[0:1], v8, v2
	v_addc_co_u32_e64 v11, s[0:1], 0, v9, s[0:1]
	v_add_co_u32_e64 v24, s[0:1], v10, v0
	v_addc_co_u32_e64 v25, s[0:1], 0, v11, s[0:1]
	global_load_dword v19, v[24:25], off offset:64
	global_load_dword v21, v[10:11], off offset:16
	;; [unrolled: 1-line block ×4, first 2 shown]
	v_add_co_u32_e64 v10, s[0:1], v8, v17
	v_addc_co_u32_e64 v11, s[0:1], 0, v9, s[0:1]
                                        ; implicit-def: $vgpr23
	s_and_saveexec_b64 s[0:1], vcc
	s_xor_b64 s[0:1], exec, s[0:1]
	s_cbranch_execz .LBB106_6
; %bb.5:                                ;   in Loop: Header=BB106_4 Depth=1
	global_load_ushort v23, v[10:11], off
	global_load_ushort v24, v[10:11], off offset:8
	global_load_ushort v25, v[10:11], off offset:4
	s_waitcnt vmcnt(1)
	v_lshrrev_b16_e32 v10, 4, v24
	s_waitcnt vmcnt(0)
	v_perm_b32 v11, v25, v23, s12
	v_perm_b32 v10, v10, v24, s12
	v_and_b32_e32 v10, 0xf0f0f0f, v10
	v_pk_lshrrev_b16 v11, 2, v11 op_sel_hi:[0,1]
	v_and_or_b32 v23, v11, s13, v10
                                        ; implicit-def: $vgpr10_vgpr11
.LBB106_6:                              ;   in Loop: Header=BB106_4 Depth=1
	s_andn2_saveexec_b64 s[0:1], s[0:1]
	s_cbranch_execz .LBB106_3
; %bb.7:                                ;   in Loop: Header=BB106_4 Depth=1
	global_load_ushort v23, v[10:11], off offset:4
	global_load_ushort v24, v[10:11], off offset:8
	s_waitcnt vmcnt(0)
	v_perm_b32 v10, v24, v23, s12
	v_and_b32_e32 v23, 0x3f3f3f3f, v10
	s_branch .LBB106_3
.LBB106_8:
	s_or_b64 exec, exec, s[4:5]
.LBB106_9:
	s_or_b64 exec, exec, s[10:11]
	v_mbcnt_lo_u32_b32 v0, -1, 0
	v_mbcnt_hi_u32_b32 v2, -1, v0
	v_and_b32_e32 v0, 64, v2
	v_add_u32_e32 v4, 64, v0
	v_xor_b32_e32 v0, 32, v2
	v_cmp_lt_i32_e32 vcc, v0, v4
	v_cndmask_b32_e32 v0, v2, v0, vcc
	v_lshlrev_b32_e32 v0, 2, v0
	ds_bpermute_b32 v0, v0, v12
	v_xor_b32_e32 v5, 16, v2
	v_cmp_lt_i32_e32 vcc, v5, v4
	v_cndmask_b32_e32 v5, v2, v5, vcc
	v_lshlrev_b32_e32 v5, 2, v5
	s_waitcnt lgkmcnt(0)
	v_add_f32_e32 v0, v12, v0
	ds_bpermute_b32 v5, v5, v0
	v_xor_b32_e32 v6, 8, v2
	v_cmp_lt_i32_e32 vcc, v6, v4
	s_waitcnt lgkmcnt(0)
	v_add_f32_e32 v0, v0, v5
	v_cndmask_b32_e32 v5, v2, v6, vcc
	v_lshlrev_b32_e32 v5, 2, v5
	ds_bpermute_b32 v5, v5, v0
	v_xor_b32_e32 v6, 4, v2
	v_cmp_lt_i32_e32 vcc, v6, v4
	s_waitcnt lgkmcnt(0)
	v_add_f32_e32 v0, v0, v5
	v_cndmask_b32_e32 v5, v2, v6, vcc
	v_lshlrev_b32_e32 v5, 2, v5
	ds_bpermute_b32 v5, v5, v0
	v_xor_b32_e32 v6, 2, v2
	v_cmp_lt_i32_e32 vcc, v6, v4
	s_waitcnt lgkmcnt(0)
	v_add_f32_e32 v0, v0, v5
	v_cndmask_b32_e32 v5, v2, v6, vcc
	v_lshlrev_b32_e32 v5, 2, v5
	ds_bpermute_b32 v5, v5, v0
	v_xor_b32_e32 v6, 1, v2
	v_cmp_lt_i32_e32 vcc, v6, v4
	v_cndmask_b32_e32 v2, v2, v6, vcc
	v_lshlrev_b32_e32 v2, 2, v2
	s_waitcnt lgkmcnt(0)
	v_add_f32_e32 v0, v0, v5
	ds_bpermute_b32 v2, v2, v0
	v_cmp_eq_u32_e32 vcc, 0, v3
	s_and_b64 exec, exec, vcc
	s_cbranch_execz .LBB106_11
; %bb.10:
	s_waitcnt lgkmcnt(0)
	v_add_f32_e32 v0, v0, v2
	v_bfe_u32 v2, v0, 16, 1
	s_movk_i32 s0, 0x7fff
	s_mul_i32 s7, s7, s9
	v_add3_u32 v2, v0, v2, s0
	v_cmp_o_f32_e32 vcc, v0, v0
	v_add_u32_e32 v0, s7, v1
	v_mov_b32_e32 v1, 0
	v_lshrrev_b32_e32 v2, 16, v2
	v_mov_b32_e32 v3, 0x7fc0
	v_lshlrev_b64 v[0:1], 1, v[0:1]
	v_cndmask_b32_e32 v2, v3, v2, vcc
	v_mov_b32_e32 v3, s3
	v_add_co_u32_e32 v0, vcc, s2, v0
	v_addc_co_u32_e32 v1, vcc, v3, v1, vcc
	global_store_short v[0:1], v2, off
.LBB106_11:
	s_endpgm
	.section	.rodata,"a",@progbits
	.p2align	6, 0x0
	.amdhsa_kernel _ZL13mul_mat_vec_qIN3c108BFloat16ELi256ELi32E10block_q5_KLi2EXadL_ZL17vec_dot_q5_K_q8_1PKvPK10block_q8_1RKiEEEvS4_S4_PT_iii
		.amdhsa_group_segment_fixed_size 0
		.amdhsa_private_segment_fixed_size 0
		.amdhsa_kernarg_size 296
		.amdhsa_user_sgpr_count 6
		.amdhsa_user_sgpr_private_segment_buffer 1
		.amdhsa_user_sgpr_dispatch_ptr 0
		.amdhsa_user_sgpr_queue_ptr 0
		.amdhsa_user_sgpr_kernarg_segment_ptr 1
		.amdhsa_user_sgpr_dispatch_id 0
		.amdhsa_user_sgpr_flat_scratch_init 0
		.amdhsa_user_sgpr_kernarg_preload_length 0
		.amdhsa_user_sgpr_kernarg_preload_offset 0
		.amdhsa_user_sgpr_private_segment_size 0
		.amdhsa_uses_dynamic_stack 0
		.amdhsa_system_sgpr_private_segment_wavefront_offset 0
		.amdhsa_system_sgpr_workgroup_id_x 1
		.amdhsa_system_sgpr_workgroup_id_y 1
		.amdhsa_system_sgpr_workgroup_id_z 0
		.amdhsa_system_sgpr_workgroup_info 0
		.amdhsa_system_vgpr_workitem_id 1
		.amdhsa_next_free_vgpr 38
		.amdhsa_next_free_sgpr 16
		.amdhsa_accum_offset 40
		.amdhsa_reserve_vcc 1
		.amdhsa_reserve_flat_scratch 0
		.amdhsa_float_round_mode_32 0
		.amdhsa_float_round_mode_16_64 0
		.amdhsa_float_denorm_mode_32 3
		.amdhsa_float_denorm_mode_16_64 3
		.amdhsa_dx10_clamp 1
		.amdhsa_ieee_mode 1
		.amdhsa_fp16_overflow 0
		.amdhsa_tg_split 0
		.amdhsa_exception_fp_ieee_invalid_op 0
		.amdhsa_exception_fp_denorm_src 0
		.amdhsa_exception_fp_ieee_div_zero 0
		.amdhsa_exception_fp_ieee_overflow 0
		.amdhsa_exception_fp_ieee_underflow 0
		.amdhsa_exception_fp_ieee_inexact 0
		.amdhsa_exception_int_div_zero 0
	.end_amdhsa_kernel
	.section	.text._ZL13mul_mat_vec_qIN3c108BFloat16ELi256ELi32E10block_q5_KLi2EXadL_ZL17vec_dot_q5_K_q8_1PKvPK10block_q8_1RKiEEEvS4_S4_PT_iii,"axG",@progbits,_ZL13mul_mat_vec_qIN3c108BFloat16ELi256ELi32E10block_q5_KLi2EXadL_ZL17vec_dot_q5_K_q8_1PKvPK10block_q8_1RKiEEEvS4_S4_PT_iii,comdat
.Lfunc_end106:
	.size	_ZL13mul_mat_vec_qIN3c108BFloat16ELi256ELi32E10block_q5_KLi2EXadL_ZL17vec_dot_q5_K_q8_1PKvPK10block_q8_1RKiEEEvS4_S4_PT_iii, .Lfunc_end106-_ZL13mul_mat_vec_qIN3c108BFloat16ELi256ELi32E10block_q5_KLi2EXadL_ZL17vec_dot_q5_K_q8_1PKvPK10block_q8_1RKiEEEvS4_S4_PT_iii
                                        ; -- End function
	.section	.AMDGPU.csdata,"",@progbits
; Kernel info:
; codeLenInByte = 1256
; NumSgprs: 20
; NumVgprs: 38
; NumAgprs: 0
; TotalNumVgprs: 38
; ScratchSize: 0
; MemoryBound: 0
; FloatMode: 240
; IeeeMode: 1
; LDSByteSize: 0 bytes/workgroup (compile time only)
; SGPRBlocks: 2
; VGPRBlocks: 4
; NumSGPRsForWavesPerEU: 20
; NumVGPRsForWavesPerEU: 38
; AccumOffset: 40
; Occupancy: 8
; WaveLimiterHint : 0
; COMPUTE_PGM_RSRC2:SCRATCH_EN: 0
; COMPUTE_PGM_RSRC2:USER_SGPR: 6
; COMPUTE_PGM_RSRC2:TRAP_HANDLER: 0
; COMPUTE_PGM_RSRC2:TGID_X_EN: 1
; COMPUTE_PGM_RSRC2:TGID_Y_EN: 1
; COMPUTE_PGM_RSRC2:TGID_Z_EN: 0
; COMPUTE_PGM_RSRC2:TIDIG_COMP_CNT: 1
; COMPUTE_PGM_RSRC3_GFX90A:ACCUM_OFFSET: 9
; COMPUTE_PGM_RSRC3_GFX90A:TG_SPLIT: 0
	.section	.text._ZL13mul_mat_vec_qIN3c108BFloat16ELi256ELi32E10block_q6_KLi1EXadL_ZL17vec_dot_q6_K_q8_1PKvPK10block_q8_1RKiEEEvS4_S4_PT_iii,"axG",@progbits,_ZL13mul_mat_vec_qIN3c108BFloat16ELi256ELi32E10block_q6_KLi1EXadL_ZL17vec_dot_q6_K_q8_1PKvPK10block_q8_1RKiEEEvS4_S4_PT_iii,comdat
	.globl	_ZL13mul_mat_vec_qIN3c108BFloat16ELi256ELi32E10block_q6_KLi1EXadL_ZL17vec_dot_q6_K_q8_1PKvPK10block_q8_1RKiEEEvS4_S4_PT_iii ; -- Begin function _ZL13mul_mat_vec_qIN3c108BFloat16ELi256ELi32E10block_q6_KLi1EXadL_ZL17vec_dot_q6_K_q8_1PKvPK10block_q8_1RKiEEEvS4_S4_PT_iii
	.p2align	8
	.type	_ZL13mul_mat_vec_qIN3c108BFloat16ELi256ELi32E10block_q6_KLi1EXadL_ZL17vec_dot_q6_K_q8_1PKvPK10block_q8_1RKiEEEvS4_S4_PT_iii,@function
_ZL13mul_mat_vec_qIN3c108BFloat16ELi256ELi32E10block_q6_KLi1EXadL_ZL17vec_dot_q6_K_q8_1PKvPK10block_q8_1RKiEEEvS4_S4_PT_iii: ; @_ZL13mul_mat_vec_qIN3c108BFloat16ELi256ELi32E10block_q6_KLi1EXadL_ZL17vec_dot_q6_K_q8_1PKvPK10block_q8_1RKiEEEvS4_S4_PT_iii
; %bb.0:
	s_load_dword s8, s[4:5], 0x34
	s_load_dwordx4 s[0:3], s[4:5], 0x18
	v_bfe_u32 v1, v0, 10, 10
	s_waitcnt lgkmcnt(0)
	s_lshr_b32 s3, s8, 16
	s_mul_i32 s6, s6, s3
	v_add_u32_e32 v1, s6, v1
	s_cmp_lt_u32 s7, s2
	v_cmp_gt_u32_e32 vcc, s1, v1
	s_cselect_b64 s[2:3], -1, 0
	s_and_b64 s[2:3], s[2:3], vcc
	s_and_saveexec_b64 s[8:9], s[2:3]
	s_cbranch_execz .LBB107_7
; %bb.1:
	s_load_dwordx2 s[2:3], s[4:5], 0x10
	s_ashr_i32 s6, s0, 31
	s_lshr_b32 s6, s6, 24
	s_add_i32 s6, s0, s6
	v_and_b32_e32 v3, 0x3ff, v0
	s_ashr_i32 s6, s6, 8
	v_lshrrev_b32_e32 v5, 5, v3
	v_cmp_gt_u32_e32 vcc, s6, v5
	v_mov_b32_e32 v9, 0
	s_and_saveexec_b64 s[8:9], vcc
	s_cbranch_execz .LBB107_5
; %bb.2:
	v_and_b32_e32 v0, 31, v3
	v_add_u32_e32 v2, 0xf0, v0
	v_cmp_gt_u32_e32 vcc, 16, v0
	v_cndmask_b32_e32 v8, v2, v0, vcc
	s_load_dwordx4 s[12:15], s[4:5], 0x0
	s_addk_i32 s0, 0x1ff
	v_and_b32_e32 v2, 0xf8, v8
	s_ashr_i32 s4, s0, 31
	v_cmp_ne_u32_e32 vcc, 0, v2
	s_lshr_b32 s4, s4, 23
	v_cndmask_b32_e64 v10, 0, 1, vcc
	v_cmp_lt_u32_e32 vcc, 15, v0
	s_add_i32 s0, s0, s4
	v_cndmask_b32_e64 v2, 0, 1, vcc
	s_ashr_i32 s0, s0, 9
	v_lshl_or_b32 v6, v2, 2, v10
	v_lshlrev_b32_e32 v11, 3, v2
	v_and_b32_e32 v4, 7, v3
	s_mul_i32 s0, s7, s0
	v_or_b32_e32 v2, v11, v4
	s_waitcnt lgkmcnt(0)
	v_mad_u64_u32 v[6:7], s[4:5], v6, 36, s[14:15]
	v_lshlrev_b32_e32 v13, 1, v10
	v_bfe_u32 v8, v8, 2, 6
	v_lshlrev_b32_e32 v10, 3, v5
	v_mul_lo_u32 v12, v1, s6
	v_lshlrev_b32_e32 v0, 2, v0
	v_mov_b32_e32 v9, 0
	v_lshlrev_b32_e32 v2, 2, v2
	v_lshlrev_b32_e32 v4, 2, v4
	v_add_u32_e32 v8, v8, v11
	v_lshl_add_u32 v14, s0, 4, v10
	s_mov_b64 s[4:5], 0
	s_movk_i32 s0, 0xd2
	v_pk_mov_b32 v[10:11], s[12:13], s[12:13] op_sel:[0,1]
	s_mov_b32 s10, 0xf0f0f0f
	s_mov_b32 s11, 0x30303030
	s_movk_i32 s12, 0x3f00
	s_movk_i32 s13, 0xe000
	v_mov_b32_e32 v15, 8
.LBB107_3:                              ; =>This Inner Loop Header: Depth=1
	v_mad_i64_i32 v[16:17], s[14:15], v14, 36, v[6:7]
	v_add_u32_e32 v18, v12, v5
	v_add_co_u32_e32 v20, vcc, v16, v4
	v_mad_i64_i32 v[18:19], s[14:15], v18, s0, v[10:11]
	v_addc_co_u32_e32 v21, vcc, 0, v17, vcc
	v_add_co_u32_e32 v22, vcc, v18, v0
	v_addc_co_u32_e32 v23, vcc, 0, v19, vcc
	v_add_co_u32_e32 v24, vcc, v18, v2
	v_addc_co_u32_e32 v25, vcc, 0, v19, vcc
	global_load_dword v26, v[24:25], off offset:128
	global_load_dword v27, v[22:23], off
	global_load_dword v28, v[20:21], off offset:4
	global_load_dword v29, v[20:21], off offset:76
	v_add_co_u32_e32 v20, vcc, v18, v8
	v_addc_co_u32_e32 v21, vcc, 0, v19, vcc
	global_load_sbyte v22, v[20:21], off offset:192
	global_load_sbyte v23, v[20:21], off offset:196
	global_load_dword v24, v[16:17], off
	global_load_dword v25, v[16:17], off offset:72
	global_load_ushort v30, v[18:19], off offset:208
	v_mov_b32_e32 v16, 0
	v_mov_b32_e32 v17, 0
	v_add_u32_e32 v5, 2, v5
	v_cmp_le_u32_e32 vcc, s6, v5
	v_add_u32_e32 v14, 16, v14
	s_or_b64 s[4:5], vcc, s[4:5]
	s_waitcnt vmcnt(8)
	v_ashrrev_i32_e32 v18, v13, v26
	s_waitcnt vmcnt(7)
	v_and_b32_e32 v19, 0xf0f0f0f, v27
	v_lshlrev_b32_e32 v21, 4, v18
	v_lshrrev_b32_e32 v20, 4, v27
	v_and_b32_e32 v18, 0x30303030, v18
	v_and_or_b32 v19, v21, s11, v19
	v_and_or_b32 v18, v20, s10, v18
	v_and_b32_e32 v20, 0x3f00, v19
	v_lshlrev_b16_e32 v21, 8, v19
	v_and_b32_sdwa v26, v19, s12 dst_sel:DWORD dst_unused:UNUSED_PAD src0_sel:WORD_1 src1_sel:DWORD
	v_lshlrev_b16_sdwa v19, v15, v19 dst_sel:DWORD dst_unused:UNUSED_PAD src0_sel:DWORD src1_sel:WORD_1
	v_and_b32_e32 v27, 0x3f00, v18
	v_lshlrev_b16_e32 v31, 8, v18
	v_and_b32_sdwa v32, v18, s12 dst_sel:DWORD dst_unused:UNUSED_PAD src0_sel:WORD_1 src1_sel:DWORD
	v_lshlrev_b16_sdwa v18, v15, v18 dst_sel:DWORD dst_unused:UNUSED_PAD src0_sel:DWORD src1_sel:WORD_1
	v_add_u16_e32 v21, 0xe000, v21
	v_add_u16_e32 v19, 0xe000, v19
	;; [unrolled: 1-line block ×4, first 2 shown]
	v_or_b32_sdwa v20, v20, v21 dst_sel:DWORD dst_unused:UNUSED_PAD src0_sel:DWORD src1_sel:BYTE_1
	v_or_b32_sdwa v19, v26, v19 dst_sel:DWORD dst_unused:UNUSED_PAD src0_sel:DWORD src1_sel:BYTE_1
	;; [unrolled: 1-line block ×4, first 2 shown]
	v_add_u16_e32 v20, 0xe000, v20
	v_add_u16_sdwa v19, v19, s13 dst_sel:WORD_1 dst_unused:UNUSED_PAD src0_sel:DWORD src1_sel:DWORD
	v_add_u16_e32 v21, 0xe000, v21
	v_add_u16_sdwa v18, v18, s13 dst_sel:WORD_1 dst_unused:UNUSED_PAD src0_sel:DWORD src1_sel:DWORD
	v_or_b32_e32 v19, v20, v19
	v_or_b32_e32 v18, v21, v18
	s_waitcnt vmcnt(6)
	v_dot4c_i32_i8_e32 v16, v19, v28
	s_waitcnt vmcnt(5)
	v_dot4c_i32_i8_e32 v17, v18, v29
	s_waitcnt vmcnt(4)
	v_mul_lo_u32 v16, v16, v22
	s_waitcnt vmcnt(3)
	v_mul_lo_u32 v17, v17, v23
	v_cvt_f32_i32_e32 v16, v16
	v_cvt_f32_i32_e32 v17, v17
	s_waitcnt vmcnt(2)
	v_fma_mix_f32 v16, v24, v16, 0 op_sel_hi:[1,0,0]
	s_waitcnt vmcnt(1)
	v_fma_mix_f32 v16, v25, v17, v16 op_sel_hi:[1,0,0]
	;; [unrolled: 2-line block ×3, first 2 shown]
	s_andn2_b64 exec, exec, s[4:5]
	s_cbranch_execnz .LBB107_3
; %bb.4:
	s_or_b64 exec, exec, s[4:5]
.LBB107_5:
	s_or_b64 exec, exec, s[8:9]
	v_mbcnt_lo_u32_b32 v0, -1, 0
	v_mbcnt_hi_u32_b32 v2, -1, v0
	v_and_b32_e32 v0, 64, v2
	v_add_u32_e32 v4, 64, v0
	v_xor_b32_e32 v0, 32, v2
	v_cmp_lt_i32_e32 vcc, v0, v4
	v_cndmask_b32_e32 v0, v2, v0, vcc
	v_lshlrev_b32_e32 v0, 2, v0
	ds_bpermute_b32 v0, v0, v9
	v_xor_b32_e32 v5, 16, v2
	v_cmp_lt_i32_e32 vcc, v5, v4
	v_cndmask_b32_e32 v5, v2, v5, vcc
	v_lshlrev_b32_e32 v5, 2, v5
	s_waitcnt lgkmcnt(0)
	v_add_f32_e32 v0, v9, v0
	ds_bpermute_b32 v5, v5, v0
	v_xor_b32_e32 v6, 8, v2
	v_cmp_lt_i32_e32 vcc, v6, v4
	s_waitcnt lgkmcnt(0)
	v_add_f32_e32 v0, v0, v5
	v_cndmask_b32_e32 v5, v2, v6, vcc
	v_lshlrev_b32_e32 v5, 2, v5
	ds_bpermute_b32 v5, v5, v0
	v_xor_b32_e32 v6, 4, v2
	v_cmp_lt_i32_e32 vcc, v6, v4
	s_waitcnt lgkmcnt(0)
	v_add_f32_e32 v0, v0, v5
	v_cndmask_b32_e32 v5, v2, v6, vcc
	v_lshlrev_b32_e32 v5, 2, v5
	;; [unrolled: 7-line block ×3, first 2 shown]
	ds_bpermute_b32 v5, v5, v0
	v_xor_b32_e32 v6, 1, v2
	v_cmp_lt_i32_e32 vcc, v6, v4
	v_cndmask_b32_e32 v2, v2, v6, vcc
	v_lshlrev_b32_e32 v2, 2, v2
	s_waitcnt lgkmcnt(0)
	v_add_f32_e32 v0, v0, v5
	ds_bpermute_b32 v2, v2, v0
	v_cmp_eq_u32_e32 vcc, 0, v3
	s_and_b64 exec, exec, vcc
	s_cbranch_execz .LBB107_7
; %bb.6:
	s_waitcnt lgkmcnt(0)
	v_add_f32_e32 v0, v0, v2
	v_bfe_u32 v2, v0, 16, 1
	s_movk_i32 s0, 0x7fff
	s_mul_i32 s7, s7, s1
	v_add3_u32 v2, v0, v2, s0
	v_cmp_o_f32_e32 vcc, v0, v0
	v_add_u32_e32 v0, s7, v1
	v_mov_b32_e32 v1, 0
	v_lshrrev_b32_e32 v2, 16, v2
	v_mov_b32_e32 v3, 0x7fc0
	v_lshlrev_b64 v[0:1], 1, v[0:1]
	v_cndmask_b32_e32 v2, v3, v2, vcc
	v_mov_b32_e32 v3, s3
	v_add_co_u32_e32 v0, vcc, s2, v0
	v_addc_co_u32_e32 v1, vcc, v3, v1, vcc
	global_store_short v[0:1], v2, off
.LBB107_7:
	s_endpgm
	.section	.rodata,"a",@progbits
	.p2align	6, 0x0
	.amdhsa_kernel _ZL13mul_mat_vec_qIN3c108BFloat16ELi256ELi32E10block_q6_KLi1EXadL_ZL17vec_dot_q6_K_q8_1PKvPK10block_q8_1RKiEEEvS4_S4_PT_iii
		.amdhsa_group_segment_fixed_size 0
		.amdhsa_private_segment_fixed_size 0
		.amdhsa_kernarg_size 296
		.amdhsa_user_sgpr_count 6
		.amdhsa_user_sgpr_private_segment_buffer 1
		.amdhsa_user_sgpr_dispatch_ptr 0
		.amdhsa_user_sgpr_queue_ptr 0
		.amdhsa_user_sgpr_kernarg_segment_ptr 1
		.amdhsa_user_sgpr_dispatch_id 0
		.amdhsa_user_sgpr_flat_scratch_init 0
		.amdhsa_user_sgpr_kernarg_preload_length 0
		.amdhsa_user_sgpr_kernarg_preload_offset 0
		.amdhsa_user_sgpr_private_segment_size 0
		.amdhsa_uses_dynamic_stack 0
		.amdhsa_system_sgpr_private_segment_wavefront_offset 0
		.amdhsa_system_sgpr_workgroup_id_x 1
		.amdhsa_system_sgpr_workgroup_id_y 1
		.amdhsa_system_sgpr_workgroup_id_z 0
		.amdhsa_system_sgpr_workgroup_info 0
		.amdhsa_system_vgpr_workitem_id 1
		.amdhsa_next_free_vgpr 33
		.amdhsa_next_free_sgpr 16
		.amdhsa_accum_offset 36
		.amdhsa_reserve_vcc 1
		.amdhsa_reserve_flat_scratch 0
		.amdhsa_float_round_mode_32 0
		.amdhsa_float_round_mode_16_64 0
		.amdhsa_float_denorm_mode_32 3
		.amdhsa_float_denorm_mode_16_64 3
		.amdhsa_dx10_clamp 1
		.amdhsa_ieee_mode 1
		.amdhsa_fp16_overflow 0
		.amdhsa_tg_split 0
		.amdhsa_exception_fp_ieee_invalid_op 0
		.amdhsa_exception_fp_denorm_src 0
		.amdhsa_exception_fp_ieee_div_zero 0
		.amdhsa_exception_fp_ieee_overflow 0
		.amdhsa_exception_fp_ieee_underflow 0
		.amdhsa_exception_fp_ieee_inexact 0
		.amdhsa_exception_int_div_zero 0
	.end_amdhsa_kernel
	.section	.text._ZL13mul_mat_vec_qIN3c108BFloat16ELi256ELi32E10block_q6_KLi1EXadL_ZL17vec_dot_q6_K_q8_1PKvPK10block_q8_1RKiEEEvS4_S4_PT_iii,"axG",@progbits,_ZL13mul_mat_vec_qIN3c108BFloat16ELi256ELi32E10block_q6_KLi1EXadL_ZL17vec_dot_q6_K_q8_1PKvPK10block_q8_1RKiEEEvS4_S4_PT_iii,comdat
.Lfunc_end107:
	.size	_ZL13mul_mat_vec_qIN3c108BFloat16ELi256ELi32E10block_q6_KLi1EXadL_ZL17vec_dot_q6_K_q8_1PKvPK10block_q8_1RKiEEEvS4_S4_PT_iii, .Lfunc_end107-_ZL13mul_mat_vec_qIN3c108BFloat16ELi256ELi32E10block_q6_KLi1EXadL_ZL17vec_dot_q6_K_q8_1PKvPK10block_q8_1RKiEEEvS4_S4_PT_iii
                                        ; -- End function
	.section	.AMDGPU.csdata,"",@progbits
; Kernel info:
; codeLenInByte = 1100
; NumSgprs: 20
; NumVgprs: 33
; NumAgprs: 0
; TotalNumVgprs: 33
; ScratchSize: 0
; MemoryBound: 0
; FloatMode: 240
; IeeeMode: 1
; LDSByteSize: 0 bytes/workgroup (compile time only)
; SGPRBlocks: 2
; VGPRBlocks: 4
; NumSGPRsForWavesPerEU: 20
; NumVGPRsForWavesPerEU: 33
; AccumOffset: 36
; Occupancy: 8
; WaveLimiterHint : 0
; COMPUTE_PGM_RSRC2:SCRATCH_EN: 0
; COMPUTE_PGM_RSRC2:USER_SGPR: 6
; COMPUTE_PGM_RSRC2:TRAP_HANDLER: 0
; COMPUTE_PGM_RSRC2:TGID_X_EN: 1
; COMPUTE_PGM_RSRC2:TGID_Y_EN: 1
; COMPUTE_PGM_RSRC2:TGID_Z_EN: 0
; COMPUTE_PGM_RSRC2:TIDIG_COMP_CNT: 1
; COMPUTE_PGM_RSRC3_GFX90A:ACCUM_OFFSET: 8
; COMPUTE_PGM_RSRC3_GFX90A:TG_SPLIT: 0
	.section	.text._ZL13mul_mat_vec_qIN3c108BFloat16ELi256ELi8E13block_iq2_xxsLi1EXadL_ZL20vec_dot_iq2_xxs_q8_1PKvPK10block_q8_1RKiEEEvS4_S4_PT_iii,"axG",@progbits,_ZL13mul_mat_vec_qIN3c108BFloat16ELi256ELi8E13block_iq2_xxsLi1EXadL_ZL20vec_dot_iq2_xxs_q8_1PKvPK10block_q8_1RKiEEEvS4_S4_PT_iii,comdat
	.globl	_ZL13mul_mat_vec_qIN3c108BFloat16ELi256ELi8E13block_iq2_xxsLi1EXadL_ZL20vec_dot_iq2_xxs_q8_1PKvPK10block_q8_1RKiEEEvS4_S4_PT_iii ; -- Begin function _ZL13mul_mat_vec_qIN3c108BFloat16ELi256ELi8E13block_iq2_xxsLi1EXadL_ZL20vec_dot_iq2_xxs_q8_1PKvPK10block_q8_1RKiEEEvS4_S4_PT_iii
	.p2align	8
	.type	_ZL13mul_mat_vec_qIN3c108BFloat16ELi256ELi8E13block_iq2_xxsLi1EXadL_ZL20vec_dot_iq2_xxs_q8_1PKvPK10block_q8_1RKiEEEvS4_S4_PT_iii,@function
_ZL13mul_mat_vec_qIN3c108BFloat16ELi256ELi8E13block_iq2_xxsLi1EXadL_ZL20vec_dot_iq2_xxs_q8_1PKvPK10block_q8_1RKiEEEvS4_S4_PT_iii: ; @_ZL13mul_mat_vec_qIN3c108BFloat16ELi256ELi8E13block_iq2_xxsLi1EXadL_ZL20vec_dot_iq2_xxs_q8_1PKvPK10block_q8_1RKiEEEvS4_S4_PT_iii
; %bb.0:
	s_load_dword s8, s[4:5], 0x34
	s_load_dwordx4 s[0:3], s[4:5], 0x18
	v_bfe_u32 v1, v0, 10, 10
	s_waitcnt lgkmcnt(0)
	s_lshr_b32 s3, s8, 16
	s_mul_i32 s6, s6, s3
	v_add_u32_e32 v8, s6, v1
	s_cmp_lt_u32 s7, s2
	v_cmp_gt_u32_e32 vcc, s1, v8
	s_cselect_b64 s[2:3], -1, 0
	s_and_b64 s[2:3], s[2:3], vcc
	s_and_saveexec_b64 s[8:9], s[2:3]
	s_cbranch_execz .LBB108_7
; %bb.1:
	s_load_dwordx2 s[2:3], s[4:5], 0x10
	s_ashr_i32 s6, s0, 31
	s_lshr_b32 s6, s6, 24
	s_add_i32 s6, s0, s6
	v_and_b32_e32 v9, 0x3ff, v0
	s_ashr_i32 s6, s6, 8
	v_lshrrev_b32_e32 v11, 3, v9
	v_cmp_gt_u32_e32 vcc, s6, v11
	v_mov_b32_e32 v10, 0
	s_and_saveexec_b64 s[8:9], vcc
	s_cbranch_execz .LBB108_5
; %bb.2:
	s_load_dwordx4 s[12:15], s[4:5], 0x0
	s_addk_i32 s0, 0x1ff
	s_ashr_i32 s4, s0, 31
	s_lshr_b32 s4, s4, 23
	s_add_i32 s0, s0, s4
	s_ashr_i32 s0, s0, 9
	v_and_b32_e32 v0, 7, v9
	s_mul_i32 s0, s7, s0
	v_lshlrev_b32_e32 v4, 2, v0
	s_waitcnt lgkmcnt(0)
	v_mad_u64_u32 v[0:1], s[4:5], v0, 36, s[14:15]
	v_lshlrev_b32_e32 v2, 3, v11
	v_mul_lo_u32 v12, v8, s6
	v_mov_b32_e32 v10, 0
	v_lshl_add_u32 v13, s0, 4, v2
	s_mov_b64 s[4:5], 0
	s_movk_i32 s0, 0x42
	v_pk_mov_b32 v[2:3], s[12:13], s[12:13] op_sel:[0,1]
	v_lshlrev_b32_e32 v14, 1, v4
	s_mov_b32 s14, 0xffff
	v_mov_b32_e32 v15, 3
	s_getpc_b64 s[12:13]
	s_add_u32 s12, s12, _ZL12ksigns_iq2xs@rel32@lo+4
	s_addc_u32 s13, s13, _ZL12ksigns_iq2xs@rel32@hi+12
.LBB108_3:                              ; =>This Inner Loop Header: Depth=1
	v_add_u32_e32 v4, v12, v11
	v_mad_i64_i32 v[6:7], s[10:11], v4, s0, v[2:3]
	v_add_co_u32_e32 v18, vcc, v6, v14
	v_addc_co_u32_e32 v19, vcc, 0, v7, vcc
	global_load_dword v16, v[18:19], off offset:6
	global_load_dword v24, v[18:19], off offset:2
	v_mad_i64_i32 v[4:5], s[10:11], v13, 36, v[0:1]
	s_getpc_b64 s[10:11]
	s_add_u32 s10, s10, _ZL11iq2xxs_grid@rel32@lo+4
	s_addc_u32 s11, s11, _ZL11iq2xxs_grid@rel32@hi+12
	v_add_u32_e32 v11, 8, v11
	v_add_u32_e32 v13, 64, v13
	s_waitcnt vmcnt(1)
	v_and_b32_e32 v26, 0x7f, v16
	s_waitcnt vmcnt(0)
	v_lshlrev_b32_sdwa v25, v15, v24 dst_sel:DWORD dst_unused:UNUSED_PAD src0_sel:DWORD src1_sel:BYTE_0
	global_load_sbyte v27, v26, s[12:13]
	global_load_dwordx4 v[18:21], v[4:5], off offset:4
	global_load_dwordx2 v[22:23], v25, s[10:11]
	v_and_b32_e32 v17, 0xffff0000, v16
	v_and_or_b32 v17, v16, s14, v17
	v_bfe_u32 v17, v17, 14, 7
	s_waitcnt vmcnt(2)
	v_and_b32_e32 v28, 1, v27
	v_cmp_eq_u16_e32 vcc, 0, v28
	s_waitcnt vmcnt(0)
	v_mul_i32_i24_sdwa v25, v22, sext(v18) dst_sel:DWORD dst_unused:UNUSED_PAD src0_sel:BYTE_0 src1_sel:BYTE_0
	v_sub_u32_e32 v28, 0, v25
	v_cndmask_b32_e32 v25, v28, v25, vcc
	v_mul_i32_i24_sdwa v28, v22, sext(v18) dst_sel:DWORD dst_unused:UNUSED_PAD src0_sel:BYTE_1 src1_sel:BYTE_1
	v_and_b32_e32 v29, 2, v27
	v_cmp_eq_u16_e32 vcc, 0, v29
	v_sub_u32_e32 v29, 0, v28
	v_cndmask_b32_e32 v28, v29, v28, vcc
	v_add_u32_e32 v25, v28, v25
	v_mul_i32_i24_sdwa v28, v22, sext(v18) dst_sel:DWORD dst_unused:UNUSED_PAD src0_sel:BYTE_2 src1_sel:BYTE_2
	v_and_b32_e32 v29, 4, v27
	v_cmp_eq_u16_e32 vcc, 0, v29
	v_sub_u32_e32 v29, 0, v28
	v_mul_i32_i24_sdwa v18, v22, sext(v18) dst_sel:DWORD dst_unused:UNUSED_PAD src0_sel:BYTE_3 src1_sel:BYTE_3
	v_and_b32_e32 v22, 8, v27
	v_cndmask_b32_e32 v28, v29, v28, vcc
	v_cmp_eq_u16_e32 vcc, 0, v22
	v_sub_u32_e32 v22, 0, v18
	v_cndmask_b32_e32 v18, v22, v18, vcc
	v_add3_u32 v18, v25, v28, v18
	v_mul_i32_i24_sdwa v22, v23, sext(v19) dst_sel:DWORD dst_unused:UNUSED_PAD src0_sel:BYTE_0 src1_sel:BYTE_0
	v_and_b32_e32 v25, 16, v27
	v_cmp_eq_u16_e32 vcc, 0, v25
	v_sub_u32_e32 v25, 0, v22
	v_cndmask_b32_e32 v22, v25, v22, vcc
	v_mul_i32_i24_sdwa v25, v23, sext(v19) dst_sel:DWORD dst_unused:UNUSED_PAD src0_sel:BYTE_1 src1_sel:BYTE_1
	v_and_b32_e32 v28, 32, v27
	v_cmp_eq_u16_e32 vcc, 0, v28
	v_sub_u32_e32 v28, 0, v25
	v_cndmask_b32_e32 v25, v28, v25, vcc
	v_add3_u32 v18, v18, v22, v25
	v_mul_i32_i24_sdwa v22, v23, sext(v19) dst_sel:DWORD dst_unused:UNUSED_PAD src0_sel:BYTE_2 src1_sel:BYTE_2
	v_cmp_gt_u32_e32 vcc, 64, v26
	v_sub_u32_e32 v25, 0, v22
	v_mul_i32_i24_sdwa v19, v23, sext(v19) dst_sel:DWORD dst_unused:UNUSED_PAD src0_sel:BYTE_3 src1_sel:BYTE_3
	v_cndmask_b32_e32 v22, v25, v22, vcc
	v_sub_u32_e32 v23, 0, v19
	v_cmp_gt_i16_e32 vcc, 0, v27
	v_cndmask_b32_e32 v19, v19, v23, vcc
	v_bfe_u32 v25, v16, 7, 7
	v_add3_u32 v22, v18, v22, v19
	v_lshlrev_b32_sdwa v23, v15, v24 dst_sel:DWORD dst_unused:UNUSED_PAD src0_sel:DWORD src1_sel:BYTE_1
	global_load_sbyte v26, v25, s[12:13]
	global_load_dwordx2 v[18:19], v23, s[10:11]
	s_waitcnt vmcnt(1)
	v_and_b32_e32 v27, 1, v26
	s_waitcnt vmcnt(0)
	v_mul_i32_i24_sdwa v23, v18, sext(v20) dst_sel:DWORD dst_unused:UNUSED_PAD src0_sel:BYTE_0 src1_sel:BYTE_0
	v_cmp_eq_u16_e32 vcc, 0, v27
	v_sub_u32_e32 v27, 0, v23
	v_cndmask_b32_e32 v23, v27, v23, vcc
	v_mul_i32_i24_sdwa v27, v18, sext(v20) dst_sel:DWORD dst_unused:UNUSED_PAD src0_sel:BYTE_1 src1_sel:BYTE_1
	v_and_b32_e32 v28, 2, v26
	v_cmp_eq_u16_e32 vcc, 0, v28
	v_sub_u32_e32 v28, 0, v27
	v_cndmask_b32_e32 v27, v28, v27, vcc
	v_add3_u32 v22, v22, v23, v27
	v_mul_i32_i24_sdwa v23, v18, sext(v20) dst_sel:DWORD dst_unused:UNUSED_PAD src0_sel:BYTE_2 src1_sel:BYTE_2
	v_and_b32_e32 v27, 4, v26
	v_cmp_eq_u16_e32 vcc, 0, v27
	v_sub_u32_e32 v27, 0, v23
	v_mul_i32_i24_sdwa v18, v18, sext(v20) dst_sel:DWORD dst_unused:UNUSED_PAD src0_sel:BYTE_3 src1_sel:BYTE_3
	v_and_b32_e32 v20, 8, v26
	v_cndmask_b32_e32 v23, v27, v23, vcc
	v_cmp_eq_u16_e32 vcc, 0, v20
	v_sub_u32_e32 v20, 0, v18
	v_cndmask_b32_e32 v18, v20, v18, vcc
	v_add3_u32 v18, v22, v23, v18
	v_mul_i32_i24_sdwa v20, v19, sext(v21) dst_sel:DWORD dst_unused:UNUSED_PAD src0_sel:BYTE_0 src1_sel:BYTE_0
	v_and_b32_e32 v22, 16, v26
	v_cmp_eq_u16_e32 vcc, 0, v22
	v_sub_u32_e32 v22, 0, v20
	v_cndmask_b32_e32 v20, v22, v20, vcc
	v_mul_i32_i24_sdwa v22, v19, sext(v21) dst_sel:DWORD dst_unused:UNUSED_PAD src0_sel:BYTE_1 src1_sel:BYTE_1
	v_and_b32_e32 v23, 32, v26
	v_cmp_eq_u16_e32 vcc, 0, v23
	v_sub_u32_e32 v23, 0, v22
	v_cndmask_b32_e32 v22, v23, v22, vcc
	v_add3_u32 v18, v18, v20, v22
	v_mul_i32_i24_sdwa v20, v19, sext(v21) dst_sel:DWORD dst_unused:UNUSED_PAD src0_sel:BYTE_2 src1_sel:BYTE_2
	v_cmp_gt_u32_e32 vcc, 64, v25
	v_sub_u32_e32 v22, 0, v20
	v_mul_i32_i24_sdwa v19, v19, sext(v21) dst_sel:DWORD dst_unused:UNUSED_PAD src0_sel:BYTE_3 src1_sel:BYTE_3
	v_cndmask_b32_e32 v20, v22, v20, vcc
	v_sub_u32_e32 v21, 0, v19
	v_cmp_gt_i16_e32 vcc, 0, v26
	v_cndmask_b32_e32 v19, v19, v21, vcc
	v_add3_u32 v25, v18, v20, v19
	v_lshlrev_b32_sdwa v26, v15, v24 dst_sel:DWORD dst_unused:UNUSED_PAD src0_sel:DWORD src1_sel:BYTE_2
	global_load_sbyte v27, v17, s[12:13]
	global_load_dwordx4 v[18:21], v[4:5], off offset:20
	global_load_dwordx2 v[22:23], v26, s[10:11]
	s_waitcnt vmcnt(2)
	v_and_b32_e32 v28, 1, v27
	v_cmp_eq_u16_e32 vcc, 0, v28
	s_waitcnt vmcnt(0)
	v_mul_i32_i24_sdwa v26, v22, sext(v18) dst_sel:DWORD dst_unused:UNUSED_PAD src0_sel:BYTE_0 src1_sel:BYTE_0
	v_sub_u32_e32 v28, 0, v26
	v_cndmask_b32_e32 v26, v28, v26, vcc
	v_mul_i32_i24_sdwa v28, v22, sext(v18) dst_sel:DWORD dst_unused:UNUSED_PAD src0_sel:BYTE_1 src1_sel:BYTE_1
	v_and_b32_e32 v29, 2, v27
	v_cmp_eq_u16_e32 vcc, 0, v29
	v_sub_u32_e32 v29, 0, v28
	v_cndmask_b32_e32 v28, v29, v28, vcc
	v_add3_u32 v25, v25, v26, v28
	v_mul_i32_i24_sdwa v26, v22, sext(v18) dst_sel:DWORD dst_unused:UNUSED_PAD src0_sel:BYTE_2 src1_sel:BYTE_2
	v_and_b32_e32 v28, 4, v27
	v_cmp_eq_u16_e32 vcc, 0, v28
	v_sub_u32_e32 v28, 0, v26
	v_mul_i32_i24_sdwa v18, v22, sext(v18) dst_sel:DWORD dst_unused:UNUSED_PAD src0_sel:BYTE_3 src1_sel:BYTE_3
	v_and_b32_e32 v22, 8, v27
	v_cndmask_b32_e32 v26, v28, v26, vcc
	v_cmp_eq_u16_e32 vcc, 0, v22
	v_sub_u32_e32 v22, 0, v18
	v_cndmask_b32_e32 v18, v22, v18, vcc
	v_add3_u32 v18, v25, v26, v18
	v_mul_i32_i24_sdwa v22, v23, sext(v19) dst_sel:DWORD dst_unused:UNUSED_PAD src0_sel:BYTE_0 src1_sel:BYTE_0
	v_and_b32_e32 v25, 16, v27
	v_cmp_eq_u16_e32 vcc, 0, v25
	v_sub_u32_e32 v25, 0, v22
	v_cndmask_b32_e32 v22, v25, v22, vcc
	v_mul_i32_i24_sdwa v25, v23, sext(v19) dst_sel:DWORD dst_unused:UNUSED_PAD src0_sel:BYTE_1 src1_sel:BYTE_1
	v_and_b32_e32 v26, 32, v27
	v_cmp_eq_u16_e32 vcc, 0, v26
	v_sub_u32_e32 v26, 0, v25
	v_cndmask_b32_e32 v25, v26, v25, vcc
	v_add3_u32 v18, v18, v22, v25
	v_mul_i32_i24_sdwa v22, v23, sext(v19) dst_sel:DWORD dst_unused:UNUSED_PAD src0_sel:BYTE_2 src1_sel:BYTE_2
	v_cmp_gt_u32_e32 vcc, 64, v17
	v_sub_u32_e32 v17, 0, v22
	v_mul_i32_i24_sdwa v19, v23, sext(v19) dst_sel:DWORD dst_unused:UNUSED_PAD src0_sel:BYTE_3 src1_sel:BYTE_3
	v_cndmask_b32_e32 v17, v17, v22, vcc
	v_sub_u32_e32 v22, 0, v19
	v_cmp_gt_i16_e32 vcc, 0, v27
	v_cndmask_b32_e32 v19, v19, v22, vcc
	v_bfe_u32 v23, v16, 21, 7
	v_add3_u32 v17, v18, v17, v19
	v_lshlrev_b32_sdwa v22, v15, v24 dst_sel:DWORD dst_unused:UNUSED_PAD src0_sel:DWORD src1_sel:BYTE_3
	global_load_sbyte v24, v23, s[12:13]
	global_load_dwordx2 v[18:19], v22, s[10:11]
	v_lshrrev_b32_e32 v16, 28, v16
	global_load_ushort v6, v[6:7], off
	v_cvt_f32_ubyte0_e32 v7, v16
	global_load_ushort v4, v[4:5], off
	v_add_f32_e32 v7, 0.5, v7
	s_waitcnt vmcnt(3)
	v_and_b32_e32 v25, 1, v24
	s_waitcnt vmcnt(2)
	v_mul_i32_i24_sdwa v22, v18, sext(v20) dst_sel:DWORD dst_unused:UNUSED_PAD src0_sel:BYTE_0 src1_sel:BYTE_0
	v_cmp_eq_u16_e32 vcc, 0, v25
	v_sub_u32_e32 v25, 0, v22
	v_cndmask_b32_e32 v22, v25, v22, vcc
	v_mul_i32_i24_sdwa v25, v18, sext(v20) dst_sel:DWORD dst_unused:UNUSED_PAD src0_sel:BYTE_1 src1_sel:BYTE_1
	v_and_b32_e32 v26, 2, v24
	v_cmp_eq_u16_e32 vcc, 0, v26
	v_sub_u32_e32 v26, 0, v25
	v_cndmask_b32_e32 v25, v26, v25, vcc
	v_add3_u32 v17, v17, v22, v25
	v_mul_i32_i24_sdwa v22, v18, sext(v20) dst_sel:DWORD dst_unused:UNUSED_PAD src0_sel:BYTE_2 src1_sel:BYTE_2
	v_and_b32_e32 v25, 4, v24
	v_cmp_eq_u16_e32 vcc, 0, v25
	v_sub_u32_e32 v25, 0, v22
	v_mul_i32_i24_sdwa v18, v18, sext(v20) dst_sel:DWORD dst_unused:UNUSED_PAD src0_sel:BYTE_3 src1_sel:BYTE_3
	v_and_b32_e32 v20, 8, v24
	v_cndmask_b32_e32 v22, v25, v22, vcc
	v_cmp_eq_u16_e32 vcc, 0, v20
	v_sub_u32_e32 v20, 0, v18
	v_cndmask_b32_e32 v18, v20, v18, vcc
	v_add3_u32 v17, v17, v22, v18
	v_mul_i32_i24_sdwa v18, v19, sext(v21) dst_sel:DWORD dst_unused:UNUSED_PAD src0_sel:BYTE_0 src1_sel:BYTE_0
	v_and_b32_e32 v20, 16, v24
	v_cmp_eq_u16_e32 vcc, 0, v20
	v_sub_u32_e32 v20, 0, v18
	v_cndmask_b32_e32 v18, v20, v18, vcc
	v_mul_i32_i24_sdwa v20, v19, sext(v21) dst_sel:DWORD dst_unused:UNUSED_PAD src0_sel:BYTE_1 src1_sel:BYTE_1
	v_and_b32_e32 v22, 32, v24
	v_cmp_eq_u16_e32 vcc, 0, v22
	v_sub_u32_e32 v22, 0, v20
	v_cndmask_b32_e32 v20, v22, v20, vcc
	v_add3_u32 v17, v17, v18, v20
	v_mul_i32_i24_sdwa v18, v19, sext(v21) dst_sel:DWORD dst_unused:UNUSED_PAD src0_sel:BYTE_2 src1_sel:BYTE_2
	v_cmp_gt_u32_e32 vcc, 64, v23
	v_sub_u32_e32 v20, 0, v18
	v_mul_i32_i24_sdwa v19, v19, sext(v21) dst_sel:DWORD dst_unused:UNUSED_PAD src0_sel:BYTE_3 src1_sel:BYTE_3
	v_cndmask_b32_e32 v18, v20, v18, vcc
	v_sub_u32_e32 v20, 0, v19
	v_cmp_gt_i16_e32 vcc, 0, v24
	s_waitcnt vmcnt(1)
	v_cvt_f32_f16_e32 v6, v6
	v_cndmask_b32_e32 v19, v19, v20, vcc
	s_waitcnt vmcnt(0)
	v_cvt_f32_f16_e32 v4, v4
	v_add3_u32 v17, v17, v18, v19
	v_cvt_f32_i32_e32 v5, v17
	v_mul_f32_e32 v6, v7, v6
	v_mul_f32_e32 v4, v6, v4
	;; [unrolled: 1-line block ×3, first 2 shown]
	v_cmp_le_u32_e32 vcc, s6, v11
	v_fmac_f32_e32 v10, v4, v5
	s_or_b64 s[4:5], vcc, s[4:5]
	s_andn2_b64 exec, exec, s[4:5]
	s_cbranch_execnz .LBB108_3
; %bb.4:
	s_or_b64 exec, exec, s[4:5]
.LBB108_5:
	s_or_b64 exec, exec, s[8:9]
	v_mbcnt_lo_u32_b32 v0, -1, 0
	v_mbcnt_hi_u32_b32 v1, -1, v0
	v_and_b32_e32 v0, 64, v1
	v_add_u32_e32 v2, 64, v0
	v_xor_b32_e32 v0, 32, v1
	v_cmp_lt_i32_e32 vcc, v0, v2
	v_cndmask_b32_e32 v0, v1, v0, vcc
	v_lshlrev_b32_e32 v0, 2, v0
	ds_bpermute_b32 v0, v0, v10
	v_xor_b32_e32 v3, 16, v1
	v_cmp_lt_i32_e32 vcc, v3, v2
	v_cndmask_b32_e32 v3, v1, v3, vcc
	v_lshlrev_b32_e32 v3, 2, v3
	s_waitcnt lgkmcnt(0)
	v_add_f32_e32 v0, v10, v0
	ds_bpermute_b32 v3, v3, v0
	v_xor_b32_e32 v4, 8, v1
	v_cmp_lt_i32_e32 vcc, v4, v2
	s_waitcnt lgkmcnt(0)
	v_add_f32_e32 v0, v0, v3
	v_cndmask_b32_e32 v3, v1, v4, vcc
	v_lshlrev_b32_e32 v3, 2, v3
	ds_bpermute_b32 v3, v3, v0
	v_xor_b32_e32 v4, 4, v1
	v_cmp_lt_i32_e32 vcc, v4, v2
	s_waitcnt lgkmcnt(0)
	v_add_f32_e32 v0, v0, v3
	v_cndmask_b32_e32 v3, v1, v4, vcc
	v_lshlrev_b32_e32 v3, 2, v3
	;; [unrolled: 7-line block ×3, first 2 shown]
	ds_bpermute_b32 v3, v3, v0
	v_xor_b32_e32 v4, 1, v1
	v_cmp_lt_i32_e32 vcc, v4, v2
	v_cndmask_b32_e32 v1, v1, v4, vcc
	v_lshlrev_b32_e32 v1, 2, v1
	s_waitcnt lgkmcnt(0)
	v_add_f32_e32 v0, v0, v3
	ds_bpermute_b32 v1, v1, v0
	v_cmp_eq_u32_e32 vcc, 0, v9
	s_and_b64 exec, exec, vcc
	s_cbranch_execz .LBB108_7
; %bb.6:
	s_waitcnt lgkmcnt(0)
	v_add_f32_e32 v0, v0, v1
	v_bfe_u32 v1, v0, 16, 1
	s_movk_i32 s0, 0x7fff
	v_add3_u32 v1, v0, v1, s0
	v_lshrrev_b32_e32 v1, 16, v1
	v_mov_b32_e32 v2, 0x7fc0
	v_cmp_o_f32_e32 vcc, v0, v0
	s_mul_i32 s7, s7, s1
	v_cndmask_b32_e32 v2, v2, v1, vcc
	v_add_u32_e32 v0, s7, v8
	v_mov_b32_e32 v1, 0
	v_lshlrev_b64 v[0:1], 1, v[0:1]
	v_mov_b32_e32 v3, s3
	v_add_co_u32_e32 v0, vcc, s2, v0
	v_addc_co_u32_e32 v1, vcc, v3, v1, vcc
	global_store_short v[0:1], v2, off
.LBB108_7:
	s_endpgm
	.section	.rodata,"a",@progbits
	.p2align	6, 0x0
	.amdhsa_kernel _ZL13mul_mat_vec_qIN3c108BFloat16ELi256ELi8E13block_iq2_xxsLi1EXadL_ZL20vec_dot_iq2_xxs_q8_1PKvPK10block_q8_1RKiEEEvS4_S4_PT_iii
		.amdhsa_group_segment_fixed_size 0
		.amdhsa_private_segment_fixed_size 0
		.amdhsa_kernarg_size 296
		.amdhsa_user_sgpr_count 6
		.amdhsa_user_sgpr_private_segment_buffer 1
		.amdhsa_user_sgpr_dispatch_ptr 0
		.amdhsa_user_sgpr_queue_ptr 0
		.amdhsa_user_sgpr_kernarg_segment_ptr 1
		.amdhsa_user_sgpr_dispatch_id 0
		.amdhsa_user_sgpr_flat_scratch_init 0
		.amdhsa_user_sgpr_kernarg_preload_length 0
		.amdhsa_user_sgpr_kernarg_preload_offset 0
		.amdhsa_user_sgpr_private_segment_size 0
		.amdhsa_uses_dynamic_stack 0
		.amdhsa_system_sgpr_private_segment_wavefront_offset 0
		.amdhsa_system_sgpr_workgroup_id_x 1
		.amdhsa_system_sgpr_workgroup_id_y 1
		.amdhsa_system_sgpr_workgroup_id_z 0
		.amdhsa_system_sgpr_workgroup_info 0
		.amdhsa_system_vgpr_workitem_id 1
		.amdhsa_next_free_vgpr 30
		.amdhsa_next_free_sgpr 16
		.amdhsa_accum_offset 32
		.amdhsa_reserve_vcc 1
		.amdhsa_reserve_flat_scratch 0
		.amdhsa_float_round_mode_32 0
		.amdhsa_float_round_mode_16_64 0
		.amdhsa_float_denorm_mode_32 3
		.amdhsa_float_denorm_mode_16_64 3
		.amdhsa_dx10_clamp 1
		.amdhsa_ieee_mode 1
		.amdhsa_fp16_overflow 0
		.amdhsa_tg_split 0
		.amdhsa_exception_fp_ieee_invalid_op 0
		.amdhsa_exception_fp_denorm_src 0
		.amdhsa_exception_fp_ieee_div_zero 0
		.amdhsa_exception_fp_ieee_overflow 0
		.amdhsa_exception_fp_ieee_underflow 0
		.amdhsa_exception_fp_ieee_inexact 0
		.amdhsa_exception_int_div_zero 0
	.end_amdhsa_kernel
	.section	.text._ZL13mul_mat_vec_qIN3c108BFloat16ELi256ELi8E13block_iq2_xxsLi1EXadL_ZL20vec_dot_iq2_xxs_q8_1PKvPK10block_q8_1RKiEEEvS4_S4_PT_iii,"axG",@progbits,_ZL13mul_mat_vec_qIN3c108BFloat16ELi256ELi8E13block_iq2_xxsLi1EXadL_ZL20vec_dot_iq2_xxs_q8_1PKvPK10block_q8_1RKiEEEvS4_S4_PT_iii,comdat
.Lfunc_end108:
	.size	_ZL13mul_mat_vec_qIN3c108BFloat16ELi256ELi8E13block_iq2_xxsLi1EXadL_ZL20vec_dot_iq2_xxs_q8_1PKvPK10block_q8_1RKiEEEvS4_S4_PT_iii, .Lfunc_end108-_ZL13mul_mat_vec_qIN3c108BFloat16ELi256ELi8E13block_iq2_xxsLi1EXadL_ZL20vec_dot_iq2_xxs_q8_1PKvPK10block_q8_1RKiEEEvS4_S4_PT_iii
                                        ; -- End function
	.section	.AMDGPU.csdata,"",@progbits
; Kernel info:
; codeLenInByte = 1780
; NumSgprs: 20
; NumVgprs: 30
; NumAgprs: 0
; TotalNumVgprs: 30
; ScratchSize: 0
; MemoryBound: 0
; FloatMode: 240
; IeeeMode: 1
; LDSByteSize: 0 bytes/workgroup (compile time only)
; SGPRBlocks: 2
; VGPRBlocks: 3
; NumSGPRsForWavesPerEU: 20
; NumVGPRsForWavesPerEU: 30
; AccumOffset: 32
; Occupancy: 8
; WaveLimiterHint : 0
; COMPUTE_PGM_RSRC2:SCRATCH_EN: 0
; COMPUTE_PGM_RSRC2:USER_SGPR: 6
; COMPUTE_PGM_RSRC2:TRAP_HANDLER: 0
; COMPUTE_PGM_RSRC2:TGID_X_EN: 1
; COMPUTE_PGM_RSRC2:TGID_Y_EN: 1
; COMPUTE_PGM_RSRC2:TGID_Z_EN: 0
; COMPUTE_PGM_RSRC2:TIDIG_COMP_CNT: 1
; COMPUTE_PGM_RSRC3_GFX90A:ACCUM_OFFSET: 7
; COMPUTE_PGM_RSRC3_GFX90A:TG_SPLIT: 0
	.section	.text._ZL13mul_mat_vec_qIN3c108BFloat16ELi256ELi8E12block_iq2_xsLi1EXadL_ZL19vec_dot_iq2_xs_q8_1PKvPK10block_q8_1RKiEEEvS4_S4_PT_iii,"axG",@progbits,_ZL13mul_mat_vec_qIN3c108BFloat16ELi256ELi8E12block_iq2_xsLi1EXadL_ZL19vec_dot_iq2_xs_q8_1PKvPK10block_q8_1RKiEEEvS4_S4_PT_iii,comdat
	.globl	_ZL13mul_mat_vec_qIN3c108BFloat16ELi256ELi8E12block_iq2_xsLi1EXadL_ZL19vec_dot_iq2_xs_q8_1PKvPK10block_q8_1RKiEEEvS4_S4_PT_iii ; -- Begin function _ZL13mul_mat_vec_qIN3c108BFloat16ELi256ELi8E12block_iq2_xsLi1EXadL_ZL19vec_dot_iq2_xs_q8_1PKvPK10block_q8_1RKiEEEvS4_S4_PT_iii
	.p2align	8
	.type	_ZL13mul_mat_vec_qIN3c108BFloat16ELi256ELi8E12block_iq2_xsLi1EXadL_ZL19vec_dot_iq2_xs_q8_1PKvPK10block_q8_1RKiEEEvS4_S4_PT_iii,@function
_ZL13mul_mat_vec_qIN3c108BFloat16ELi256ELi8E12block_iq2_xsLi1EXadL_ZL19vec_dot_iq2_xs_q8_1PKvPK10block_q8_1RKiEEEvS4_S4_PT_iii: ; @_ZL13mul_mat_vec_qIN3c108BFloat16ELi256ELi8E12block_iq2_xsLi1EXadL_ZL19vec_dot_iq2_xs_q8_1PKvPK10block_q8_1RKiEEEvS4_S4_PT_iii
; %bb.0:
	s_load_dword s8, s[4:5], 0x34
	s_load_dwordx4 s[0:3], s[4:5], 0x18
	v_bfe_u32 v1, v0, 10, 10
	s_waitcnt lgkmcnt(0)
	s_lshr_b32 s3, s8, 16
	s_mul_i32 s6, s6, s3
	v_add_u32_e32 v1, s6, v1
	s_cmp_lt_u32 s7, s2
	v_cmp_gt_u32_e32 vcc, s1, v1
	s_cselect_b64 s[2:3], -1, 0
	s_and_b64 s[2:3], s[2:3], vcc
	s_and_saveexec_b64 s[8:9], s[2:3]
	s_cbranch_execz .LBB109_7
; %bb.1:
	s_load_dwordx2 s[2:3], s[4:5], 0x10
	s_ashr_i32 s6, s0, 31
	s_lshr_b32 s6, s6, 24
	s_add_i32 s6, s0, s6
	v_and_b32_e32 v12, 0x3ff, v0
	s_ashr_i32 s6, s6, 8
	v_lshrrev_b32_e32 v13, 3, v12
	v_cmp_gt_u32_e32 vcc, s6, v13
	v_mov_b32_e32 v14, 0
	s_and_saveexec_b64 s[8:9], vcc
	s_cbranch_execz .LBB109_5
; %bb.2:
	s_load_dwordx4 s[12:15], s[4:5], 0x0
	s_addk_i32 s0, 0x1ff
	s_ashr_i32 s4, s0, 31
	s_lshr_b32 s4, s4, 23
	s_add_i32 s0, s0, s4
	s_ashr_i32 s0, s0, 9
	v_and_b32_e32 v0, 7, v12
	s_mul_i32 s0, s7, s0
	v_lshlrev_b32_e32 v6, 2, v0
	s_waitcnt lgkmcnt(0)
	v_mad_u64_u32 v[2:3], s[4:5], v0, 36, s[14:15]
	v_lshlrev_b32_e32 v4, 3, v13
	v_mul_lo_u32 v15, v1, s6
	v_mov_b32_e32 v16, 0
	v_lshl_add_u32 v17, s0, 4, v4
	s_mov_b64 s[4:5], 0
	s_movk_i32 s0, 0x4a
	v_pk_mov_b32 v[4:5], s[12:13], s[12:13] op_sel:[0,1]
	v_lshlrev_b32_e32 v18, 1, v6
	v_mov_b32_e32 v14, 0
	s_getpc_b64 s[12:13]
	s_add_u32 s12, s12, _ZL12ksigns_iq2xs@rel32@lo+4
	s_addc_u32 s13, s13, _ZL12ksigns_iq2xs@rel32@hi+12
.LBB109_3:                              ; =>This Inner Loop Header: Depth=1
	v_add_u32_e32 v6, v15, v13
	v_mad_i64_i32 v[8:9], s[10:11], v6, s0, v[4:5]
	v_add_co_u32_e32 v20, vcc, v8, v18
	v_addc_co_u32_e32 v21, vcc, 0, v9, vcc
	v_add_co_u32_e32 v22, vcc, v8, v0
	v_addc_co_u32_e32 v23, vcc, 0, v9, vcc
	global_load_ubyte v19, v[22:23], off offset:66
	global_load_dwordx2 v[10:11], v[20:21], off offset:2
	v_mad_i64_i32 v[6:7], s[10:11], v17, 36, v[2:3]
	s_getpc_b64 s[10:11]
	s_add_u32 s10, s10, _ZL10iq2xs_grid@rel32@lo+4
	s_addc_u32 s11, s11, _ZL10iq2xs_grid@rel32@hi+12
	v_add_u32_e32 v13, 8, v13
	v_add_u32_e32 v17, 64, v17
	s_waitcnt vmcnt(0)
	v_and_b32_e32 v20, 0x1ff, v10
	v_bfe_u32 v27, v10, 9, 7
	v_lshlrev_b32_e32 v26, 3, v20
	global_load_sbyte v28, v27, s[12:13]
	global_load_dwordx4 v[20:23], v[6:7], off offset:4
	global_load_dwordx2 v[24:25], v26, s[10:11]
	v_bfe_u32 v35, v11, 9, 7
	s_waitcnt vmcnt(2)
	v_and_b32_e32 v27, 1, v28
	v_cmp_eq_u16_e32 vcc, 0, v27
	s_waitcnt vmcnt(0)
	v_mul_i32_i24_sdwa v26, v24, sext(v20) dst_sel:DWORD dst_unused:UNUSED_PAD src0_sel:BYTE_0 src1_sel:BYTE_0
	v_sub_u32_e32 v27, 0, v26
	v_cndmask_b32_e32 v26, v27, v26, vcc
	v_mul_i32_i24_sdwa v27, v24, sext(v20) dst_sel:DWORD dst_unused:UNUSED_PAD src0_sel:BYTE_1 src1_sel:BYTE_1
	v_and_b32_e32 v29, 2, v28
	v_cmp_eq_u16_e32 vcc, 0, v29
	v_sub_u32_e32 v29, 0, v27
	v_cndmask_b32_e32 v27, v29, v27, vcc
	v_add_u32_e32 v26, v27, v26
	v_mul_i32_i24_sdwa v27, v24, sext(v20) dst_sel:DWORD dst_unused:UNUSED_PAD src0_sel:BYTE_2 src1_sel:BYTE_2
	v_and_b32_e32 v29, 4, v28
	v_cmp_eq_u16_e32 vcc, 0, v29
	v_sub_u32_e32 v29, 0, v27
	v_mul_i32_i24_sdwa v20, v24, sext(v20) dst_sel:DWORD dst_unused:UNUSED_PAD src0_sel:BYTE_3 src1_sel:BYTE_3
	v_and_b32_e32 v24, 8, v28
	v_cndmask_b32_e32 v27, v29, v27, vcc
	v_cmp_eq_u16_e32 vcc, 0, v24
	v_sub_u32_e32 v24, 0, v20
	v_cndmask_b32_e32 v20, v24, v20, vcc
	v_add3_u32 v20, v26, v27, v20
	v_mul_i32_i24_sdwa v24, v25, sext(v21) dst_sel:DWORD dst_unused:UNUSED_PAD src0_sel:BYTE_0 src1_sel:BYTE_0
	v_and_b32_e32 v26, 16, v28
	v_cmp_eq_u16_e32 vcc, 0, v26
	v_sub_u32_e32 v26, 0, v24
	v_cndmask_b32_e32 v24, v26, v24, vcc
	v_mul_i32_i24_sdwa v26, v25, sext(v21) dst_sel:DWORD dst_unused:UNUSED_PAD src0_sel:BYTE_1 src1_sel:BYTE_1
	v_and_b32_e32 v27, 32, v28
	v_cmp_eq_u16_e32 vcc, 0, v27
	v_sub_u32_e32 v27, 0, v26
	v_cndmask_b32_e32 v26, v27, v26, vcc
	v_add3_u32 v20, v20, v24, v26
	v_mul_i32_i24_sdwa v24, v25, sext(v21) dst_sel:DWORD dst_unused:UNUSED_PAD src0_sel:BYTE_2 src1_sel:BYTE_2
	v_sub_u32_e32 v26, 0, v24
	v_cmp_gt_i16_e32 vcc, 0, v10
	v_mul_i32_i24_sdwa v21, v25, sext(v21) dst_sel:DWORD dst_unused:UNUSED_PAD src0_sel:BYTE_3 src1_sel:BYTE_3
	v_cndmask_b32_e32 v24, v24, v26, vcc
	v_sub_u32_e32 v25, 0, v21
	v_cmp_gt_i16_e32 vcc, 0, v28
	v_cndmask_b32_e32 v21, v21, v25, vcc
	v_add3_u32 v26, v20, v24, v21
	v_lshrrev_b32_e32 v20, 13, v10
	v_lshrrev_b32_e32 v25, 25, v10
	v_and_b32_e32 v24, 0xff8, v20
	global_load_sbyte v27, v25, s[12:13]
	global_load_dwordx2 v[20:21], v24, s[10:11]
	s_waitcnt vmcnt(1)
	v_and_b32_e32 v25, 1, v27
	s_waitcnt vmcnt(0)
	v_mul_i32_i24_sdwa v24, v20, sext(v22) dst_sel:DWORD dst_unused:UNUSED_PAD src0_sel:BYTE_0 src1_sel:BYTE_0
	v_cmp_eq_u16_e32 vcc, 0, v25
	v_sub_u32_e32 v25, 0, v24
	v_cndmask_b32_e32 v28, v25, v24, vcc
	v_mul_i32_i24_sdwa v24, v20, sext(v22) dst_sel:DWORD dst_unused:UNUSED_PAD src0_sel:BYTE_1 src1_sel:BYTE_1
	v_and_b32_e32 v25, 2, v27
	v_cmp_eq_u16_e32 vcc, 0, v25
	v_sub_u32_e32 v25, 0, v24
	v_cndmask_b32_e32 v29, v25, v24, vcc
	v_mul_i32_i24_sdwa v24, v20, sext(v22) dst_sel:DWORD dst_unused:UNUSED_PAD src0_sel:BYTE_2 src1_sel:BYTE_2
	v_and_b32_e32 v25, 4, v27
	v_cmp_eq_u16_e32 vcc, 0, v25
	v_sub_u32_e32 v25, 0, v24
	v_mul_i32_i24_sdwa v20, v20, sext(v22) dst_sel:DWORD dst_unused:UNUSED_PAD src0_sel:BYTE_3 src1_sel:BYTE_3
	v_and_b32_e32 v22, 8, v27
	v_cndmask_b32_e32 v30, v25, v24, vcc
	v_cmp_eq_u16_e32 vcc, 0, v22
	v_sub_u32_e32 v22, 0, v20
	v_cndmask_b32_e32 v31, v22, v20, vcc
	v_mul_i32_i24_sdwa v20, v21, sext(v23) dst_sel:DWORD dst_unused:UNUSED_PAD src0_sel:BYTE_0 src1_sel:BYTE_0
	v_and_b32_e32 v22, 16, v27
	v_cmp_eq_u16_e32 vcc, 0, v22
	v_sub_u32_e32 v22, 0, v20
	v_cndmask_b32_e32 v32, v22, v20, vcc
	v_mul_i32_i24_sdwa v20, v21, sext(v23) dst_sel:DWORD dst_unused:UNUSED_PAD src0_sel:BYTE_1 src1_sel:BYTE_1
	v_and_b32_e32 v22, 32, v27
	v_cmp_eq_u16_e32 vcc, 0, v22
	v_sub_u32_e32 v22, 0, v20
	v_cndmask_b32_e32 v33, v22, v20, vcc
	v_mul_i32_i24_sdwa v20, v21, sext(v23) dst_sel:DWORD dst_unused:UNUSED_PAD src0_sel:BYTE_2 src1_sel:BYTE_2
	v_sub_u32_e32 v22, 0, v20
	v_cmp_lt_i16_sdwa vcc, v10, v16 src0_sel:WORD_1 src1_sel:DWORD
	v_cndmask_b32_e32 v10, v20, v22, vcc
	v_mul_i32_i24_sdwa v20, v21, sext(v23) dst_sel:DWORD dst_unused:UNUSED_PAD src0_sel:BYTE_3 src1_sel:BYTE_3
	v_sub_u32_e32 v21, 0, v20
	v_cmp_gt_i16_e32 vcc, 0, v27
	v_cndmask_b32_e32 v27, v20, v21, vcc
	v_and_b32_e32 v20, 0x1ff, v11
	v_lshlrev_b32_e32 v34, 3, v20
	global_load_sbyte v36, v35, s[12:13]
	global_load_dwordx4 v[20:23], v[6:7], off offset:20
	global_load_dwordx2 v[24:25], v34, s[10:11]
	s_waitcnt vmcnt(2)
	v_and_b32_e32 v35, 1, v36
	v_cmp_eq_u16_e32 vcc, 0, v35
	s_waitcnt vmcnt(0)
	v_mul_i32_i24_sdwa v34, v24, sext(v20) dst_sel:DWORD dst_unused:UNUSED_PAD src0_sel:BYTE_0 src1_sel:BYTE_0
	v_sub_u32_e32 v35, 0, v34
	v_cndmask_b32_e32 v34, v35, v34, vcc
	v_mul_i32_i24_sdwa v35, v24, sext(v20) dst_sel:DWORD dst_unused:UNUSED_PAD src0_sel:BYTE_1 src1_sel:BYTE_1
	v_and_b32_e32 v37, 2, v36
	v_cmp_eq_u16_e32 vcc, 0, v37
	v_sub_u32_e32 v37, 0, v35
	v_cndmask_b32_e32 v35, v37, v35, vcc
	v_add_u32_e32 v34, v35, v34
	v_mul_i32_i24_sdwa v35, v24, sext(v20) dst_sel:DWORD dst_unused:UNUSED_PAD src0_sel:BYTE_2 src1_sel:BYTE_2
	v_and_b32_e32 v37, 4, v36
	v_cmp_eq_u16_e32 vcc, 0, v37
	v_sub_u32_e32 v37, 0, v35
	v_mul_i32_i24_sdwa v20, v24, sext(v20) dst_sel:DWORD dst_unused:UNUSED_PAD src0_sel:BYTE_3 src1_sel:BYTE_3
	v_and_b32_e32 v24, 8, v36
	v_cndmask_b32_e32 v35, v37, v35, vcc
	v_cmp_eq_u16_e32 vcc, 0, v24
	v_sub_u32_e32 v24, 0, v20
	v_cndmask_b32_e32 v20, v24, v20, vcc
	v_add3_u32 v20, v34, v35, v20
	v_mul_i32_i24_sdwa v24, v25, sext(v21) dst_sel:DWORD dst_unused:UNUSED_PAD src0_sel:BYTE_0 src1_sel:BYTE_0
	v_and_b32_e32 v34, 16, v36
	v_cmp_eq_u16_e32 vcc, 0, v34
	v_sub_u32_e32 v34, 0, v24
	v_cndmask_b32_e32 v24, v34, v24, vcc
	v_mul_i32_i24_sdwa v34, v25, sext(v21) dst_sel:DWORD dst_unused:UNUSED_PAD src0_sel:BYTE_1 src1_sel:BYTE_1
	v_and_b32_e32 v35, 32, v36
	v_cmp_eq_u16_e32 vcc, 0, v35
	v_sub_u32_e32 v35, 0, v34
	v_cndmask_b32_e32 v34, v35, v34, vcc
	v_add3_u32 v20, v20, v24, v34
	v_mul_i32_i24_sdwa v24, v25, sext(v21) dst_sel:DWORD dst_unused:UNUSED_PAD src0_sel:BYTE_2 src1_sel:BYTE_2
	v_sub_u32_e32 v34, 0, v24
	v_cmp_gt_i16_e32 vcc, 0, v11
	v_mul_i32_i24_sdwa v21, v25, sext(v21) dst_sel:DWORD dst_unused:UNUSED_PAD src0_sel:BYTE_3 src1_sel:BYTE_3
	v_cndmask_b32_e32 v24, v24, v34, vcc
	v_sub_u32_e32 v25, 0, v21
	v_cmp_gt_i16_e32 vcc, 0, v36
	v_cndmask_b32_e32 v21, v21, v25, vcc
	v_add3_u32 v24, v20, v24, v21
	v_lshrrev_b32_e32 v20, 13, v11
	v_lshrrev_b32_e32 v34, 25, v11
	v_and_b32_e32 v25, 0xff8, v20
	global_load_sbyte v35, v34, s[12:13]
	global_load_dwordx2 v[20:21], v25, s[10:11]
	s_waitcnt vmcnt(1)
	v_and_b32_e32 v34, 1, v35
	global_load_ushort v8, v[8:9], off
	s_waitcnt vmcnt(1)
	v_mul_i32_i24_sdwa v25, v20, sext(v22) dst_sel:DWORD dst_unused:UNUSED_PAD src0_sel:BYTE_0 src1_sel:BYTE_0
	global_load_ushort v6, v[6:7], off
	v_cmp_eq_u16_e32 vcc, 0, v34
	v_sub_u32_e32 v34, 0, v25
	v_cndmask_b32_e32 v25, v34, v25, vcc
	v_mul_i32_i24_sdwa v34, v20, sext(v22) dst_sel:DWORD dst_unused:UNUSED_PAD src0_sel:BYTE_1 src1_sel:BYTE_1
	v_and_b32_e32 v36, 2, v35
	v_cmp_eq_u16_e32 vcc, 0, v36
	v_sub_u32_e32 v36, 0, v34
	v_cndmask_b32_e32 v34, v36, v34, vcc
	v_add3_u32 v24, v24, v25, v34
	v_mul_i32_i24_sdwa v25, v20, sext(v22) dst_sel:DWORD dst_unused:UNUSED_PAD src0_sel:BYTE_2 src1_sel:BYTE_2
	v_and_b32_e32 v34, 4, v35
	v_cmp_eq_u16_e32 vcc, 0, v34
	v_sub_u32_e32 v34, 0, v25
	v_mul_i32_i24_sdwa v20, v20, sext(v22) dst_sel:DWORD dst_unused:UNUSED_PAD src0_sel:BYTE_3 src1_sel:BYTE_3
	v_and_b32_e32 v22, 8, v35
	v_cndmask_b32_e32 v25, v34, v25, vcc
	v_cmp_eq_u16_e32 vcc, 0, v22
	v_sub_u32_e32 v22, 0, v20
	v_cndmask_b32_e32 v20, v22, v20, vcc
	v_add3_u32 v20, v24, v25, v20
	v_mul_i32_i24_sdwa v22, v21, sext(v23) dst_sel:DWORD dst_unused:UNUSED_PAD src0_sel:BYTE_0 src1_sel:BYTE_0
	v_and_b32_e32 v24, 16, v35
	v_cmp_eq_u16_e32 vcc, 0, v24
	v_sub_u32_e32 v24, 0, v22
	v_cndmask_b32_e32 v22, v24, v22, vcc
	v_mul_i32_i24_sdwa v24, v21, sext(v23) dst_sel:DWORD dst_unused:UNUSED_PAD src0_sel:BYTE_1 src1_sel:BYTE_1
	v_and_b32_e32 v25, 32, v35
	v_cmp_eq_u16_e32 vcc, 0, v25
	v_sub_u32_e32 v25, 0, v24
	v_cndmask_b32_e32 v24, v25, v24, vcc
	v_add3_u32 v20, v20, v22, v24
	v_mul_i32_i24_sdwa v22, v21, sext(v23) dst_sel:DWORD dst_unused:UNUSED_PAD src0_sel:BYTE_2 src1_sel:BYTE_2
	v_sub_u32_e32 v24, 0, v22
	v_cmp_lt_i16_sdwa vcc, v11, v16 src0_sel:WORD_1 src1_sel:DWORD
	v_mul_i32_i24_sdwa v21, v21, sext(v23) dst_sel:DWORD dst_unused:UNUSED_PAD src0_sel:BYTE_3 src1_sel:BYTE_3
	v_cndmask_b32_e32 v11, v22, v24, vcc
	v_sub_u32_e32 v22, 0, v21
	v_cmp_gt_i16_e32 vcc, 0, v35
	v_cndmask_b32_e32 v21, v21, v22, vcc
	v_add3_u32 v11, v20, v11, v21
	v_add3_u32 v20, v26, v28, v29
	;; [unrolled: 1-line block ×5, first 2 shown]
	v_lshrrev_b16_e32 v20, 4, v19
	v_and_b32_e32 v19, 15, v19
	v_cvt_f32_ubyte0_e32 v9, v20
	v_cvt_f32_ubyte0_e32 v7, v19
	v_add_f32_e32 v9, 0.5, v9
	v_add_f32_e32 v7, 0.5, v7
	v_cmp_le_u32_e32 vcc, s6, v13
	s_or_b64 s[4:5], vcc, s[4:5]
	s_waitcnt vmcnt(1)
	v_cvt_f32_f16_e32 v8, v8
	s_waitcnt vmcnt(0)
	v_cvt_f32_f16_e32 v6, v6
	v_mul_f32_e32 v6, v8, v6
	v_cvt_f32_i32_e32 v8, v10
	v_cvt_f32_i32_e32 v10, v11
	v_mul_f32_e32 v6, 0x3e800000, v6
	v_mul_f32_e32 v9, v9, v10
	v_fmac_f32_e32 v9, v7, v8
	v_fmac_f32_e32 v14, v6, v9
	s_andn2_b64 exec, exec, s[4:5]
	s_cbranch_execnz .LBB109_3
; %bb.4:
	s_or_b64 exec, exec, s[4:5]
.LBB109_5:
	s_or_b64 exec, exec, s[8:9]
	v_mbcnt_lo_u32_b32 v0, -1, 0
	v_mbcnt_hi_u32_b32 v2, -1, v0
	v_and_b32_e32 v0, 64, v2
	v_add_u32_e32 v3, 64, v0
	v_xor_b32_e32 v0, 32, v2
	v_cmp_lt_i32_e32 vcc, v0, v3
	v_cndmask_b32_e32 v0, v2, v0, vcc
	v_lshlrev_b32_e32 v0, 2, v0
	ds_bpermute_b32 v0, v0, v14
	v_xor_b32_e32 v4, 16, v2
	v_cmp_lt_i32_e32 vcc, v4, v3
	v_cndmask_b32_e32 v4, v2, v4, vcc
	v_lshlrev_b32_e32 v4, 2, v4
	s_waitcnt lgkmcnt(0)
	v_add_f32_e32 v0, v14, v0
	ds_bpermute_b32 v4, v4, v0
	v_xor_b32_e32 v5, 8, v2
	v_cmp_lt_i32_e32 vcc, v5, v3
	s_waitcnt lgkmcnt(0)
	v_add_f32_e32 v0, v0, v4
	v_cndmask_b32_e32 v4, v2, v5, vcc
	v_lshlrev_b32_e32 v4, 2, v4
	ds_bpermute_b32 v4, v4, v0
	v_xor_b32_e32 v5, 4, v2
	v_cmp_lt_i32_e32 vcc, v5, v3
	s_waitcnt lgkmcnt(0)
	v_add_f32_e32 v0, v0, v4
	v_cndmask_b32_e32 v4, v2, v5, vcc
	v_lshlrev_b32_e32 v4, 2, v4
	;; [unrolled: 7-line block ×3, first 2 shown]
	ds_bpermute_b32 v4, v4, v0
	v_xor_b32_e32 v5, 1, v2
	v_cmp_lt_i32_e32 vcc, v5, v3
	v_cndmask_b32_e32 v2, v2, v5, vcc
	v_lshlrev_b32_e32 v2, 2, v2
	s_waitcnt lgkmcnt(0)
	v_add_f32_e32 v0, v0, v4
	ds_bpermute_b32 v2, v2, v0
	v_cmp_eq_u32_e32 vcc, 0, v12
	s_and_b64 exec, exec, vcc
	s_cbranch_execz .LBB109_7
; %bb.6:
	s_waitcnt lgkmcnt(0)
	v_add_f32_e32 v0, v0, v2
	v_bfe_u32 v2, v0, 16, 1
	s_movk_i32 s0, 0x7fff
	s_mul_i32 s7, s7, s1
	v_add3_u32 v2, v0, v2, s0
	v_cmp_o_f32_e32 vcc, v0, v0
	v_add_u32_e32 v0, s7, v1
	v_mov_b32_e32 v1, 0
	v_lshrrev_b32_e32 v2, 16, v2
	v_mov_b32_e32 v3, 0x7fc0
	v_lshlrev_b64 v[0:1], 1, v[0:1]
	v_cndmask_b32_e32 v2, v3, v2, vcc
	v_mov_b32_e32 v3, s3
	v_add_co_u32_e32 v0, vcc, s2, v0
	v_addc_co_u32_e32 v1, vcc, v3, v1, vcc
	global_store_short v[0:1], v2, off
.LBB109_7:
	s_endpgm
	.section	.rodata,"a",@progbits
	.p2align	6, 0x0
	.amdhsa_kernel _ZL13mul_mat_vec_qIN3c108BFloat16ELi256ELi8E12block_iq2_xsLi1EXadL_ZL19vec_dot_iq2_xs_q8_1PKvPK10block_q8_1RKiEEEvS4_S4_PT_iii
		.amdhsa_group_segment_fixed_size 0
		.amdhsa_private_segment_fixed_size 0
		.amdhsa_kernarg_size 296
		.amdhsa_user_sgpr_count 6
		.amdhsa_user_sgpr_private_segment_buffer 1
		.amdhsa_user_sgpr_dispatch_ptr 0
		.amdhsa_user_sgpr_queue_ptr 0
		.amdhsa_user_sgpr_kernarg_segment_ptr 1
		.amdhsa_user_sgpr_dispatch_id 0
		.amdhsa_user_sgpr_flat_scratch_init 0
		.amdhsa_user_sgpr_kernarg_preload_length 0
		.amdhsa_user_sgpr_kernarg_preload_offset 0
		.amdhsa_user_sgpr_private_segment_size 0
		.amdhsa_uses_dynamic_stack 0
		.amdhsa_system_sgpr_private_segment_wavefront_offset 0
		.amdhsa_system_sgpr_workgroup_id_x 1
		.amdhsa_system_sgpr_workgroup_id_y 1
		.amdhsa_system_sgpr_workgroup_id_z 0
		.amdhsa_system_sgpr_workgroup_info 0
		.amdhsa_system_vgpr_workitem_id 1
		.amdhsa_next_free_vgpr 38
		.amdhsa_next_free_sgpr 16
		.amdhsa_accum_offset 40
		.amdhsa_reserve_vcc 1
		.amdhsa_reserve_flat_scratch 0
		.amdhsa_float_round_mode_32 0
		.amdhsa_float_round_mode_16_64 0
		.amdhsa_float_denorm_mode_32 3
		.amdhsa_float_denorm_mode_16_64 3
		.amdhsa_dx10_clamp 1
		.amdhsa_ieee_mode 1
		.amdhsa_fp16_overflow 0
		.amdhsa_tg_split 0
		.amdhsa_exception_fp_ieee_invalid_op 0
		.amdhsa_exception_fp_denorm_src 0
		.amdhsa_exception_fp_ieee_div_zero 0
		.amdhsa_exception_fp_ieee_overflow 0
		.amdhsa_exception_fp_ieee_underflow 0
		.amdhsa_exception_fp_ieee_inexact 0
		.amdhsa_exception_int_div_zero 0
	.end_amdhsa_kernel
	.section	.text._ZL13mul_mat_vec_qIN3c108BFloat16ELi256ELi8E12block_iq2_xsLi1EXadL_ZL19vec_dot_iq2_xs_q8_1PKvPK10block_q8_1RKiEEEvS4_S4_PT_iii,"axG",@progbits,_ZL13mul_mat_vec_qIN3c108BFloat16ELi256ELi8E12block_iq2_xsLi1EXadL_ZL19vec_dot_iq2_xs_q8_1PKvPK10block_q8_1RKiEEEvS4_S4_PT_iii,comdat
.Lfunc_end109:
	.size	_ZL13mul_mat_vec_qIN3c108BFloat16ELi256ELi8E12block_iq2_xsLi1EXadL_ZL19vec_dot_iq2_xs_q8_1PKvPK10block_q8_1RKiEEEvS4_S4_PT_iii, .Lfunc_end109-_ZL13mul_mat_vec_qIN3c108BFloat16ELi256ELi8E12block_iq2_xsLi1EXadL_ZL19vec_dot_iq2_xs_q8_1PKvPK10block_q8_1RKiEEEvS4_S4_PT_iii
                                        ; -- End function
	.section	.AMDGPU.csdata,"",@progbits
; Kernel info:
; codeLenInByte = 1792
; NumSgprs: 20
; NumVgprs: 38
; NumAgprs: 0
; TotalNumVgprs: 38
; ScratchSize: 0
; MemoryBound: 0
; FloatMode: 240
; IeeeMode: 1
; LDSByteSize: 0 bytes/workgroup (compile time only)
; SGPRBlocks: 2
; VGPRBlocks: 4
; NumSGPRsForWavesPerEU: 20
; NumVGPRsForWavesPerEU: 38
; AccumOffset: 40
; Occupancy: 8
; WaveLimiterHint : 0
; COMPUTE_PGM_RSRC2:SCRATCH_EN: 0
; COMPUTE_PGM_RSRC2:USER_SGPR: 6
; COMPUTE_PGM_RSRC2:TRAP_HANDLER: 0
; COMPUTE_PGM_RSRC2:TGID_X_EN: 1
; COMPUTE_PGM_RSRC2:TGID_Y_EN: 1
; COMPUTE_PGM_RSRC2:TGID_Z_EN: 0
; COMPUTE_PGM_RSRC2:TIDIG_COMP_CNT: 1
; COMPUTE_PGM_RSRC3_GFX90A:ACCUM_OFFSET: 9
; COMPUTE_PGM_RSRC3_GFX90A:TG_SPLIT: 0
	.section	.text._ZL13mul_mat_vec_qIN3c108BFloat16ELi256ELi8E13block_iq3_xxsLi1EXadL_ZL20vec_dot_iq3_xxs_q8_1PKvPK10block_q8_1RKiEEEvS4_S4_PT_iii,"axG",@progbits,_ZL13mul_mat_vec_qIN3c108BFloat16ELi256ELi8E13block_iq3_xxsLi1EXadL_ZL20vec_dot_iq3_xxs_q8_1PKvPK10block_q8_1RKiEEEvS4_S4_PT_iii,comdat
	.globl	_ZL13mul_mat_vec_qIN3c108BFloat16ELi256ELi8E13block_iq3_xxsLi1EXadL_ZL20vec_dot_iq3_xxs_q8_1PKvPK10block_q8_1RKiEEEvS4_S4_PT_iii ; -- Begin function _ZL13mul_mat_vec_qIN3c108BFloat16ELi256ELi8E13block_iq3_xxsLi1EXadL_ZL20vec_dot_iq3_xxs_q8_1PKvPK10block_q8_1RKiEEEvS4_S4_PT_iii
	.p2align	8
	.type	_ZL13mul_mat_vec_qIN3c108BFloat16ELi256ELi8E13block_iq3_xxsLi1EXadL_ZL20vec_dot_iq3_xxs_q8_1PKvPK10block_q8_1RKiEEEvS4_S4_PT_iii,@function
_ZL13mul_mat_vec_qIN3c108BFloat16ELi256ELi8E13block_iq3_xxsLi1EXadL_ZL20vec_dot_iq3_xxs_q8_1PKvPK10block_q8_1RKiEEEvS4_S4_PT_iii: ; @_ZL13mul_mat_vec_qIN3c108BFloat16ELi256ELi8E13block_iq3_xxsLi1EXadL_ZL20vec_dot_iq3_xxs_q8_1PKvPK10block_q8_1RKiEEEvS4_S4_PT_iii
; %bb.0:
	s_load_dword s0, s[4:5], 0x34
	s_load_dwordx4 s[8:11], s[4:5], 0x18
	v_bfe_u32 v1, v0, 10, 10
	s_waitcnt lgkmcnt(0)
	s_lshr_b32 s0, s0, 16
	s_mul_i32 s6, s6, s0
	v_add_u32_e32 v9, s6, v1
	s_cmp_lt_u32 s7, s10
	v_cmp_gt_u32_e32 vcc, s9, v9
	s_cselect_b64 s[0:1], -1, 0
	s_and_b64 s[0:1], s[0:1], vcc
	s_and_saveexec_b64 s[2:3], s[0:1]
	s_cbranch_execz .LBB110_7
; %bb.1:
	s_load_dwordx2 s[2:3], s[4:5], 0x10
	s_ashr_i32 s0, s8, 31
	s_lshr_b32 s0, s0, 24
	s_add_i32 s0, s8, s0
	v_and_b32_e32 v16, 0x3ff, v0
	s_ashr_i32 s6, s0, 8
	v_lshrrev_b32_e32 v18, 3, v16
	v_cmp_gt_u32_e32 vcc, s6, v18
	v_mov_b32_e32 v17, 0
	s_and_saveexec_b64 s[10:11], vcc
	s_cbranch_execz .LBB110_5
; %bb.2:
	s_load_dwordx4 s[12:15], s[4:5], 0x0
	s_add_i32 s0, s8, 0x1ff
	s_ashr_i32 s1, s0, 31
	s_lshr_b32 s1, s1, 23
	s_add_i32 s0, s0, s1
	s_ashr_i32 s0, s0, 9
	v_and_b32_e32 v1, 7, v16
	s_mul_i32 s4, s7, s0
	v_lshlrev_b32_e32 v8, 3, v1
	v_lshlrev_b32_e32 v0, 1, v1
	s_waitcnt lgkmcnt(0)
	v_mad_u64_u32 v[10:11], s[0:1], v1, 36, s[14:15]
	v_lshlrev_b32_e32 v1, 3, v18
	v_mul_lo_u32 v19, v9, s6
	v_mov_b32_e32 v17, 0
	v_lshl_add_u32 v20, s4, 4, v1
	s_mov_b64 s[4:5], 0
	s_movk_i32 s8, 0x62
	v_pk_mov_b32 v[12:13], s[12:13], s[12:13] op_sel:[0,1]
	v_lshlrev_b32_e32 v21, 1, v0
	s_mov_b32 s16, 0xffff
	s_mov_b32 s17, 0xc060c00
	v_mov_b32_e32 v22, 2
	s_getpc_b64 s[14:15]
	s_add_u32 s14, s14, _ZL11iq3xxs_grid@rel32@lo+4
	s_addc_u32 s15, s15, _ZL11iq3xxs_grid@rel32@hi+12
	s_getpc_b64 s[12:13]
	s_add_u32 s12, s12, _ZL8ksigns64@rel32@lo+4
	s_addc_u32 s13, s13, _ZL8ksigns64@rel32@hi+12
.LBB110_3:                              ; =>This Inner Loop Header: Depth=1
	v_add_u32_e32 v0, v19, v18
	v_mad_i64_i32 v[14:15], s[0:1], v20, 36, v[10:11]
	v_mad_i64_i32 v[24:25], s[0:1], v0, s8, v[12:13]
	global_load_dword v30, v[14:15], off offset:32
	global_load_dwordx4 v[4:7], v[14:15], off
	global_load_dwordx4 v[0:3], v[14:15], off offset:16
	v_add_co_u32_e64 v14, s[0:1], v24, v8
	v_addc_co_u32_e64 v15, s[0:1], 0, v25, s[0:1]
	v_add_co_u32_e64 v26, s[0:1], v24, v21
	v_addc_co_u32_e64 v27, s[0:1], 0, v25, s[0:1]
	global_load_dword v31, v[26:27], off offset:66
	global_load_dwordx2 v[28:29], v[14:15], off offset:2
	global_load_ushort v32, v[24:25], off
	v_mov_b32_e32 v23, 0
	v_add_u32_e32 v18, 8, v18
	v_cmp_le_u32_e32 vcc, s6, v18
	v_add_u32_e32 v20, 64, v20
	s_or_b64 s[4:5], vcc, s[4:5]
	s_waitcnt vmcnt(4)
	v_cvt_f32_f16_e32 v4, v4
	s_waitcnt vmcnt(2)
	v_and_b32_e32 v25, 0x7f, v31
	v_and_b32_e32 v14, 0xffff0000, v31
	s_waitcnt vmcnt(1)
	v_lshlrev_b32_sdwa v15, v22, v28 dst_sel:DWORD dst_unused:UNUSED_PAD src0_sel:DWORD src1_sel:BYTE_0
	v_lshlrev_b32_sdwa v24, v22, v28 dst_sel:DWORD dst_unused:UNUSED_PAD src0_sel:DWORD src1_sel:BYTE_1
	v_lshlrev_b32_sdwa v26, v22, v28 dst_sel:DWORD dst_unused:UNUSED_PAD src0_sel:DWORD src1_sel:BYTE_2
	v_lshlrev_b32_sdwa v27, v22, v28 dst_sel:DWORD dst_unused:UNUSED_PAD src0_sel:DWORD src1_sel:BYTE_3
	v_lshrrev_b32_e32 v28, 4, v31
	v_lshlrev_b32_sdwa v33, v22, v29 dst_sel:DWORD dst_unused:UNUSED_PAD src0_sel:DWORD src1_sel:BYTE_0
	v_lshlrev_b32_sdwa v34, v22, v29 dst_sel:DWORD dst_unused:UNUSED_PAD src0_sel:DWORD src1_sel:BYTE_1
	v_lshlrev_b32_sdwa v35, v22, v29 dst_sel:DWORD dst_unused:UNUSED_PAD src0_sel:DWORD src1_sel:BYTE_2
	v_lshrrev_b32_e32 v36, 18, v31
	v_lshlrev_b32_e32 v38, 3, v25
	v_lshlrev_b32_sdwa v29, v22, v29 dst_sel:DWORD dst_unused:UNUSED_PAD src0_sel:DWORD src1_sel:BYTE_3
	v_lshrrev_b32_e32 v37, 28, v31
	v_and_or_b32 v31, v31, s16, v14
	global_load_dword v39, v15, s[14:15]
	global_load_dword v40, v24, s[14:15]
	v_and_b32_e32 v28, 0x3f8, v28
	global_load_dword v41, v26, s[14:15]
	global_load_dword v42, v27, s[14:15]
	;; [unrolled: 1-line block ×4, first 2 shown]
	v_and_b32_e32 v33, 0x3f8, v36
	global_load_dword v34, v35, s[14:15]
	global_load_dword v36, v29, s[14:15]
	global_load_dwordx2 v[14:15], v38, s[12:13]
	global_load_dwordx2 v[24:25], v28, s[12:13]
	;; [unrolled: 1-line block ×3, first 2 shown]
	v_lshrrev_b32_e32 v28, 11, v31
	v_cvt_f32_ubyte0_e32 v29, v37
	v_and_b32_e32 v28, 0x3f8, v28
	v_add_f32_e32 v31, 0.5, v29
	global_load_dwordx2 v[28:29], v28, s[12:13]
	s_waitcnt vmcnt(12)
	v_cvt_f32_f16_e32 v32, v32
	s_waitcnt vmcnt(3)
	v_and_b32_e32 v35, 0xff000000, v14
	v_xor_b32_e32 v33, v14, v39
	v_and_b32_e32 v37, 0xff0000, v14
	v_and_b32_e32 v38, 0xff00, v14
	v_xor_b32_e32 v39, v15, v40
	v_and_b32_e32 v40, 0xff000000, v15
	v_and_b32_e32 v45, 0xff0000, v15
	;; [unrolled: 1-line block ×3, first 2 shown]
	s_waitcnt vmcnt(2)
	v_xor_b32_e32 v41, v24, v41
	v_and_b32_e32 v47, 0xff000000, v24
	v_and_b32_e32 v48, 0xff0000, v24
	;; [unrolled: 1-line block ×3, first 2 shown]
	v_xor_b32_e32 v42, v25, v42
	v_and_b32_e32 v50, 0xff000000, v25
	v_and_b32_e32 v51, 0xff0000, v25
	;; [unrolled: 1-line block ×3, first 2 shown]
	s_waitcnt vmcnt(1)
	v_xor_b32_e32 v34, v26, v34
	v_and_b32_e32 v53, 0xff000000, v26
	v_and_b32_e32 v54, 0xff0000, v26
	;; [unrolled: 1-line block ×3, first 2 shown]
	v_xor_b32_e32 v36, v27, v36
	v_and_b32_e32 v56, 0xff000000, v27
	v_and_b32_e32 v57, 0xff0000, v27
	;; [unrolled: 1-line block ×3, first 2 shown]
	v_sub_u32_e32 v35, v33, v35
	v_sub_u32_e32 v37, v33, v37
	v_sub_u32_e32 v38, v33, v38
	v_sub_u32_e32 v14, v33, v14
	v_sub_u32_e32 v33, v39, v40
	v_sub_u32_e32 v40, v39, v45
	v_sub_u32_e32 v45, v39, v46
	v_sub_u32_e32 v15, v39, v15
	v_sub_u32_e32 v39, v41, v47
	v_sub_u32_e32 v46, v41, v48
	v_sub_u32_e32 v47, v41, v49
	v_sub_u32_e32 v24, v41, v24
	v_sub_u32_e32 v41, v42, v50
	v_sub_u32_e32 v48, v42, v51
	v_sub_u32_e32 v49, v42, v52
	v_sub_u32_e32 v25, v42, v25
	v_sub_u32_e32 v42, v34, v53
	v_sub_u32_e32 v50, v34, v54
	v_sub_u32_e32 v51, v34, v55
	v_sub_u32_e32 v26, v34, v26
	v_sub_u32_e32 v34, v36, v56
	v_sub_u32_e32 v52, v36, v57
	v_sub_u32_e32 v53, v36, v58
	v_sub_u32_e32 v27, v36, v27
	v_and_b32_e32 v35, 0xff000000, v35
	v_and_b32_e32 v36, 0xff00, v38
	v_perm_b32 v14, v37, v14, s17
	v_and_b32_e32 v33, 0xff000000, v33
	v_and_b32_e32 v37, 0xff00, v45
	v_perm_b32 v15, v40, v15, s17
	v_or3_b32 v14, v14, v35, v36
	v_and_b32_e32 v38, 0xff000000, v39
	v_and_b32_e32 v39, 0xff00, v47
	v_perm_b32 v24, v46, v24, s17
	s_waitcnt vmcnt(0)
	v_xor_b32_e32 v43, v28, v43
	v_and_b32_e32 v45, 0xff000000, v28
	v_and_b32_e32 v46, 0xff0000, v28
	;; [unrolled: 1-line block ×3, first 2 shown]
	v_or3_b32 v15, v15, v33, v37
	v_dot4c_i32_i8_e32 v23, v14, v5
	v_and_b32_e32 v40, 0xff000000, v41
	v_and_b32_e32 v41, 0xff00, v49
	v_perm_b32 v25, v48, v25, s17
	v_xor_b32_e32 v44, v29, v44
	v_and_b32_e32 v48, 0xff000000, v29
	v_and_b32_e32 v49, 0xff0000, v29
	;; [unrolled: 1-line block ×3, first 2 shown]
	v_or3_b32 v24, v24, v38, v39
	v_sub_u32_e32 v33, v43, v45
	v_sub_u32_e32 v35, v43, v46
	;; [unrolled: 1-line block ×4, first 2 shown]
	v_dot4c_i32_i8_e32 v23, v15, v6
	v_perm_b32 v26, v50, v26, s17
	v_and_b32_e32 v34, 0xff000000, v34
	v_and_b32_e32 v50, 0xff00, v53
	v_perm_b32 v27, v52, v27, s17
	v_or3_b32 v25, v25, v40, v41
	v_sub_u32_e32 v37, v44, v48
	v_sub_u32_e32 v38, v44, v49
	;; [unrolled: 1-line block ×4, first 2 shown]
	v_and_b32_e32 v5, 0xff000000, v33
	v_and_b32_e32 v14, 0xff00, v36
	v_perm_b32 v28, v35, v28, s17
	v_dot4c_i32_i8_e32 v23, v24, v7
	v_or3_b32 v27, v27, v34, v50
	v_and_b32_e32 v33, 0xff000000, v37
	v_and_b32_e32 v34, 0xff00, v39
	v_perm_b32 v29, v38, v29, s17
	v_or3_b32 v5, v28, v5, v14
	v_dot4c_i32_i8_e32 v23, v25, v0
	v_and_b32_e32 v42, 0xff000000, v42
	v_and_b32_e32 v51, 0xff00, v51
	v_or3_b32 v6, v29, v33, v34
	v_dot4c_i32_i8_e32 v23, v5, v1
	v_or3_b32 v26, v26, v42, v51
	v_dot4c_i32_i8_e32 v23, v6, v2
	v_dot4c_i32_i8_e32 v23, v26, v3
	;; [unrolled: 1-line block ×3, first 2 shown]
	v_mul_f32_e32 v1, v31, v32
	v_mul_f32_e32 v1, v1, v4
	v_mul_f32_e32 v1, 0.5, v1
	v_cvt_f32_i32_e32 v0, v23
	v_fmac_f32_e32 v17, v1, v0
	s_andn2_b64 exec, exec, s[4:5]
	s_cbranch_execnz .LBB110_3
; %bb.4:
	s_or_b64 exec, exec, s[4:5]
.LBB110_5:
	s_or_b64 exec, exec, s[10:11]
	v_mbcnt_lo_u32_b32 v0, -1, 0
	v_mbcnt_hi_u32_b32 v1, -1, v0
	v_and_b32_e32 v0, 64, v1
	v_add_u32_e32 v2, 64, v0
	v_xor_b32_e32 v0, 32, v1
	v_cmp_lt_i32_e32 vcc, v0, v2
	v_cndmask_b32_e32 v0, v1, v0, vcc
	v_lshlrev_b32_e32 v0, 2, v0
	ds_bpermute_b32 v0, v0, v17
	v_xor_b32_e32 v3, 16, v1
	v_cmp_lt_i32_e32 vcc, v3, v2
	v_cndmask_b32_e32 v3, v1, v3, vcc
	v_lshlrev_b32_e32 v3, 2, v3
	s_waitcnt lgkmcnt(0)
	v_add_f32_e32 v0, v17, v0
	ds_bpermute_b32 v3, v3, v0
	v_xor_b32_e32 v4, 8, v1
	v_cmp_lt_i32_e32 vcc, v4, v2
	s_waitcnt lgkmcnt(0)
	v_add_f32_e32 v0, v0, v3
	v_cndmask_b32_e32 v3, v1, v4, vcc
	v_lshlrev_b32_e32 v3, 2, v3
	ds_bpermute_b32 v3, v3, v0
	v_xor_b32_e32 v4, 4, v1
	v_cmp_lt_i32_e32 vcc, v4, v2
	s_waitcnt lgkmcnt(0)
	v_add_f32_e32 v0, v0, v3
	v_cndmask_b32_e32 v3, v1, v4, vcc
	v_lshlrev_b32_e32 v3, 2, v3
	;; [unrolled: 7-line block ×3, first 2 shown]
	ds_bpermute_b32 v3, v3, v0
	v_xor_b32_e32 v4, 1, v1
	v_cmp_lt_i32_e32 vcc, v4, v2
	v_cndmask_b32_e32 v1, v1, v4, vcc
	v_lshlrev_b32_e32 v1, 2, v1
	s_waitcnt lgkmcnt(0)
	v_add_f32_e32 v0, v0, v3
	ds_bpermute_b32 v1, v1, v0
	v_cmp_eq_u32_e32 vcc, 0, v16
	s_and_b64 exec, exec, vcc
	s_cbranch_execz .LBB110_7
; %bb.6:
	s_waitcnt lgkmcnt(0)
	v_add_f32_e32 v0, v0, v1
	v_bfe_u32 v1, v0, 16, 1
	s_movk_i32 s0, 0x7fff
	v_add3_u32 v1, v0, v1, s0
	v_lshrrev_b32_e32 v1, 16, v1
	v_mov_b32_e32 v2, 0x7fc0
	v_cmp_o_f32_e32 vcc, v0, v0
	s_mul_i32 s7, s7, s9
	v_cndmask_b32_e32 v2, v2, v1, vcc
	v_add_u32_e32 v0, s7, v9
	v_mov_b32_e32 v1, 0
	v_lshlrev_b64 v[0:1], 1, v[0:1]
	v_mov_b32_e32 v3, s3
	v_add_co_u32_e32 v0, vcc, s2, v0
	v_addc_co_u32_e32 v1, vcc, v3, v1, vcc
	global_store_short v[0:1], v2, off
.LBB110_7:
	s_endpgm
	.section	.rodata,"a",@progbits
	.p2align	6, 0x0
	.amdhsa_kernel _ZL13mul_mat_vec_qIN3c108BFloat16ELi256ELi8E13block_iq3_xxsLi1EXadL_ZL20vec_dot_iq3_xxs_q8_1PKvPK10block_q8_1RKiEEEvS4_S4_PT_iii
		.amdhsa_group_segment_fixed_size 0
		.amdhsa_private_segment_fixed_size 0
		.amdhsa_kernarg_size 296
		.amdhsa_user_sgpr_count 6
		.amdhsa_user_sgpr_private_segment_buffer 1
		.amdhsa_user_sgpr_dispatch_ptr 0
		.amdhsa_user_sgpr_queue_ptr 0
		.amdhsa_user_sgpr_kernarg_segment_ptr 1
		.amdhsa_user_sgpr_dispatch_id 0
		.amdhsa_user_sgpr_flat_scratch_init 0
		.amdhsa_user_sgpr_kernarg_preload_length 0
		.amdhsa_user_sgpr_kernarg_preload_offset 0
		.amdhsa_user_sgpr_private_segment_size 0
		.amdhsa_uses_dynamic_stack 0
		.amdhsa_system_sgpr_private_segment_wavefront_offset 0
		.amdhsa_system_sgpr_workgroup_id_x 1
		.amdhsa_system_sgpr_workgroup_id_y 1
		.amdhsa_system_sgpr_workgroup_id_z 0
		.amdhsa_system_sgpr_workgroup_info 0
		.amdhsa_system_vgpr_workitem_id 1
		.amdhsa_next_free_vgpr 59
		.amdhsa_next_free_sgpr 18
		.amdhsa_accum_offset 60
		.amdhsa_reserve_vcc 1
		.amdhsa_reserve_flat_scratch 0
		.amdhsa_float_round_mode_32 0
		.amdhsa_float_round_mode_16_64 0
		.amdhsa_float_denorm_mode_32 3
		.amdhsa_float_denorm_mode_16_64 3
		.amdhsa_dx10_clamp 1
		.amdhsa_ieee_mode 1
		.amdhsa_fp16_overflow 0
		.amdhsa_tg_split 0
		.amdhsa_exception_fp_ieee_invalid_op 0
		.amdhsa_exception_fp_denorm_src 0
		.amdhsa_exception_fp_ieee_div_zero 0
		.amdhsa_exception_fp_ieee_overflow 0
		.amdhsa_exception_fp_ieee_underflow 0
		.amdhsa_exception_fp_ieee_inexact 0
		.amdhsa_exception_int_div_zero 0
	.end_amdhsa_kernel
	.section	.text._ZL13mul_mat_vec_qIN3c108BFloat16ELi256ELi8E13block_iq3_xxsLi1EXadL_ZL20vec_dot_iq3_xxs_q8_1PKvPK10block_q8_1RKiEEEvS4_S4_PT_iii,"axG",@progbits,_ZL13mul_mat_vec_qIN3c108BFloat16ELi256ELi8E13block_iq3_xxsLi1EXadL_ZL20vec_dot_iq3_xxs_q8_1PKvPK10block_q8_1RKiEEEvS4_S4_PT_iii,comdat
.Lfunc_end110:
	.size	_ZL13mul_mat_vec_qIN3c108BFloat16ELi256ELi8E13block_iq3_xxsLi1EXadL_ZL20vec_dot_iq3_xxs_q8_1PKvPK10block_q8_1RKiEEEvS4_S4_PT_iii, .Lfunc_end110-_ZL13mul_mat_vec_qIN3c108BFloat16ELi256ELi8E13block_iq3_xxsLi1EXadL_ZL20vec_dot_iq3_xxs_q8_1PKvPK10block_q8_1RKiEEEvS4_S4_PT_iii
                                        ; -- End function
	.section	.AMDGPU.csdata,"",@progbits
; Kernel info:
; codeLenInByte = 1664
; NumSgprs: 22
; NumVgprs: 59
; NumAgprs: 0
; TotalNumVgprs: 59
; ScratchSize: 0
; MemoryBound: 0
; FloatMode: 240
; IeeeMode: 1
; LDSByteSize: 0 bytes/workgroup (compile time only)
; SGPRBlocks: 2
; VGPRBlocks: 7
; NumSGPRsForWavesPerEU: 22
; NumVGPRsForWavesPerEU: 59
; AccumOffset: 60
; Occupancy: 8
; WaveLimiterHint : 0
; COMPUTE_PGM_RSRC2:SCRATCH_EN: 0
; COMPUTE_PGM_RSRC2:USER_SGPR: 6
; COMPUTE_PGM_RSRC2:TRAP_HANDLER: 0
; COMPUTE_PGM_RSRC2:TGID_X_EN: 1
; COMPUTE_PGM_RSRC2:TGID_Y_EN: 1
; COMPUTE_PGM_RSRC2:TGID_Z_EN: 0
; COMPUTE_PGM_RSRC2:TIDIG_COMP_CNT: 1
; COMPUTE_PGM_RSRC3_GFX90A:ACCUM_OFFSET: 14
; COMPUTE_PGM_RSRC3_GFX90A:TG_SPLIT: 0
	.section	.text._ZL13mul_mat_vec_qIN3c108BFloat16ELi256ELi8E11block_iq1_sLi1EXadL_ZL18vec_dot_iq1_s_q8_1PKvPK10block_q8_1RKiEEEvS4_S4_PT_iii,"axG",@progbits,_ZL13mul_mat_vec_qIN3c108BFloat16ELi256ELi8E11block_iq1_sLi1EXadL_ZL18vec_dot_iq1_s_q8_1PKvPK10block_q8_1RKiEEEvS4_S4_PT_iii,comdat
	.globl	_ZL13mul_mat_vec_qIN3c108BFloat16ELi256ELi8E11block_iq1_sLi1EXadL_ZL18vec_dot_iq1_s_q8_1PKvPK10block_q8_1RKiEEEvS4_S4_PT_iii ; -- Begin function _ZL13mul_mat_vec_qIN3c108BFloat16ELi256ELi8E11block_iq1_sLi1EXadL_ZL18vec_dot_iq1_s_q8_1PKvPK10block_q8_1RKiEEEvS4_S4_PT_iii
	.p2align	8
	.type	_ZL13mul_mat_vec_qIN3c108BFloat16ELi256ELi8E11block_iq1_sLi1EXadL_ZL18vec_dot_iq1_s_q8_1PKvPK10block_q8_1RKiEEEvS4_S4_PT_iii,@function
_ZL13mul_mat_vec_qIN3c108BFloat16ELi256ELi8E11block_iq1_sLi1EXadL_ZL18vec_dot_iq1_s_q8_1PKvPK10block_q8_1RKiEEEvS4_S4_PT_iii: ; @_ZL13mul_mat_vec_qIN3c108BFloat16ELi256ELi8E11block_iq1_sLi1EXadL_ZL18vec_dot_iq1_s_q8_1PKvPK10block_q8_1RKiEEEvS4_S4_PT_iii
; %bb.0:
	s_load_dword s8, s[4:5], 0x34
	s_load_dwordx4 s[0:3], s[4:5], 0x18
	v_bfe_u32 v1, v0, 10, 10
	s_waitcnt lgkmcnt(0)
	s_lshr_b32 s3, s8, 16
	s_mul_i32 s6, s6, s3
	v_add_u32_e32 v1, s6, v1
	s_cmp_lt_u32 s7, s2
	v_cmp_gt_u32_e32 vcc, s1, v1
	s_cselect_b64 s[2:3], -1, 0
	s_and_b64 s[2:3], s[2:3], vcc
	s_and_saveexec_b64 s[8:9], s[2:3]
	s_cbranch_execz .LBB111_7
; %bb.1:
	s_load_dwordx2 s[2:3], s[4:5], 0x10
	s_ashr_i32 s6, s0, 31
	s_lshr_b32 s6, s6, 24
	s_add_i32 s6, s0, s6
	v_and_b32_e32 v2, 0x3ff, v0
	s_ashr_i32 s6, s6, 8
	v_lshrrev_b32_e32 v4, 3, v2
	v_cmp_gt_u32_e32 vcc, s6, v4
	v_mov_b32_e32 v3, 0
	s_and_saveexec_b64 s[12:13], vcc
	s_cbranch_execz .LBB111_5
; %bb.2:
	s_addk_i32 s0, 0x1ff
	s_load_dwordx4 s[8:11], s[4:5], 0x0
	s_ashr_i32 s4, s0, 31
	s_lshr_b32 s4, s4, 23
	s_add_i32 s0, s0, s4
	s_ashr_i32 s0, s0, 9
	v_and_b32_e32 v0, 7, v2
	s_mul_i32 s0, s7, s0
	v_lshlrev_b32_e32 v8, 1, v0
	v_lshlrev_b32_e32 v6, 3, v4
	v_mul_lo_u32 v5, v1, s6
	v_mov_b32_e32 v3, 0
	v_lshl_add_u32 v6, s0, 4, v6
	s_mov_b64 s[4:5], 0
	v_lshlrev_b32_e32 v7, 1, v8
	v_lshlrev_b32_e32 v8, 1, v0
	s_movk_i32 s0, 0x700
.LBB111_3:                              ; =>This Inner Loop Header: Depth=1
	v_add_u32_e32 v9, v5, v4
	s_waitcnt lgkmcnt(0)
	v_mad_i64_i32 v[18:19], s[14:15], v9, 50, s[8:9]
	v_add_co_u32_e32 v10, vcc, v18, v7
	v_addc_co_u32_e32 v11, vcc, 0, v19, vcc
	v_add_co_u32_e32 v12, vcc, v18, v8
	v_addc_co_u32_e32 v13, vcc, 0, v19, vcc
	global_load_dword v9, v[10:11], off offset:2
	global_load_ushort v22, v[12:13], off offset:34
	v_mad_i64_i32 v[10:11], s[14:15], v6, 36, s[10:11]
	v_mad_u64_u32 v[20:21], s[16:17], v0, 36, v[10:11]
	global_load_dwordx4 v[10:13], v[20:21], off
	global_load_dwordx4 v[14:17], v[20:21], off offset:16
	global_load_ushort v23, v[18:19], off
	s_getpc_b64 s[14:15]
	s_add_u32 s14, s14, _ZL13iq1s_grid_gpu@rel32@lo+4
	s_addc_u32 s15, s15, _ZL13iq1s_grid_gpu@rel32@hi+12
	v_add_u32_e32 v4, 8, v4
	v_cmp_le_u32_e32 vcc, s6, v4
	v_add_u32_e32 v6, 64, v6
	s_or_b64 s[4:5], vcc, s[4:5]
	s_waitcnt vmcnt(4)
	v_and_b32_e32 v24, 0xff, v9
	s_waitcnt vmcnt(3)
	v_lshlrev_b32_e32 v25, 8, v22
	v_lshrrev_b16_e32 v18, 8, v9
	v_lshrrev_b32_e32 v19, 24, v9
	v_lshlrev_b32_e32 v26, 5, v22
	v_bfe_u32 v9, v9, 16, 8
	v_lshlrev_b32_e32 v27, 2, v22
	v_lshrrev_b32_e32 v28, 1, v22
	v_and_or_b32 v24, v25, s0, v24
	v_and_or_b32 v18, v26, s0, v18
	v_and_or_b32 v9, v27, s0, v9
	v_and_or_b32 v19, v28, s0, v19
	v_lshlrev_b32_e32 v24, 3, v24
	v_lshlrev_b32_e32 v18, 3, v18
	;; [unrolled: 1-line block ×4, first 2 shown]
	global_load_dword v25, v24, s[14:15]
	global_load_dword v26, v18, s[14:15]
	;; [unrolled: 1-line block ×4, first 2 shown]
	global_load_dword v29, v[20:21], off offset:32
	v_lshrrev_b32_e32 v18, 11, v22
	v_mov_b32_e32 v9, 0
	s_waitcnt vmcnt(7)
	v_cvt_f32_f16_e32 v20, v10
	v_cvt_f32_f16_sdwa v21, v10 dst_sel:DWORD dst_unused:UNUSED_PAD src0_sel:WORD_1
	s_waitcnt vmcnt(5)
	v_cvt_f32_f16_e32 v10, v23
	v_and_or_b32 v23, v18, 14, 1
	v_and_b32_e32 v22, 0x8000, v22
	v_cvt_f32_u32_e32 v22, v22
	v_mov_b32_e32 v19, 0xbf600000
	v_fmac_f32_e32 v19, 0xb7000000, v22
	s_waitcnt vmcnt(4)
	v_and_b32_e32 v18, 0xf0f0f0f, v25
	v_lshrrev_b32_e32 v24, 4, v25
	v_and_b32_e32 v24, 0xf0f0f0f, v24
	v_dot4c_i32_i8_e32 v9, v18, v11
	s_waitcnt vmcnt(3)
	v_and_b32_e32 v25, 0xf0f0f0f, v26
	v_lshrrev_b32_e32 v26, 4, v26
	v_dot4c_i32_i8_e32 v9, v24, v12
	v_and_b32_e32 v11, 0xf0f0f0f, v26
	v_dot4c_i32_i8_e32 v9, v25, v13
	s_waitcnt vmcnt(2)
	v_and_b32_e32 v30, 0xf0f0f0f, v27
	v_lshrrev_b32_e32 v27, 4, v27
	v_dot4c_i32_i8_e32 v9, v11, v14
	;; [unrolled: 6-line block ×3, first 2 shown]
	v_and_b32_e32 v26, 0xf0f0f0f, v28
	v_dot4c_i32_i8_e32 v9, v31, v17
	s_waitcnt vmcnt(0)
	v_dot4c_i32_i8_e32 v9, v26, v29
	s_nop 2
	v_cvt_f32_i32_e32 v18, v9
	v_cvt_f32_ubyte0_e32 v9, v23
	v_mul_f32_e32 v9, v9, v10
	v_pk_mul_f32 v[10:11], v[18:19], v[20:21]
	v_add_f32_e32 v10, v10, v11
	v_fmac_f32_e32 v3, v9, v10
	s_andn2_b64 exec, exec, s[4:5]
	s_cbranch_execnz .LBB111_3
; %bb.4:
	s_or_b64 exec, exec, s[4:5]
.LBB111_5:
	s_or_b64 exec, exec, s[12:13]
	v_mbcnt_lo_u32_b32 v0, -1, 0
	v_mbcnt_hi_u32_b32 v4, -1, v0
	v_and_b32_e32 v0, 64, v4
	v_add_u32_e32 v5, 64, v0
	v_xor_b32_e32 v0, 32, v4
	v_cmp_lt_i32_e32 vcc, v0, v5
	v_cndmask_b32_e32 v0, v4, v0, vcc
	v_lshlrev_b32_e32 v0, 2, v0
	ds_bpermute_b32 v0, v0, v3
	v_xor_b32_e32 v6, 16, v4
	v_cmp_lt_i32_e32 vcc, v6, v5
	s_waitcnt lgkmcnt(0)
	v_add_f32_e32 v0, v3, v0
	v_cndmask_b32_e32 v3, v4, v6, vcc
	v_lshlrev_b32_e32 v3, 2, v3
	ds_bpermute_b32 v3, v3, v0
	v_xor_b32_e32 v6, 8, v4
	v_cmp_lt_i32_e32 vcc, v6, v5
	s_waitcnt lgkmcnt(0)
	v_add_f32_e32 v0, v0, v3
	;; [unrolled: 7-line block ×5, first 2 shown]
	v_cndmask_b32_e32 v3, v4, v6, vcc
	v_lshlrev_b32_e32 v3, 2, v3
	ds_bpermute_b32 v3, v3, v0
	v_cmp_eq_u32_e32 vcc, 0, v2
	s_and_b64 exec, exec, vcc
	s_cbranch_execz .LBB111_7
; %bb.6:
	s_waitcnt lgkmcnt(0)
	v_add_f32_e32 v0, v0, v3
	v_bfe_u32 v2, v0, 16, 1
	s_movk_i32 s0, 0x7fff
	s_mul_i32 s7, s7, s1
	v_add3_u32 v2, v0, v2, s0
	v_cmp_o_f32_e32 vcc, v0, v0
	v_add_u32_e32 v0, s7, v1
	v_mov_b32_e32 v1, 0
	v_lshrrev_b32_e32 v2, 16, v2
	v_mov_b32_e32 v3, 0x7fc0
	v_lshlrev_b64 v[0:1], 1, v[0:1]
	v_cndmask_b32_e32 v2, v3, v2, vcc
	v_mov_b32_e32 v3, s3
	v_add_co_u32_e32 v0, vcc, s2, v0
	v_addc_co_u32_e32 v1, vcc, v3, v1, vcc
	global_store_short v[0:1], v2, off
.LBB111_7:
	s_endpgm
	.section	.rodata,"a",@progbits
	.p2align	6, 0x0
	.amdhsa_kernel _ZL13mul_mat_vec_qIN3c108BFloat16ELi256ELi8E11block_iq1_sLi1EXadL_ZL18vec_dot_iq1_s_q8_1PKvPK10block_q8_1RKiEEEvS4_S4_PT_iii
		.amdhsa_group_segment_fixed_size 0
		.amdhsa_private_segment_fixed_size 0
		.amdhsa_kernarg_size 296
		.amdhsa_user_sgpr_count 6
		.amdhsa_user_sgpr_private_segment_buffer 1
		.amdhsa_user_sgpr_dispatch_ptr 0
		.amdhsa_user_sgpr_queue_ptr 0
		.amdhsa_user_sgpr_kernarg_segment_ptr 1
		.amdhsa_user_sgpr_dispatch_id 0
		.amdhsa_user_sgpr_flat_scratch_init 0
		.amdhsa_user_sgpr_kernarg_preload_length 0
		.amdhsa_user_sgpr_kernarg_preload_offset 0
		.amdhsa_user_sgpr_private_segment_size 0
		.amdhsa_uses_dynamic_stack 0
		.amdhsa_system_sgpr_private_segment_wavefront_offset 0
		.amdhsa_system_sgpr_workgroup_id_x 1
		.amdhsa_system_sgpr_workgroup_id_y 1
		.amdhsa_system_sgpr_workgroup_id_z 0
		.amdhsa_system_sgpr_workgroup_info 0
		.amdhsa_system_vgpr_workitem_id 1
		.amdhsa_next_free_vgpr 32
		.amdhsa_next_free_sgpr 18
		.amdhsa_accum_offset 32
		.amdhsa_reserve_vcc 1
		.amdhsa_reserve_flat_scratch 0
		.amdhsa_float_round_mode_32 0
		.amdhsa_float_round_mode_16_64 0
		.amdhsa_float_denorm_mode_32 3
		.amdhsa_float_denorm_mode_16_64 3
		.amdhsa_dx10_clamp 1
		.amdhsa_ieee_mode 1
		.amdhsa_fp16_overflow 0
		.amdhsa_tg_split 0
		.amdhsa_exception_fp_ieee_invalid_op 0
		.amdhsa_exception_fp_denorm_src 0
		.amdhsa_exception_fp_ieee_div_zero 0
		.amdhsa_exception_fp_ieee_overflow 0
		.amdhsa_exception_fp_ieee_underflow 0
		.amdhsa_exception_fp_ieee_inexact 0
		.amdhsa_exception_int_div_zero 0
	.end_amdhsa_kernel
	.section	.text._ZL13mul_mat_vec_qIN3c108BFloat16ELi256ELi8E11block_iq1_sLi1EXadL_ZL18vec_dot_iq1_s_q8_1PKvPK10block_q8_1RKiEEEvS4_S4_PT_iii,"axG",@progbits,_ZL13mul_mat_vec_qIN3c108BFloat16ELi256ELi8E11block_iq1_sLi1EXadL_ZL18vec_dot_iq1_s_q8_1PKvPK10block_q8_1RKiEEEvS4_S4_PT_iii,comdat
.Lfunc_end111:
	.size	_ZL13mul_mat_vec_qIN3c108BFloat16ELi256ELi8E11block_iq1_sLi1EXadL_ZL18vec_dot_iq1_s_q8_1PKvPK10block_q8_1RKiEEEvS4_S4_PT_iii, .Lfunc_end111-_ZL13mul_mat_vec_qIN3c108BFloat16ELi256ELi8E11block_iq1_sLi1EXadL_ZL18vec_dot_iq1_s_q8_1PKvPK10block_q8_1RKiEEEvS4_S4_PT_iii
                                        ; -- End function
	.section	.AMDGPU.csdata,"",@progbits
; Kernel info:
; codeLenInByte = 1016
; NumSgprs: 22
; NumVgprs: 32
; NumAgprs: 0
; TotalNumVgprs: 32
; ScratchSize: 0
; MemoryBound: 0
; FloatMode: 240
; IeeeMode: 1
; LDSByteSize: 0 bytes/workgroup (compile time only)
; SGPRBlocks: 2
; VGPRBlocks: 3
; NumSGPRsForWavesPerEU: 22
; NumVGPRsForWavesPerEU: 32
; AccumOffset: 32
; Occupancy: 8
; WaveLimiterHint : 0
; COMPUTE_PGM_RSRC2:SCRATCH_EN: 0
; COMPUTE_PGM_RSRC2:USER_SGPR: 6
; COMPUTE_PGM_RSRC2:TRAP_HANDLER: 0
; COMPUTE_PGM_RSRC2:TGID_X_EN: 1
; COMPUTE_PGM_RSRC2:TGID_Y_EN: 1
; COMPUTE_PGM_RSRC2:TGID_Z_EN: 0
; COMPUTE_PGM_RSRC2:TIDIG_COMP_CNT: 1
; COMPUTE_PGM_RSRC3_GFX90A:ACCUM_OFFSET: 7
; COMPUTE_PGM_RSRC3_GFX90A:TG_SPLIT: 0
	.section	.text._ZL13mul_mat_vec_qIN3c108BFloat16ELi32ELi4E12block_iq4_nlLi2EXadL_ZL19vec_dot_iq4_nl_q8_1PKvPK10block_q8_1RKiEEEvS4_S4_PT_iii,"axG",@progbits,_ZL13mul_mat_vec_qIN3c108BFloat16ELi32ELi4E12block_iq4_nlLi2EXadL_ZL19vec_dot_iq4_nl_q8_1PKvPK10block_q8_1RKiEEEvS4_S4_PT_iii,comdat
	.globl	_ZL13mul_mat_vec_qIN3c108BFloat16ELi32ELi4E12block_iq4_nlLi2EXadL_ZL19vec_dot_iq4_nl_q8_1PKvPK10block_q8_1RKiEEEvS4_S4_PT_iii ; -- Begin function _ZL13mul_mat_vec_qIN3c108BFloat16ELi32ELi4E12block_iq4_nlLi2EXadL_ZL19vec_dot_iq4_nl_q8_1PKvPK10block_q8_1RKiEEEvS4_S4_PT_iii
	.p2align	8
	.type	_ZL13mul_mat_vec_qIN3c108BFloat16ELi32ELi4E12block_iq4_nlLi2EXadL_ZL19vec_dot_iq4_nl_q8_1PKvPK10block_q8_1RKiEEEvS4_S4_PT_iii,@function
_ZL13mul_mat_vec_qIN3c108BFloat16ELi32ELi4E12block_iq4_nlLi2EXadL_ZL19vec_dot_iq4_nl_q8_1PKvPK10block_q8_1RKiEEEvS4_S4_PT_iii: ; @_ZL13mul_mat_vec_qIN3c108BFloat16ELi32ELi4E12block_iq4_nlLi2EXadL_ZL19vec_dot_iq4_nl_q8_1PKvPK10block_q8_1RKiEEEvS4_S4_PT_iii
; %bb.0:
	s_load_dword s8, s[4:5], 0x34
	s_load_dwordx4 s[0:3], s[4:5], 0x18
	v_bfe_u32 v1, v0, 10, 10
	s_waitcnt lgkmcnt(0)
	s_lshr_b32 s3, s8, 16
	s_mul_i32 s6, s6, s3
	v_add_u32_e32 v1, s6, v1
	s_cmp_lt_u32 s7, s2
	v_cmp_gt_u32_e32 vcc, s1, v1
	s_cselect_b64 s[2:3], -1, 0
	s_and_b64 s[2:3], s[2:3], vcc
	s_and_saveexec_b64 s[8:9], s[2:3]
	s_cbranch_execz .LBB112_7
; %bb.1:
	s_load_dwordx2 s[2:3], s[4:5], 0x10
	s_ashr_i32 s6, s0, 31
	s_lshr_b32 s6, s6, 27
	s_add_i32 s6, s0, s6
	v_and_b32_e32 v0, 0x3ff, v0
	s_ashr_i32 s6, s6, 5
	v_lshrrev_b32_e32 v3, 1, v0
	v_cmp_gt_u32_e32 vcc, s6, v3
	v_mov_b32_e32 v2, 0
	s_and_saveexec_b64 s[12:13], vcc
	s_cbranch_execz .LBB112_5
; %bb.2:
	s_addk_i32 s0, 0x1ff
	s_load_dwordx4 s[8:11], s[4:5], 0x0
	s_ashr_i32 s4, s0, 31
	s_lshr_b32 s4, s4, 23
	s_add_i32 s0, s0, s4
	v_lshlrev_b32_e32 v2, 1, v0
	s_ashr_i32 s0, s0, 9
	v_and_b32_e32 v6, 2, v2
	s_mul_i32 s0, s7, s0
	v_lshlrev_b32_e32 v8, 1, v6
	v_mul_lo_u32 v4, v1, s6
	s_lshl_b32 s0, s0, 4
	v_mov_b32_e32 v2, 0
	s_mov_b64 s[4:5], 0
	v_lshlrev_b32_e32 v5, 1, v8
	v_lshlrev_b32_e32 v6, 2, v6
.LBB112_3:                              ; =>This Inner Loop Header: Depth=1
	v_add_u32_e32 v7, v4, v3
	s_waitcnt lgkmcnt(0)
	v_mad_i64_i32 v[8:9], s[14:15], v7, 18, s[8:9]
	v_add_co_u32_e32 v10, vcc, v8, v5
	v_addc_co_u32_e32 v11, vcc, 0, v9, vcc
	global_load_dwordx2 v[10:11], v[10:11], off offset:2
	v_add_u32_e32 v7, s0, v3
	v_mad_i64_i32 v[12:13], s[16:17], v7, 36, s[10:11]
	v_add_co_u32_e32 v14, vcc, v12, v6
	s_getpc_b64 s[14:15]
	s_add_u32 s14, s14, _ZL13kvalues_iq4nl@rel32@lo+4
	s_addc_u32 s15, s15, _ZL13kvalues_iq4nl@rel32@hi+12
	v_addc_co_u32_e32 v15, vcc, 0, v13, vcc
	global_load_ushort v7, v[8:9], off
	global_load_dwordx2 v[16:17], v[14:15], off offset:4
	global_load_dwordx2 v[18:19], v[14:15], off offset:20
	v_add_u32_e32 v3, 32, v3
	v_cmp_le_u32_e32 vcc, s6, v3
	s_or_b64 s[4:5], vcc, s[4:5]
	s_waitcnt vmcnt(3)
	v_bfe_u32 v8, v10, 24, 4
	v_and_b32_e32 v9, 15, v10
	v_bfe_u32 v14, v10, 8, 4
	v_bfe_u32 v15, v10, 16, 4
	;; [unrolled: 1-line block ×4, first 2 shown]
	v_lshrrev_b32_e32 v22, 28, v10
	v_bfe_u32 v10, v10, 4, 4
	v_bfe_u32 v23, v11, 24, 4
	v_and_b32_e32 v24, 15, v11
	v_bfe_u32 v25, v11, 8, 4
	v_bfe_u32 v26, v11, 16, 4
	;; [unrolled: 1-line block ×4, first 2 shown]
	v_lshrrev_b32_e32 v29, 28, v11
	v_bfe_u32 v11, v11, 4, 4
	global_load_ubyte v30, v14, s[14:15]
	global_load_ubyte v31, v15, s[14:15]
	global_load_ubyte v32, v20, s[14:15]
	global_load_ubyte v33, v21, s[14:15]
	global_load_ubyte v34, v10, s[14:15]
	global_load_ubyte v35, v22, s[14:15]
	global_load_ubyte v36, v9, s[14:15]
	global_load_ubyte v37, v8, s[14:15]
	global_load_ubyte v38, v25, s[14:15]
	global_load_ubyte v39, v26, s[14:15]
	global_load_ubyte v40, v27, s[14:15]
	global_load_ubyte v41, v28, s[14:15]
	global_load_ubyte v42, v11, s[14:15]
	global_load_ubyte v43, v29, s[14:15]
	global_load_ubyte v44, v24, s[14:15]
                                        ; kill: killed $vgpr25
                                        ; kill: killed $vgpr11
                                        ; kill: killed $vgpr9
                                        ; kill: killed $vgpr10
                                        ; kill: killed $vgpr24
                                        ; kill: killed $vgpr28
                                        ; kill: killed $vgpr15
                                        ; kill: killed $vgpr8
                                        ; kill: killed $vgpr14
                                        ; kill: killed $vgpr20
                                        ; kill: killed $vgpr29
                                        ; kill: killed $vgpr22
                                        ; kill: killed $vgpr27
                                        ; kill: killed $vgpr26
                                        ; kill: killed $vgpr21
	global_load_ubyte v8, v23, s[14:15]
	global_load_dword v9, v[12:13], off
	v_mov_b32_e32 v10, 0
	v_mov_b32_e32 v11, 0
	s_waitcnt vmcnt(19)
	v_cvt_f32_f16_e32 v7, v7
	s_waitcnt vmcnt(15)
	v_lshlrev_b32_e32 v13, 16, v31
	s_waitcnt vmcnt(13)
	v_lshlrev_b32_e32 v20, 16, v33
	s_waitcnt vmcnt(12)
	v_lshl_or_b32 v21, v32, 8, v34
	s_waitcnt vmcnt(11)
	v_lshlrev_b32_e32 v15, 24, v35
	s_waitcnt vmcnt(10)
	v_lshl_or_b32 v14, v30, 8, v36
	s_waitcnt vmcnt(9)
	v_lshlrev_b32_e32 v12, 24, v37
	v_or3_b32 v12, v14, v13, v12
	s_waitcnt vmcnt(7)
	v_lshlrev_b32_e32 v22, 16, v39
	v_or3_b32 v13, v21, v20, v15
	s_waitcnt vmcnt(5)
	v_lshlrev_b32_e32 v25, 16, v41
	s_waitcnt vmcnt(4)
	v_lshl_or_b32 v26, v40, 8, v42
	s_waitcnt vmcnt(3)
	v_lshlrev_b32_e32 v24, 24, v43
	s_waitcnt vmcnt(2)
	v_lshl_or_b32 v23, v38, 8, v44
	v_or3_b32 v14, v26, v25, v24
	v_dot4c_i32_i8_e32 v10, v12, v16
	v_dot4c_i32_i8_e32 v11, v13, v18
	;; [unrolled: 1-line block ×3, first 2 shown]
	s_waitcnt vmcnt(1)
	v_lshlrev_b32_e32 v8, 24, v8
	v_or3_b32 v8, v23, v22, v8
	v_dot4c_i32_i8_e32 v10, v8, v17
	s_waitcnt vmcnt(0)
	v_cvt_f32_f16_e32 v9, v9
	v_mul_f32_e32 v7, v7, v9
	v_add_u32_e32 v8, v11, v10
	v_cvt_f32_i32_e32 v8, v8
	v_fmac_f32_e32 v2, v7, v8
	s_andn2_b64 exec, exec, s[4:5]
	s_cbranch_execnz .LBB112_3
; %bb.4:
	s_or_b64 exec, exec, s[4:5]
.LBB112_5:
	s_or_b64 exec, exec, s[12:13]
	v_mbcnt_lo_u32_b32 v3, -1, 0
	v_mbcnt_hi_u32_b32 v3, -1, v3
	v_and_b32_e32 v4, 64, v3
	v_add_u32_e32 v4, 64, v4
	v_xor_b32_e32 v5, 32, v3
	v_cmp_lt_i32_e32 vcc, v5, v4
	v_cndmask_b32_e32 v5, v3, v5, vcc
	v_lshlrev_b32_e32 v5, 2, v5
	ds_bpermute_b32 v5, v5, v2
	v_xor_b32_e32 v6, 16, v3
	v_cmp_lt_i32_e32 vcc, v6, v4
	s_waitcnt lgkmcnt(0)
	v_add_f32_e32 v2, v2, v5
	v_cndmask_b32_e32 v5, v3, v6, vcc
	v_lshlrev_b32_e32 v5, 2, v5
	ds_bpermute_b32 v5, v5, v2
	v_xor_b32_e32 v6, 8, v3
	v_cmp_lt_i32_e32 vcc, v6, v4
	s_waitcnt lgkmcnt(0)
	v_add_f32_e32 v2, v2, v5
	;; [unrolled: 7-line block ×4, first 2 shown]
	v_cndmask_b32_e32 v5, v3, v6, vcc
	v_lshlrev_b32_e32 v5, 2, v5
	ds_bpermute_b32 v5, v5, v2
	v_xor_b32_e32 v6, 1, v3
	v_cmp_lt_i32_e32 vcc, v6, v4
	v_cndmask_b32_e32 v3, v3, v6, vcc
	v_lshlrev_b32_e32 v3, 2, v3
	s_waitcnt lgkmcnt(0)
	v_add_f32_e32 v2, v2, v5
	ds_bpermute_b32 v3, v3, v2
	v_cmp_eq_u32_e32 vcc, 0, v0
	s_and_b64 exec, exec, vcc
	s_cbranch_execz .LBB112_7
; %bb.6:
	s_waitcnt lgkmcnt(0)
	v_add_f32_e32 v0, v2, v3
	v_bfe_u32 v2, v0, 16, 1
	s_movk_i32 s0, 0x7fff
	s_mul_i32 s7, s7, s1
	v_add3_u32 v2, v0, v2, s0
	v_cmp_o_f32_e32 vcc, v0, v0
	v_add_u32_e32 v0, s7, v1
	v_mov_b32_e32 v1, 0
	v_lshrrev_b32_e32 v2, 16, v2
	v_mov_b32_e32 v3, 0x7fc0
	v_lshlrev_b64 v[0:1], 1, v[0:1]
	v_cndmask_b32_e32 v2, v3, v2, vcc
	v_mov_b32_e32 v3, s3
	v_add_co_u32_e32 v0, vcc, s2, v0
	v_addc_co_u32_e32 v1, vcc, v3, v1, vcc
	global_store_short v[0:1], v2, off
.LBB112_7:
	s_endpgm
	.section	.rodata,"a",@progbits
	.p2align	6, 0x0
	.amdhsa_kernel _ZL13mul_mat_vec_qIN3c108BFloat16ELi32ELi4E12block_iq4_nlLi2EXadL_ZL19vec_dot_iq4_nl_q8_1PKvPK10block_q8_1RKiEEEvS4_S4_PT_iii
		.amdhsa_group_segment_fixed_size 0
		.amdhsa_private_segment_fixed_size 0
		.amdhsa_kernarg_size 296
		.amdhsa_user_sgpr_count 6
		.amdhsa_user_sgpr_private_segment_buffer 1
		.amdhsa_user_sgpr_dispatch_ptr 0
		.amdhsa_user_sgpr_queue_ptr 0
		.amdhsa_user_sgpr_kernarg_segment_ptr 1
		.amdhsa_user_sgpr_dispatch_id 0
		.amdhsa_user_sgpr_flat_scratch_init 0
		.amdhsa_user_sgpr_kernarg_preload_length 0
		.amdhsa_user_sgpr_kernarg_preload_offset 0
		.amdhsa_user_sgpr_private_segment_size 0
		.amdhsa_uses_dynamic_stack 0
		.amdhsa_system_sgpr_private_segment_wavefront_offset 0
		.amdhsa_system_sgpr_workgroup_id_x 1
		.amdhsa_system_sgpr_workgroup_id_y 1
		.amdhsa_system_sgpr_workgroup_id_z 0
		.amdhsa_system_sgpr_workgroup_info 0
		.amdhsa_system_vgpr_workitem_id 1
		.amdhsa_next_free_vgpr 45
		.amdhsa_next_free_sgpr 18
		.amdhsa_accum_offset 48
		.amdhsa_reserve_vcc 1
		.amdhsa_reserve_flat_scratch 0
		.amdhsa_float_round_mode_32 0
		.amdhsa_float_round_mode_16_64 0
		.amdhsa_float_denorm_mode_32 3
		.amdhsa_float_denorm_mode_16_64 3
		.amdhsa_dx10_clamp 1
		.amdhsa_ieee_mode 1
		.amdhsa_fp16_overflow 0
		.amdhsa_tg_split 0
		.amdhsa_exception_fp_ieee_invalid_op 0
		.amdhsa_exception_fp_denorm_src 0
		.amdhsa_exception_fp_ieee_div_zero 0
		.amdhsa_exception_fp_ieee_overflow 0
		.amdhsa_exception_fp_ieee_underflow 0
		.amdhsa_exception_fp_ieee_inexact 0
		.amdhsa_exception_int_div_zero 0
	.end_amdhsa_kernel
	.section	.text._ZL13mul_mat_vec_qIN3c108BFloat16ELi32ELi4E12block_iq4_nlLi2EXadL_ZL19vec_dot_iq4_nl_q8_1PKvPK10block_q8_1RKiEEEvS4_S4_PT_iii,"axG",@progbits,_ZL13mul_mat_vec_qIN3c108BFloat16ELi32ELi4E12block_iq4_nlLi2EXadL_ZL19vec_dot_iq4_nl_q8_1PKvPK10block_q8_1RKiEEEvS4_S4_PT_iii,comdat
.Lfunc_end112:
	.size	_ZL13mul_mat_vec_qIN3c108BFloat16ELi32ELi4E12block_iq4_nlLi2EXadL_ZL19vec_dot_iq4_nl_q8_1PKvPK10block_q8_1RKiEEEvS4_S4_PT_iii, .Lfunc_end112-_ZL13mul_mat_vec_qIN3c108BFloat16ELi32ELi4E12block_iq4_nlLi2EXadL_ZL19vec_dot_iq4_nl_q8_1PKvPK10block_q8_1RKiEEEvS4_S4_PT_iii
                                        ; -- End function
	.section	.AMDGPU.csdata,"",@progbits
; Kernel info:
; codeLenInByte = 1076
; NumSgprs: 22
; NumVgprs: 45
; NumAgprs: 0
; TotalNumVgprs: 45
; ScratchSize: 0
; MemoryBound: 0
; FloatMode: 240
; IeeeMode: 1
; LDSByteSize: 0 bytes/workgroup (compile time only)
; SGPRBlocks: 2
; VGPRBlocks: 5
; NumSGPRsForWavesPerEU: 22
; NumVGPRsForWavesPerEU: 45
; AccumOffset: 48
; Occupancy: 8
; WaveLimiterHint : 0
; COMPUTE_PGM_RSRC2:SCRATCH_EN: 0
; COMPUTE_PGM_RSRC2:USER_SGPR: 6
; COMPUTE_PGM_RSRC2:TRAP_HANDLER: 0
; COMPUTE_PGM_RSRC2:TGID_X_EN: 1
; COMPUTE_PGM_RSRC2:TGID_Y_EN: 1
; COMPUTE_PGM_RSRC2:TGID_Z_EN: 0
; COMPUTE_PGM_RSRC2:TIDIG_COMP_CNT: 1
; COMPUTE_PGM_RSRC3_GFX90A:ACCUM_OFFSET: 11
; COMPUTE_PGM_RSRC3_GFX90A:TG_SPLIT: 0
	.section	.text._ZL13mul_mat_vec_qIN3c108BFloat16ELi256ELi8E11block_iq3_sLi1EXadL_ZL18vec_dot_iq3_s_q8_1PKvPK10block_q8_1RKiEEEvS4_S4_PT_iii,"axG",@progbits,_ZL13mul_mat_vec_qIN3c108BFloat16ELi256ELi8E11block_iq3_sLi1EXadL_ZL18vec_dot_iq3_s_q8_1PKvPK10block_q8_1RKiEEEvS4_S4_PT_iii,comdat
	.globl	_ZL13mul_mat_vec_qIN3c108BFloat16ELi256ELi8E11block_iq3_sLi1EXadL_ZL18vec_dot_iq3_s_q8_1PKvPK10block_q8_1RKiEEEvS4_S4_PT_iii ; -- Begin function _ZL13mul_mat_vec_qIN3c108BFloat16ELi256ELi8E11block_iq3_sLi1EXadL_ZL18vec_dot_iq3_s_q8_1PKvPK10block_q8_1RKiEEEvS4_S4_PT_iii
	.p2align	8
	.type	_ZL13mul_mat_vec_qIN3c108BFloat16ELi256ELi8E11block_iq3_sLi1EXadL_ZL18vec_dot_iq3_s_q8_1PKvPK10block_q8_1RKiEEEvS4_S4_PT_iii,@function
_ZL13mul_mat_vec_qIN3c108BFloat16ELi256ELi8E11block_iq3_sLi1EXadL_ZL18vec_dot_iq3_s_q8_1PKvPK10block_q8_1RKiEEEvS4_S4_PT_iii: ; @_ZL13mul_mat_vec_qIN3c108BFloat16ELi256ELi8E11block_iq3_sLi1EXadL_ZL18vec_dot_iq3_s_q8_1PKvPK10block_q8_1RKiEEEvS4_S4_PT_iii
; %bb.0:
	s_load_dword s8, s[4:5], 0x34
	s_load_dwordx4 s[0:3], s[4:5], 0x18
	v_bfe_u32 v1, v0, 10, 10
	s_waitcnt lgkmcnt(0)
	s_lshr_b32 s3, s8, 16
	s_mul_i32 s6, s6, s3
	v_add_u32_e32 v1, s6, v1
	s_cmp_lt_u32 s7, s2
	v_cmp_gt_u32_e32 vcc, s1, v1
	s_cselect_b64 s[2:3], -1, 0
	s_and_b64 s[2:3], s[2:3], vcc
	s_and_saveexec_b64 s[8:9], s[2:3]
	s_cbranch_execz .LBB113_9
; %bb.1:
	s_load_dwordx2 s[2:3], s[4:5], 0x10
	s_ashr_i32 s6, s0, 31
	s_lshr_b32 s6, s6, 24
	s_add_i32 s6, s0, s6
	v_and_b32_e32 v5, 0x3ff, v0
	s_ashr_i32 s6, s6, 8
	v_lshrrev_b32_e32 v23, 3, v5
	v_cmp_gt_u32_e32 vcc, s6, v23
	v_mov_b32_e32 v22, 0
	s_and_saveexec_b64 s[8:9], vcc
	s_cbranch_execz .LBB113_7
; %bb.2:
	s_load_dwordx4 s[12:15], s[4:5], 0x0
	s_addk_i32 s0, 0x1ff
	s_ashr_i32 s4, s0, 31
	v_and_b32_e32 v0, 7, v5
	v_lshlrev_b32_e32 v6, 2, v5
	s_lshr_b32 s4, s4, 23
	v_and_b32_e32 v25, 4, v6
	v_lshlrev_b32_e32 v6, 2, v0
	s_add_i32 s0, s0, s4
	s_waitcnt lgkmcnt(0)
	v_mad_u64_u32 v[2:3], s[4:5], v0, 36, s[14:15]
	v_mov_b32_e32 v9, s13
	v_add_co_u32_e32 v6, vcc, s12, v6
	v_addc_co_u32_e32 v7, vcc, 0, v9, vcc
	s_movk_i32 s4, 0x4a
	v_add_co_u32_e32 v6, vcc, s4, v6
	v_lshlrev_b32_e32 v8, 3, v0
	v_addc_co_u32_e32 v7, vcc, 0, v7, vcc
	v_add_co_u32_e32 v8, vcc, s12, v8
	s_ashr_i32 s0, s0, 9
	v_addc_co_u32_e32 v9, vcc, 0, v9, vcc
	s_mul_i32 s0, s7, s0
	v_mul_lo_u32 v24, v1, s6
	v_add_co_u32_e32 v8, vcc, 2, v8
	s_lshl_b32 s0, s0, 4
	v_mov_b32_e32 v22, 0
	v_bfe_u32 v4, v5, 1, 2
	v_add_u32_e32 v26, v23, v24
	v_addc_co_u32_e32 v9, vcc, 0, v9, vcc
	s_mov_b64 s[4:5], 0
	s_movk_i32 s10, 0x6e
	v_pk_mov_b32 v[10:11], s[12:13], s[12:13] op_sel:[0,1]
	s_movk_i32 s11, 0x100
	s_mov_b32 s12, 0x1010101
	s_mov_b32 s13, 0x1000000
	v_mov_b32_e32 v27, 0xff0000
	v_mov_b32_e32 v28, 0xff00
	;; [unrolled: 1-line block ×3, first 2 shown]
	s_mov_b32 s14, 0xc060c00
.LBB113_3:                              ; =>This Loop Header: Depth=1
                                        ;     Child Loop BB113_4 Depth 2
	v_add_u32_e32 v12, v23, v24
	v_mad_i64_i32 v[12:13], s[16:17], v12, s10, v[10:11]
	v_add_co_u32_e32 v14, vcc, v12, v0
	v_addc_co_u32_e32 v15, vcc, 0, v13, vcc
	global_load_ubyte v31, v[14:15], off offset:66
	v_lshl_add_u32 v14, v23, 3, s0
	v_mad_i64_i32 v[14:15], s[16:17], v14, 36, v[2:3]
	v_add_co_u32_e32 v20, vcc, 4, v14
	v_mad_i64_i32 v[16:17], s[16:17], v26, s10, v[6:7]
	v_mad_i64_i32 v[18:19], s[16:17], v26, s10, v[8:9]
	v_addc_co_u32_e32 v21, vcc, 0, v15, vcc
	s_mov_b32 s15, 7
	v_mov_b32_e32 v30, 0
.LBB113_4:                              ;   Parent Loop BB113_3 Depth=1
                                        ; =>  This Inner Loop Header: Depth=2
	global_load_ushort v32, v[18:19], off
	global_load_ubyte v34, v[16:17], off
	s_add_i32 s18, s15, 1
	s_waitcnt vmcnt(2)
	v_lshlrev_b32_e32 v35, s18, v31
	v_lshlrev_b32_e32 v33, s15, v31
	s_getpc_b64 s[16:17]
	s_add_u32 s16, s16, _ZL10iq3xs_grid@rel32@lo+4
	s_addc_u32 s17, s17, _ZL10iq3xs_grid@rel32@hi+12
	s_add_i32 s15, s15, -2
	s_cmp_lg_u32 s15, -1
	s_waitcnt vmcnt(1)
	v_and_b32_e32 v36, 0xff, v32
	v_lshrrev_b16_e32 v32, 8, v32
	v_and_or_b32 v35, v35, s11, v36
	v_and_or_b32 v32, v33, s11, v32
	v_lshlrev_b32_e32 v35, 2, v35
	v_lshlrev_b32_e32 v36, 2, v32
	global_load_dword v37, v35, s[16:17]
	global_load_dword v38, v36, s[16:17]
	global_load_dwordx2 v[32:33], v[20:21], off
	v_add_co_u32_e32 v20, vcc, 8, v20
	v_addc_co_u32_e32 v21, vcc, 0, v21, vcc
	v_add_co_u32_e32 v16, vcc, 1, v16
	s_waitcnt vmcnt(3)
	v_and_b32_e32 v35, 15, v34
	v_lshrrev_b16_e32 v34, 4, v34
	v_addc_co_u32_e32 v17, vcc, 0, v17, vcc
	v_mul_lo_u32 v34, v34, s12
	v_add_co_u32_e32 v18, vcc, 2, v18
	v_not_b32_e32 v34, v34
	v_addc_co_u32_e32 v19, vcc, 0, v19, vcc
	v_and_b32_e32 v36, 0x8040201, v34
	v_and_b32_e32 v35, 0xffff, v35
	v_and_b32_e32 v39, 0x40000, v34
	v_cmp_gt_u32_e32 vcc, s13, v36
	v_mul_lo_u32 v35, v35, s12
	v_and_b32_e32 v40, 0x200, v34
	v_cndmask_b32_e64 v36, 0, -1, vcc
	v_cmp_eq_u32_e32 vcc, 0, v39
	v_not_b32_e32 v35, v35
	v_and_b32_e32 v34, 1, v34
	v_cndmask_b32_e32 v39, 0, v27, vcc
	v_cmp_eq_u32_e32 vcc, 0, v40
	v_and_b32_e32 v41, 0x8040201, v35
	v_cndmask_b32_e32 v40, 0, v28, vcc
	v_cmp_eq_u32_e32 vcc, 0, v34
	v_and_b32_e32 v42, 0x40000, v35
	v_cndmask_b32_e32 v34, 0, v29, vcc
	v_cmp_gt_u32_e32 vcc, s13, v41
	v_and_b32_e32 v43, 0x200, v35
	v_cndmask_b32_e64 v41, 0, -1, vcc
	v_cmp_eq_u32_e32 vcc, 0, v42
	v_and_b32_e32 v35, 1, v35
	v_cndmask_b32_e32 v42, 0, v27, vcc
	v_cmp_eq_u32_e32 vcc, 0, v43
	v_cndmask_b32_e32 v43, 0, v28, vcc
	v_cmp_eq_u32_e32 vcc, 0, v35
	v_cndmask_b32_e32 v35, 0, v29, vcc
	v_lshlrev_b32_e32 v41, 24, v41
	v_or_b32_e32 v45, v43, v35
	v_lshlrev_b32_e32 v36, 24, v36
	v_or_b32_e32 v44, v40, v34
	v_or3_b32 v45, v45, v42, v41
	v_or3_b32 v44, v44, v39, v36
	s_waitcnt vmcnt(2)
	v_xor_b32_e32 v37, v45, v37
	s_waitcnt vmcnt(1)
	v_xor_b32_e32 v38, v44, v38
	v_sub_u32_e32 v41, v37, v41
	v_sub_u32_e32 v42, v37, v42
	;; [unrolled: 1-line block ×8, first 2 shown]
	v_and_b32_e32 v38, 0xff000000, v41
	v_and_b32_e32 v40, 0xff00, v43
	v_perm_b32 v35, v42, v35, s14
	v_and_b32_e32 v36, 0xff000000, v36
	v_and_b32_e32 v39, 0xff00, v39
	v_perm_b32 v34, v37, v34, s14
	v_or3_b32 v35, v35, v38, v40
	v_or3_b32 v34, v34, v36, v39
	s_waitcnt vmcnt(0)
	v_dot4c_i32_i8_e32 v30, v35, v32
	v_dot4c_i32_i8_e32 v30, v34, v33
	s_cbranch_scc1 .LBB113_4
; %bb.5:                                ;   in Loop: Header=BB113_3 Depth=1
	global_load_ushort v16, v[12:13], off
	v_add_co_u32_e32 v12, vcc, v12, v4
	v_addc_co_u32_e32 v13, vcc, 0, v13, vcc
	global_load_dword v17, v[14:15], off
	global_load_ubyte v18, v[12:13], off offset:106
	v_cvt_f32_i32_e32 v12, v30
	v_add_u32_e32 v23, 8, v23
	v_cmp_le_u32_e32 vcc, s6, v23
	s_or_b64 s[4:5], vcc, s[4:5]
	v_add_u32_e32 v26, 8, v26
	s_waitcnt vmcnt(2)
	v_cvt_f32_f16_e32 v13, v16
	s_waitcnt vmcnt(1)
	v_cvt_f32_f16_e32 v14, v17
	s_waitcnt vmcnt(0)
	v_bfe_u32 v15, v18, v25, 4
	v_cvt_f32_ubyte0_e32 v15, v15
	v_add_f32_e32 v15, 0.5, v15
	v_mul_f32_e32 v13, v15, v13
	v_mul_f32_e32 v13, v13, v14
	v_mul_f32_e32 v13, 0.5, v13
	v_fmac_f32_e32 v22, v13, v12
	s_andn2_b64 exec, exec, s[4:5]
	s_cbranch_execnz .LBB113_3
; %bb.6:
	s_or_b64 exec, exec, s[4:5]
.LBB113_7:
	s_or_b64 exec, exec, s[8:9]
	v_mbcnt_lo_u32_b32 v0, -1, 0
	v_mbcnt_hi_u32_b32 v2, -1, v0
	v_and_b32_e32 v0, 64, v2
	v_add_u32_e32 v3, 64, v0
	v_xor_b32_e32 v0, 32, v2
	v_cmp_lt_i32_e32 vcc, v0, v3
	v_cndmask_b32_e32 v0, v2, v0, vcc
	v_lshlrev_b32_e32 v0, 2, v0
	ds_bpermute_b32 v0, v0, v22
	v_xor_b32_e32 v4, 16, v2
	v_cmp_lt_i32_e32 vcc, v4, v3
	v_cndmask_b32_e32 v4, v2, v4, vcc
	v_lshlrev_b32_e32 v4, 2, v4
	s_waitcnt lgkmcnt(0)
	v_add_f32_e32 v0, v22, v0
	ds_bpermute_b32 v4, v4, v0
	v_xor_b32_e32 v6, 8, v2
	v_cmp_lt_i32_e32 vcc, v6, v3
	s_waitcnt lgkmcnt(0)
	v_add_f32_e32 v0, v0, v4
	v_cndmask_b32_e32 v4, v2, v6, vcc
	v_lshlrev_b32_e32 v4, 2, v4
	ds_bpermute_b32 v4, v4, v0
	v_xor_b32_e32 v6, 4, v2
	v_cmp_lt_i32_e32 vcc, v6, v3
	s_waitcnt lgkmcnt(0)
	v_add_f32_e32 v0, v0, v4
	v_cndmask_b32_e32 v4, v2, v6, vcc
	v_lshlrev_b32_e32 v4, 2, v4
	ds_bpermute_b32 v4, v4, v0
	v_xor_b32_e32 v6, 2, v2
	v_cmp_lt_i32_e32 vcc, v6, v3
	s_waitcnt lgkmcnt(0)
	v_add_f32_e32 v0, v0, v4
	v_cndmask_b32_e32 v4, v2, v6, vcc
	v_lshlrev_b32_e32 v4, 2, v4
	ds_bpermute_b32 v4, v4, v0
	v_xor_b32_e32 v6, 1, v2
	v_cmp_lt_i32_e32 vcc, v6, v3
	v_cndmask_b32_e32 v2, v2, v6, vcc
	v_lshlrev_b32_e32 v2, 2, v2
	s_waitcnt lgkmcnt(0)
	v_add_f32_e32 v0, v0, v4
	ds_bpermute_b32 v2, v2, v0
	v_cmp_eq_u32_e32 vcc, 0, v5
	s_and_b64 exec, exec, vcc
	s_cbranch_execz .LBB113_9
; %bb.8:
	s_waitcnt lgkmcnt(0)
	v_add_f32_e32 v0, v0, v2
	v_bfe_u32 v2, v0, 16, 1
	s_movk_i32 s0, 0x7fff
	s_mul_i32 s7, s7, s1
	v_add3_u32 v2, v0, v2, s0
	v_cmp_o_f32_e32 vcc, v0, v0
	v_add_u32_e32 v0, s7, v1
	v_mov_b32_e32 v1, 0
	v_lshrrev_b32_e32 v2, 16, v2
	v_mov_b32_e32 v3, 0x7fc0
	v_lshlrev_b64 v[0:1], 1, v[0:1]
	v_cndmask_b32_e32 v2, v3, v2, vcc
	v_mov_b32_e32 v3, s3
	v_add_co_u32_e32 v0, vcc, s2, v0
	v_addc_co_u32_e32 v1, vcc, v3, v1, vcc
	global_store_short v[0:1], v2, off
.LBB113_9:
	s_endpgm
	.section	.rodata,"a",@progbits
	.p2align	6, 0x0
	.amdhsa_kernel _ZL13mul_mat_vec_qIN3c108BFloat16ELi256ELi8E11block_iq3_sLi1EXadL_ZL18vec_dot_iq3_s_q8_1PKvPK10block_q8_1RKiEEEvS4_S4_PT_iii
		.amdhsa_group_segment_fixed_size 0
		.amdhsa_private_segment_fixed_size 0
		.amdhsa_kernarg_size 296
		.amdhsa_user_sgpr_count 6
		.amdhsa_user_sgpr_private_segment_buffer 1
		.amdhsa_user_sgpr_dispatch_ptr 0
		.amdhsa_user_sgpr_queue_ptr 0
		.amdhsa_user_sgpr_kernarg_segment_ptr 1
		.amdhsa_user_sgpr_dispatch_id 0
		.amdhsa_user_sgpr_flat_scratch_init 0
		.amdhsa_user_sgpr_kernarg_preload_length 0
		.amdhsa_user_sgpr_kernarg_preload_offset 0
		.amdhsa_user_sgpr_private_segment_size 0
		.amdhsa_uses_dynamic_stack 0
		.amdhsa_system_sgpr_private_segment_wavefront_offset 0
		.amdhsa_system_sgpr_workgroup_id_x 1
		.amdhsa_system_sgpr_workgroup_id_y 1
		.amdhsa_system_sgpr_workgroup_id_z 0
		.amdhsa_system_sgpr_workgroup_info 0
		.amdhsa_system_vgpr_workitem_id 1
		.amdhsa_next_free_vgpr 46
		.amdhsa_next_free_sgpr 19
		.amdhsa_accum_offset 48
		.amdhsa_reserve_vcc 1
		.amdhsa_reserve_flat_scratch 0
		.amdhsa_float_round_mode_32 0
		.amdhsa_float_round_mode_16_64 0
		.amdhsa_float_denorm_mode_32 3
		.amdhsa_float_denorm_mode_16_64 3
		.amdhsa_dx10_clamp 1
		.amdhsa_ieee_mode 1
		.amdhsa_fp16_overflow 0
		.amdhsa_tg_split 0
		.amdhsa_exception_fp_ieee_invalid_op 0
		.amdhsa_exception_fp_denorm_src 0
		.amdhsa_exception_fp_ieee_div_zero 0
		.amdhsa_exception_fp_ieee_overflow 0
		.amdhsa_exception_fp_ieee_underflow 0
		.amdhsa_exception_fp_ieee_inexact 0
		.amdhsa_exception_int_div_zero 0
	.end_amdhsa_kernel
	.section	.text._ZL13mul_mat_vec_qIN3c108BFloat16ELi256ELi8E11block_iq3_sLi1EXadL_ZL18vec_dot_iq3_s_q8_1PKvPK10block_q8_1RKiEEEvS4_S4_PT_iii,"axG",@progbits,_ZL13mul_mat_vec_qIN3c108BFloat16ELi256ELi8E11block_iq3_sLi1EXadL_ZL18vec_dot_iq3_s_q8_1PKvPK10block_q8_1RKiEEEvS4_S4_PT_iii,comdat
.Lfunc_end113:
	.size	_ZL13mul_mat_vec_qIN3c108BFloat16ELi256ELi8E11block_iq3_sLi1EXadL_ZL18vec_dot_iq3_s_q8_1PKvPK10block_q8_1RKiEEEvS4_S4_PT_iii, .Lfunc_end113-_ZL13mul_mat_vec_qIN3c108BFloat16ELi256ELi8E11block_iq3_sLi1EXadL_ZL18vec_dot_iq3_s_q8_1PKvPK10block_q8_1RKiEEEvS4_S4_PT_iii
                                        ; -- End function
	.section	.AMDGPU.csdata,"",@progbits
; Kernel info:
; codeLenInByte = 1304
; NumSgprs: 23
; NumVgprs: 46
; NumAgprs: 0
; TotalNumVgprs: 46
; ScratchSize: 0
; MemoryBound: 0
; FloatMode: 240
; IeeeMode: 1
; LDSByteSize: 0 bytes/workgroup (compile time only)
; SGPRBlocks: 2
; VGPRBlocks: 5
; NumSGPRsForWavesPerEU: 23
; NumVGPRsForWavesPerEU: 46
; AccumOffset: 48
; Occupancy: 8
; WaveLimiterHint : 0
; COMPUTE_PGM_RSRC2:SCRATCH_EN: 0
; COMPUTE_PGM_RSRC2:USER_SGPR: 6
; COMPUTE_PGM_RSRC2:TRAP_HANDLER: 0
; COMPUTE_PGM_RSRC2:TGID_X_EN: 1
; COMPUTE_PGM_RSRC2:TGID_Y_EN: 1
; COMPUTE_PGM_RSRC2:TGID_Z_EN: 0
; COMPUTE_PGM_RSRC2:TIDIG_COMP_CNT: 1
; COMPUTE_PGM_RSRC3_GFX90A:ACCUM_OFFSET: 11
; COMPUTE_PGM_RSRC3_GFX90A:TG_SPLIT: 0
	.section	.text._ZL13mul_mat_vec_qIN3c108BFloat16ELi256ELi8E11block_iq2_sLi1EXadL_ZL18vec_dot_iq2_s_q8_1PKvPK10block_q8_1RKiEEEvS4_S4_PT_iii,"axG",@progbits,_ZL13mul_mat_vec_qIN3c108BFloat16ELi256ELi8E11block_iq2_sLi1EXadL_ZL18vec_dot_iq2_s_q8_1PKvPK10block_q8_1RKiEEEvS4_S4_PT_iii,comdat
	.globl	_ZL13mul_mat_vec_qIN3c108BFloat16ELi256ELi8E11block_iq2_sLi1EXadL_ZL18vec_dot_iq2_s_q8_1PKvPK10block_q8_1RKiEEEvS4_S4_PT_iii ; -- Begin function _ZL13mul_mat_vec_qIN3c108BFloat16ELi256ELi8E11block_iq2_sLi1EXadL_ZL18vec_dot_iq2_s_q8_1PKvPK10block_q8_1RKiEEEvS4_S4_PT_iii
	.p2align	8
	.type	_ZL13mul_mat_vec_qIN3c108BFloat16ELi256ELi8E11block_iq2_sLi1EXadL_ZL18vec_dot_iq2_s_q8_1PKvPK10block_q8_1RKiEEEvS4_S4_PT_iii,@function
_ZL13mul_mat_vec_qIN3c108BFloat16ELi256ELi8E11block_iq2_sLi1EXadL_ZL18vec_dot_iq2_s_q8_1PKvPK10block_q8_1RKiEEEvS4_S4_PT_iii: ; @_ZL13mul_mat_vec_qIN3c108BFloat16ELi256ELi8E11block_iq2_sLi1EXadL_ZL18vec_dot_iq2_s_q8_1PKvPK10block_q8_1RKiEEEvS4_S4_PT_iii
; %bb.0:
	s_load_dword s0, s[4:5], 0x34
	s_load_dwordx4 s[8:11], s[4:5], 0x18
	v_bfe_u32 v1, v0, 10, 10
	s_waitcnt lgkmcnt(0)
	s_lshr_b32 s0, s0, 16
	s_mul_i32 s6, s6, s0
	v_add_u32_e32 v1, s6, v1
	s_cmp_lt_u32 s7, s10
	v_cmp_gt_u32_e32 vcc, s9, v1
	s_cselect_b64 s[0:1], -1, 0
	s_and_b64 s[0:1], s[0:1], vcc
	s_and_saveexec_b64 s[2:3], s[0:1]
	s_cbranch_execz .LBB114_7
; %bb.1:
	s_load_dwordx2 s[2:3], s[4:5], 0x10
	s_ashr_i32 s0, s8, 31
	s_lshr_b32 s0, s0, 24
	s_add_i32 s0, s8, s0
	v_and_b32_e32 v5, 0x3ff, v0
	s_ashr_i32 s6, s0, 8
	v_lshrrev_b32_e32 v15, 3, v5
	v_cmp_gt_u32_e32 vcc, s6, v15
	v_mov_b32_e32 v14, 0
	s_and_saveexec_b64 s[10:11], vcc
	s_cbranch_execz .LBB114_5
; %bb.2:
	s_add_i32 s0, s8, 0x1ff
	s_load_dwordx4 s[12:15], s[4:5], 0x0
	s_ashr_i32 s1, s0, 31
	s_lshr_b32 s1, s1, 23
	s_add_i32 s0, s0, s1
	s_ashr_i32 s0, s0, 9
	s_mul_i32 s4, s7, s0
	v_and_b32_e32 v0, 7, v5
	v_lshlrev_b32_e32 v6, 3, v15
	v_mul_lo_u32 v16, v1, s6
	v_mov_b32_e32 v14, 0
	s_waitcnt lgkmcnt(0)
	v_mad_u64_u32 v[2:3], s[0:1], v0, 36, s[14:15]
	v_lshlrev_b32_e32 v4, 2, v0
	v_lshl_add_u32 v17, s4, 4, v6
	s_mov_b64 s[4:5], 0
	s_movk_i32 s8, 0x52
	v_pk_mov_b32 v[6:7], s[12:13], s[12:13] op_sel:[0,1]
	s_movk_i32 s12, 0x300
	s_mov_b32 s13, 0x1010101
	s_mov_b32 s14, 0x1000000
	v_mov_b32_e32 v18, 0xff0000
	v_mov_b32_e32 v19, 0xff00
	;; [unrolled: 1-line block ×3, first 2 shown]
	s_mov_b32 s15, 0xc060c00
	v_mov_b32_e32 v21, 4
.LBB114_3:                              ; =>This Inner Loop Header: Depth=1
	v_add_u32_e32 v8, v16, v15
	v_mad_i64_i32 v[8:9], s[16:17], v8, s8, v[6:7]
	v_add_co_u32_e32 v10, vcc, v8, v4
	v_addc_co_u32_e32 v11, vcc, 0, v9, vcc
	v_add_co_u32_e32 v12, vcc, v8, v0
	v_addc_co_u32_e32 v13, vcc, 0, v9, vcc
	global_load_ushort v26, v[8:9], off
	global_load_dword v22, v[10:11], off offset:2
	global_load_ubyte v23, v[12:13], off offset:66
	global_load_dword v24, v[10:11], off offset:34
	global_load_ubyte v27, v[12:13], off offset:74
	s_getpc_b64 s[0:1]
	s_add_u32 s0, s0, _ZL9iq2s_grid@rel32@lo+4
	s_addc_u32 s1, s1, _ZL9iq2s_grid@rel32@hi+12
	v_add_u32_e32 v15, 8, v15
	s_waitcnt vmcnt(4)
	v_cvt_f32_f16_e32 v26, v26
	s_waitcnt vmcnt(3)
	v_lshrrev_b32_e32 v8, 24, v22
	v_and_b32_e32 v9, 0xff, v22
	s_waitcnt vmcnt(2)
	v_lshlrev_b32_e32 v10, 8, v23
	s_waitcnt vmcnt(1)
	v_lshrrev_b32_e32 v11, 8, v24
	v_and_b32_e32 v12, 15, v24
	v_lshrrev_b16_e32 v13, 4, v24
	v_bfe_u32 v25, v22, 8, 8
	v_lshlrev_b32_e32 v28, 6, v23
	v_bfe_u32 v29, v24, 8, 4
	v_bfe_u32 v22, v22, 16, 8
	v_lshlrev_b32_e32 v30, 4, v23
	v_bfe_u32 v31, v24, 16, 4
	;; [unrolled: 3-line block ×3, first 2 shown]
	v_lshrrev_b16_sdwa v24, v21, v24 dst_sel:DWORD dst_unused:UNUSED_PAD src0_sel:DWORD src1_sel:BYTE_3
	v_and_or_b32 v9, v10, s12, v9
	v_mul_lo_u32 v10, v12, s13
	v_and_b32_e32 v12, 15, v13
	v_and_or_b32 v13, v28, s12, v25
	v_mul_lo_u32 v25, v29, s13
	v_lshrrev_b16_e32 v11, 4, v11
	v_and_or_b32 v22, v30, s12, v22
	v_mul_lo_u32 v28, v31, s13
	v_mul_lo_u32 v29, v32, s13
	v_and_or_b32 v8, v23, s12, v8
	v_mul_lo_u32 v23, v33, s13
	v_mul_lo_u32 v24, v24, s13
	v_lshlrev_b32_e32 v30, 3, v9
	v_not_b32_e32 v9, v10
	v_and_b32_e32 v10, 0xffff, v12
	v_lshlrev_b32_e32 v31, 3, v13
	v_not_b32_e32 v12, v25
	v_and_b32_e32 v11, 15, v11
	v_lshlrev_b32_e32 v25, 3, v22
	v_not_b32_e32 v13, v28
	v_not_b32_e32 v22, v29
	v_lshlrev_b32_e32 v28, 3, v8
	v_not_b32_e32 v8, v23
	v_not_b32_e32 v23, v24
	v_and_b32_e32 v24, 0x8040201, v9
	v_and_b32_e32 v29, 0x40000, v9
	;; [unrolled: 1-line block ×4, first 2 shown]
	v_mul_lo_u32 v34, v10, s13
	v_and_b32_e32 v35, 0x8040201, v12
	v_and_b32_e32 v36, 0x40000, v12
	;; [unrolled: 1-line block ×21, first 2 shown]
	global_load_dwordx2 v[8:9], v30, s[0:1]
	global_load_dwordx2 v[10:11], v31, s[0:1]
	global_load_dwordx2 v[12:13], v25, s[0:1]
	global_load_dwordx2 v[22:23], v28, s[0:1]
	v_cmp_gt_u32_e32 vcc, s14, v24
	v_cndmask_b32_e64 v24, 0, -1, vcc
	v_cmp_eq_u32_e32 vcc, 0, v29
	v_cndmask_b32_e32 v25, 0, v18, vcc
	v_cmp_eq_u32_e32 vcc, 0, v32
	v_cndmask_b32_e32 v28, 0, v19, vcc
	;; [unrolled: 2-line block ×3, first 2 shown]
	v_cmp_gt_u32_e32 vcc, s14, v35
	v_cndmask_b32_e64 v31, 0, -1, vcc
	v_cmp_eq_u32_e32 vcc, 0, v36
	v_cndmask_b32_e32 v32, 0, v18, vcc
	v_cmp_eq_u32_e32 vcc, 0, v37
	v_cndmask_b32_e32 v33, 0, v19, vcc
	v_cmp_eq_u32_e32 vcc, 0, v38
	v_not_b32_e32 v30, v34
	v_cndmask_b32_e32 v34, 0, v20, vcc
	v_cmp_gt_u32_e32 vcc, s14, v40
	v_cndmask_b32_e64 v36, 0, -1, vcc
	v_cmp_eq_u32_e32 vcc, 0, v41
	v_cndmask_b32_e32 v37, 0, v18, vcc
	v_cmp_eq_u32_e32 vcc, 0, v42
	v_cndmask_b32_e32 v38, 0, v19, vcc
	v_cmp_eq_u32_e32 vcc, 0, v43
	v_mul_lo_u32 v35, v39, s13
	v_cndmask_b32_e32 v39, 0, v20, vcc
	v_cmp_gt_u32_e32 vcc, s14, v44
	v_cndmask_b32_e64 v40, 0, -1, vcc
	v_cmp_eq_u32_e32 vcc, 0, v45
	v_cndmask_b32_e32 v41, 0, v18, vcc
	v_cmp_eq_u32_e32 vcc, 0, v46
	v_cndmask_b32_e32 v42, 0, v19, vcc
	v_cmp_eq_u32_e32 vcc, 0, v47
	v_cndmask_b32_e32 v43, 0, v20, vcc
	v_cmp_gt_u32_e32 vcc, s14, v48
	v_cndmask_b32_e64 v44, 0, -1, vcc
	v_cmp_eq_u32_e32 vcc, 0, v49
	v_cndmask_b32_e32 v45, 0, v18, vcc
	v_cmp_eq_u32_e32 vcc, 0, v50
	v_cndmask_b32_e32 v46, 0, v19, vcc
	v_cmp_eq_u32_e32 vcc, 0, v51
	;; [unrolled: 8-line block ×3, first 2 shown]
	v_and_b32_e32 v53, 0x8040201, v30
	v_cndmask_b32_e32 v51, 0, v20, vcc
	v_and_b32_e32 v54, 0x40000, v30
	v_cmp_gt_u32_e32 vcc, s14, v53
	v_and_b32_e32 v55, 0x200, v30
	v_cndmask_b32_e64 v53, 0, -1, vcc
	v_cmp_eq_u32_e32 vcc, 0, v54
	v_and_b32_e32 v30, 1, v30
	v_not_b32_e32 v35, v35
	v_cndmask_b32_e32 v54, 0, v18, vcc
	v_cmp_eq_u32_e32 vcc, 0, v55
	v_cndmask_b32_e32 v55, 0, v19, vcc
	v_cmp_eq_u32_e32 vcc, 0, v30
	v_and_b32_e32 v57, 0x8040201, v35
	v_cndmask_b32_e32 v30, 0, v20, vcc
	v_and_b32_e32 v58, 0x40000, v35
	v_and_b32_e32 v59, 0x200, v35
	;; [unrolled: 1-line block ×3, first 2 shown]
	v_cmp_gt_u32_e64 s[0:1], s14, v57
	v_lshlrev_b32_e32 v53, 24, v53
	v_cmp_eq_u32_e32 vcc, 0, v35
	v_or_b32_e32 v35, v55, v30
	v_cndmask_b32_e64 v57, 0, -1, s[0:1]
	v_cmp_eq_u32_e64 s[0:1], 0, v58
	v_lshlrev_b32_e32 v24, 24, v24
	v_or_b32_e32 v52, v28, v29
	v_cndmask_b32_e64 v58, 0, v18, s[0:1]
	v_cmp_eq_u32_e64 s[0:1], 0, v59
	v_or3_b32 v35, v35, v54, v53
	v_or3_b32 v52, v52, v25, v24
	v_cndmask_b32_e64 v59, 0, v19, s[0:1]
	s_waitcnt vmcnt(3)
	v_xor_b32_e32 v9, v35, v9
	v_cndmask_b32_e32 v35, 0, v20, vcc
	v_lshlrev_b32_e32 v31, 24, v31
	v_or_b32_e32 v56, v33, v34
	v_xor_b32_e32 v8, v52, v8
	v_lshlrev_b32_e32 v52, 24, v57
	v_or_b32_e32 v57, v59, v35
	v_or3_b32 v56, v56, v32, v31
	v_or3_b32 v57, v57, v58, v52
	v_lshlrev_b32_e32 v36, 24, v36
	s_waitcnt vmcnt(2)
	v_xor_b32_e32 v10, v56, v10
	v_xor_b32_e32 v11, v57, v11
	v_or_b32_e32 v56, v38, v39
	v_lshlrev_b32_e32 v40, 24, v40
	v_or_b32_e32 v57, v42, v43
	v_or3_b32 v56, v56, v37, v36
	v_or3_b32 v57, v57, v41, v40
	v_lshlrev_b32_e32 v44, 24, v44
	s_waitcnt vmcnt(1)
	v_xor_b32_e32 v56, v56, v12
	v_xor_b32_e32 v57, v57, v13
	v_or_b32_e32 v12, v46, v47
	v_lshlrev_b32_e32 v48, 24, v48
	v_or_b32_e32 v13, v50, v51
	v_or3_b32 v12, v12, v45, v44
	v_or3_b32 v13, v13, v49, v48
	s_waitcnt vmcnt(0)
	v_xor_b32_e32 v22, v12, v22
	v_xor_b32_e32 v60, v13, v23
	v_mad_i64_i32 v[12:13], s[0:1], v17, 36, v[2:3]
	v_sub_u32_e32 v61, v8, v24
	v_sub_u32_e32 v62, v8, v25
	;; [unrolled: 1-line block ×16, first 2 shown]
	global_load_dwordx4 v[8:11], v[12:13], off
	v_sub_u32_e32 v44, v22, v44
	v_sub_u32_e32 v45, v22, v45
	;; [unrolled: 1-line block ×4, first 2 shown]
	global_load_dwordx4 v[22:25], v[12:13], off offset:16
	v_sub_u32_e32 v36, v56, v36
	v_sub_u32_e32 v37, v56, v37
	;; [unrolled: 1-line block ×4, first 2 shown]
	global_load_dword v56, v[12:13], off offset:32
	v_sub_u32_e32 v40, v57, v40
	v_sub_u32_e32 v41, v57, v41
	;; [unrolled: 1-line block ×8, first 2 shown]
	v_and_b32_e32 v36, 0xff000000, v36
	v_and_b32_e32 v38, 0xff00, v38
	v_perm_b32 v37, v37, v39, s15
	v_mov_b32_e32 v50, 0
	v_perm_b32 v29, v62, v29, s15
	v_perm_b32 v30, v54, v30, s15
	v_and_b32_e32 v54, 0xff000000, v61
	v_and_b32_e32 v39, 0xff000000, v40
	;; [unrolled: 1-line block ×3, first 2 shown]
	v_perm_b32 v41, v41, v43, s15
	v_and_b32_e32 v42, 0xff000000, v44
	v_perm_b32 v44, v45, v47, s15
	v_and_b32_e32 v12, 0xff000000, v12
	v_and_b32_e32 v45, 0xff00, v48
	v_perm_b32 v13, v13, v49, s15
	v_and_b32_e32 v28, 0xff00, v28
	v_or3_b32 v36, v37, v36, v38
	v_mov_b32_e32 v51, 0
	v_and_b32_e32 v53, 0xff000000, v53
	v_and_b32_e32 v43, 0xff00, v46
	;; [unrolled: 1-line block ×3, first 2 shown]
	v_or3_b32 v37, v41, v39, v40
	v_or3_b32 v12, v13, v12, v45
	;; [unrolled: 1-line block ×3, first 2 shown]
	v_perm_b32 v32, v32, v34, s15
	v_and_b32_e32 v31, 0xff000000, v31
	v_and_b32_e32 v33, 0xff00, v33
	v_or3_b32 v38, v44, v42, v43
	v_or3_b32 v28, v30, v53, v46
	v_and_b32_e32 v52, 0xff000000, v52
	v_perm_b32 v35, v58, v35, s15
	v_and_b32_e32 v47, 0xff00, v59
	v_or3_b32 v29, v32, v31, v33
	v_or3_b32 v30, v35, v52, v47
	v_lshrrev_b16_e32 v34, 4, v27
	v_and_b32_e32 v27, 15, v27
	v_cvt_f32_ubyte0_e32 v34, v34
	v_cvt_f32_ubyte0_e32 v27, v27
	v_add_f32_e32 v34, 0.5, v34
	v_add_f32_e32 v27, 0.5, v27
	v_cmp_le_u32_e32 vcc, s6, v15
	v_add_u32_e32 v17, 64, v17
	s_or_b64 s[4:5], vcc, s[4:5]
	s_waitcnt vmcnt(2)
	v_dot4c_i32_i8_e32 v51, v13, v9
	v_dot4c_i32_i8_e32 v51, v28, v10
	;; [unrolled: 1-line block ×3, first 2 shown]
	v_cvt_f32_f16_e32 v8, v8
	s_waitcnt vmcnt(1)
	v_dot4c_i32_i8_e32 v50, v36, v23
	v_dot4c_i32_i8_e32 v50, v37, v24
	;; [unrolled: 1-line block ×4, first 2 shown]
	v_mul_f32_e32 v8, v26, v8
	s_waitcnt vmcnt(0)
	v_dot4c_i32_i8_e32 v50, v12, v56
	v_mul_f32_e32 v8, 0x3e800000, v8
	v_cvt_f32_i32_e32 v10, v51
	s_nop 0
	v_cvt_f32_i32_e32 v9, v50
	v_mul_f32_e32 v9, v34, v9
	v_fmac_f32_e32 v9, v27, v10
	v_fmac_f32_e32 v14, v8, v9
	s_andn2_b64 exec, exec, s[4:5]
	s_cbranch_execnz .LBB114_3
; %bb.4:
	s_or_b64 exec, exec, s[4:5]
.LBB114_5:
	s_or_b64 exec, exec, s[10:11]
	v_mbcnt_lo_u32_b32 v0, -1, 0
	v_mbcnt_hi_u32_b32 v2, -1, v0
	v_and_b32_e32 v0, 64, v2
	v_add_u32_e32 v3, 64, v0
	v_xor_b32_e32 v0, 32, v2
	v_cmp_lt_i32_e32 vcc, v0, v3
	v_cndmask_b32_e32 v0, v2, v0, vcc
	v_lshlrev_b32_e32 v0, 2, v0
	ds_bpermute_b32 v0, v0, v14
	v_xor_b32_e32 v4, 16, v2
	v_cmp_lt_i32_e32 vcc, v4, v3
	v_cndmask_b32_e32 v4, v2, v4, vcc
	v_lshlrev_b32_e32 v4, 2, v4
	s_waitcnt lgkmcnt(0)
	v_add_f32_e32 v0, v14, v0
	ds_bpermute_b32 v4, v4, v0
	v_xor_b32_e32 v6, 8, v2
	v_cmp_lt_i32_e32 vcc, v6, v3
	s_waitcnt lgkmcnt(0)
	v_add_f32_e32 v0, v0, v4
	v_cndmask_b32_e32 v4, v2, v6, vcc
	v_lshlrev_b32_e32 v4, 2, v4
	ds_bpermute_b32 v4, v4, v0
	v_xor_b32_e32 v6, 4, v2
	v_cmp_lt_i32_e32 vcc, v6, v3
	s_waitcnt lgkmcnt(0)
	v_add_f32_e32 v0, v0, v4
	v_cndmask_b32_e32 v4, v2, v6, vcc
	v_lshlrev_b32_e32 v4, 2, v4
	;; [unrolled: 7-line block ×3, first 2 shown]
	ds_bpermute_b32 v4, v4, v0
	v_xor_b32_e32 v6, 1, v2
	v_cmp_lt_i32_e32 vcc, v6, v3
	v_cndmask_b32_e32 v2, v2, v6, vcc
	v_lshlrev_b32_e32 v2, 2, v2
	s_waitcnt lgkmcnt(0)
	v_add_f32_e32 v0, v0, v4
	ds_bpermute_b32 v2, v2, v0
	v_cmp_eq_u32_e32 vcc, 0, v5
	s_and_b64 exec, exec, vcc
	s_cbranch_execz .LBB114_7
; %bb.6:
	s_waitcnt lgkmcnt(0)
	v_add_f32_e32 v0, v0, v2
	v_bfe_u32 v2, v0, 16, 1
	s_movk_i32 s0, 0x7fff
	s_mul_i32 s7, s7, s9
	v_add3_u32 v2, v0, v2, s0
	v_cmp_o_f32_e32 vcc, v0, v0
	v_add_u32_e32 v0, s7, v1
	v_mov_b32_e32 v1, 0
	v_lshrrev_b32_e32 v2, 16, v2
	v_mov_b32_e32 v3, 0x7fc0
	v_lshlrev_b64 v[0:1], 1, v[0:1]
	v_cndmask_b32_e32 v2, v3, v2, vcc
	v_mov_b32_e32 v3, s3
	v_add_co_u32_e32 v0, vcc, s2, v0
	v_addc_co_u32_e32 v1, vcc, v3, v1, vcc
	global_store_short v[0:1], v2, off
.LBB114_7:
	s_endpgm
	.section	.rodata,"a",@progbits
	.p2align	6, 0x0
	.amdhsa_kernel _ZL13mul_mat_vec_qIN3c108BFloat16ELi256ELi8E11block_iq2_sLi1EXadL_ZL18vec_dot_iq2_s_q8_1PKvPK10block_q8_1RKiEEEvS4_S4_PT_iii
		.amdhsa_group_segment_fixed_size 0
		.amdhsa_private_segment_fixed_size 0
		.amdhsa_kernarg_size 296
		.amdhsa_user_sgpr_count 6
		.amdhsa_user_sgpr_private_segment_buffer 1
		.amdhsa_user_sgpr_dispatch_ptr 0
		.amdhsa_user_sgpr_queue_ptr 0
		.amdhsa_user_sgpr_kernarg_segment_ptr 1
		.amdhsa_user_sgpr_dispatch_id 0
		.amdhsa_user_sgpr_flat_scratch_init 0
		.amdhsa_user_sgpr_kernarg_preload_length 0
		.amdhsa_user_sgpr_kernarg_preload_offset 0
		.amdhsa_user_sgpr_private_segment_size 0
		.amdhsa_uses_dynamic_stack 0
		.amdhsa_system_sgpr_private_segment_wavefront_offset 0
		.amdhsa_system_sgpr_workgroup_id_x 1
		.amdhsa_system_sgpr_workgroup_id_y 1
		.amdhsa_system_sgpr_workgroup_id_z 0
		.amdhsa_system_sgpr_workgroup_info 0
		.amdhsa_system_vgpr_workitem_id 1
		.amdhsa_next_free_vgpr 63
		.amdhsa_next_free_sgpr 18
		.amdhsa_accum_offset 64
		.amdhsa_reserve_vcc 1
		.amdhsa_reserve_flat_scratch 0
		.amdhsa_float_round_mode_32 0
		.amdhsa_float_round_mode_16_64 0
		.amdhsa_float_denorm_mode_32 3
		.amdhsa_float_denorm_mode_16_64 3
		.amdhsa_dx10_clamp 1
		.amdhsa_ieee_mode 1
		.amdhsa_fp16_overflow 0
		.amdhsa_tg_split 0
		.amdhsa_exception_fp_ieee_invalid_op 0
		.amdhsa_exception_fp_denorm_src 0
		.amdhsa_exception_fp_ieee_div_zero 0
		.amdhsa_exception_fp_ieee_overflow 0
		.amdhsa_exception_fp_ieee_underflow 0
		.amdhsa_exception_fp_ieee_inexact 0
		.amdhsa_exception_int_div_zero 0
	.end_amdhsa_kernel
	.section	.text._ZL13mul_mat_vec_qIN3c108BFloat16ELi256ELi8E11block_iq2_sLi1EXadL_ZL18vec_dot_iq2_s_q8_1PKvPK10block_q8_1RKiEEEvS4_S4_PT_iii,"axG",@progbits,_ZL13mul_mat_vec_qIN3c108BFloat16ELi256ELi8E11block_iq2_sLi1EXadL_ZL18vec_dot_iq2_s_q8_1PKvPK10block_q8_1RKiEEEvS4_S4_PT_iii,comdat
.Lfunc_end114:
	.size	_ZL13mul_mat_vec_qIN3c108BFloat16ELi256ELi8E11block_iq2_sLi1EXadL_ZL18vec_dot_iq2_s_q8_1PKvPK10block_q8_1RKiEEEvS4_S4_PT_iii, .Lfunc_end114-_ZL13mul_mat_vec_qIN3c108BFloat16ELi256ELi8E11block_iq2_sLi1EXadL_ZL18vec_dot_iq2_s_q8_1PKvPK10block_q8_1RKiEEEvS4_S4_PT_iii
                                        ; -- End function
	.section	.AMDGPU.csdata,"",@progbits
; Kernel info:
; codeLenInByte = 2260
; NumSgprs: 22
; NumVgprs: 63
; NumAgprs: 0
; TotalNumVgprs: 63
; ScratchSize: 0
; MemoryBound: 0
; FloatMode: 240
; IeeeMode: 1
; LDSByteSize: 0 bytes/workgroup (compile time only)
; SGPRBlocks: 2
; VGPRBlocks: 7
; NumSGPRsForWavesPerEU: 22
; NumVGPRsForWavesPerEU: 63
; AccumOffset: 64
; Occupancy: 8
; WaveLimiterHint : 0
; COMPUTE_PGM_RSRC2:SCRATCH_EN: 0
; COMPUTE_PGM_RSRC2:USER_SGPR: 6
; COMPUTE_PGM_RSRC2:TRAP_HANDLER: 0
; COMPUTE_PGM_RSRC2:TGID_X_EN: 1
; COMPUTE_PGM_RSRC2:TGID_Y_EN: 1
; COMPUTE_PGM_RSRC2:TGID_Z_EN: 0
; COMPUTE_PGM_RSRC2:TIDIG_COMP_CNT: 1
; COMPUTE_PGM_RSRC3_GFX90A:ACCUM_OFFSET: 15
; COMPUTE_PGM_RSRC3_GFX90A:TG_SPLIT: 0
	.section	.text._ZL13mul_mat_vec_qIN3c108BFloat16ELi256ELi8E12block_iq4_xsLi1EXadL_ZL19vec_dot_iq4_xs_q8_1PKvPK10block_q8_1RKiEEEvS4_S4_PT_iii,"axG",@progbits,_ZL13mul_mat_vec_qIN3c108BFloat16ELi256ELi8E12block_iq4_xsLi1EXadL_ZL19vec_dot_iq4_xs_q8_1PKvPK10block_q8_1RKiEEEvS4_S4_PT_iii,comdat
	.globl	_ZL13mul_mat_vec_qIN3c108BFloat16ELi256ELi8E12block_iq4_xsLi1EXadL_ZL19vec_dot_iq4_xs_q8_1PKvPK10block_q8_1RKiEEEvS4_S4_PT_iii ; -- Begin function _ZL13mul_mat_vec_qIN3c108BFloat16ELi256ELi8E12block_iq4_xsLi1EXadL_ZL19vec_dot_iq4_xs_q8_1PKvPK10block_q8_1RKiEEEvS4_S4_PT_iii
	.p2align	8
	.type	_ZL13mul_mat_vec_qIN3c108BFloat16ELi256ELi8E12block_iq4_xsLi1EXadL_ZL19vec_dot_iq4_xs_q8_1PKvPK10block_q8_1RKiEEEvS4_S4_PT_iii,@function
_ZL13mul_mat_vec_qIN3c108BFloat16ELi256ELi8E12block_iq4_xsLi1EXadL_ZL19vec_dot_iq4_xs_q8_1PKvPK10block_q8_1RKiEEEvS4_S4_PT_iii: ; @_ZL13mul_mat_vec_qIN3c108BFloat16ELi256ELi8E12block_iq4_xsLi1EXadL_ZL19vec_dot_iq4_xs_q8_1PKvPK10block_q8_1RKiEEEvS4_S4_PT_iii
; %bb.0:
	s_load_dword s8, s[4:5], 0x34
	s_load_dwordx4 s[0:3], s[4:5], 0x18
	v_bfe_u32 v1, v0, 10, 10
	s_waitcnt lgkmcnt(0)
	s_lshr_b32 s3, s8, 16
	s_mul_i32 s6, s6, s3
	v_add_u32_e32 v11, s6, v1
	s_cmp_lt_u32 s7, s2
	v_cmp_gt_u32_e32 vcc, s1, v11
	s_cselect_b64 s[2:3], -1, 0
	s_and_b64 s[2:3], s[2:3], vcc
	s_and_saveexec_b64 s[8:9], s[2:3]
	s_cbranch_execz .LBB115_7
; %bb.1:
	s_load_dwordx2 s[2:3], s[4:5], 0x10
	s_ashr_i32 s6, s0, 31
	s_lshr_b32 s6, s6, 24
	s_add_i32 s6, s0, s6
	v_and_b32_e32 v16, 0x3ff, v0
	s_ashr_i32 s6, s6, 8
	v_lshrrev_b32_e32 v18, 3, v16
	v_cmp_gt_u32_e32 vcc, s6, v18
	v_mov_b32_e32 v17, 0
	s_and_saveexec_b64 s[8:9], vcc
	s_cbranch_execz .LBB115_5
; %bb.2:
	s_load_dwordx4 s[12:15], s[4:5], 0x0
	s_addk_i32 s0, 0x1ff
	s_ashr_i32 s4, s0, 31
	s_lshr_b32 s4, s4, 23
	s_add_i32 s0, s0, s4
	s_ashr_i32 s0, s0, 9
	v_and_b32_e32 v1, 7, v16
	s_mul_i32 s0, s7, s0
	s_waitcnt lgkmcnt(0)
	v_mad_u64_u32 v[8:9], s[4:5], v1, 36, s[14:15]
	v_lshlrev_b32_e32 v0, 2, v1
	v_lshlrev_b32_e32 v2, 2, v16
	;; [unrolled: 1-line block ×4, first 2 shown]
	v_mul_lo_u32 v19, v11, s6
	v_mov_b32_e32 v17, 0
	v_bfe_u32 v10, v16, 1, 2
	v_and_b32_e32 v20, 4, v2
	v_lshl_add_u32 v22, s0, 4, v1
	s_mov_b64 s[4:5], 0
	s_movk_i32 s0, 0x88
	v_pk_mov_b32 v[12:13], s[12:13], s[12:13] op_sel:[0,1]
	v_lshlrev_b32_e32 v23, 2, v0
.LBB115_3:                              ; =>This Inner Loop Header: Depth=1
	v_add_u32_e32 v0, v19, v18
	v_mad_i64_i32 v[28:29], s[12:13], v0, s0, v[12:13]
	v_add_co_u32_e32 v30, vcc, v28, v23
	v_addc_co_u32_e32 v31, vcc, 0, v29, vcc
	v_add_co_u32_e32 v32, vcc, v28, v10
	v_mad_i64_i32 v[14:15], s[10:11], v22, 36, v[8:9]
	v_addc_co_u32_e32 v33, vcc, 0, v29, vcc
	global_load_dwordx4 v[24:27], v[30:31], off offset:8
	global_load_ubyte v34, v[32:33], off offset:4
	global_load_dwordx4 v[4:7], v[14:15], off
	global_load_dwordx4 v[0:3], v[14:15], off offset:16
	global_load_dword v35, v[28:29], off
	s_getpc_b64 s[10:11]
	s_add_u32 s10, s10, _ZL13kvalues_iq4nl@rel32@lo+4
	s_addc_u32 s11, s11, _ZL13kvalues_iq4nl@rel32@hi+12
	v_add_u32_e32 v18, 8, v18
	v_cmp_le_u32_e32 vcc, s6, v18
	v_add_u32_e32 v22, 64, v22
	s_or_b64 s[4:5], vcc, s[4:5]
	s_waitcnt vmcnt(4)
	v_bfe_u32 v28, v24, 24, 4
	v_and_b32_e32 v29, 15, v24
	v_bfe_u32 v30, v24, 8, 4
	v_bfe_u32 v31, v24, 16, 4
	v_bfe_u32 v32, v24, 20, 4
	v_lshrrev_b32_e32 v33, 28, v24
	v_bfe_u32 v36, v24, 4, 4
	v_bfe_u32 v24, v24, 12, 4
	v_bfe_u32 v37, v25, 24, 4
	v_and_b32_e32 v38, 15, v25
	v_bfe_u32 v39, v25, 8, 4
	v_bfe_u32 v40, v25, 16, 4
	v_bfe_u32 v41, v25, 20, 4
	v_lshrrev_b32_e32 v42, 28, v25
	v_bfe_u32 v43, v25, 4, 4
	v_bfe_u32 v25, v25, 12, 4
	v_bfe_u32 v44, v26, 24, 4
	v_and_b32_e32 v45, 15, v26
	v_bfe_u32 v46, v26, 8, 4
	v_bfe_u32 v47, v26, 16, 4
	v_bfe_u32 v48, v26, 20, 4
	v_lshrrev_b32_e32 v49, 28, v26
	v_bfe_u32 v50, v26, 4, 4
	v_bfe_u32 v26, v26, 12, 4
	v_bfe_u32 v51, v27, 24, 4
	v_and_b32_e32 v52, 15, v27
	v_bfe_u32 v53, v27, 8, 4
	v_bfe_u32 v54, v27, 16, 4
	v_bfe_u32 v55, v27, 20, 4
	v_lshrrev_b32_e32 v56, 28, v27
	v_bfe_u32 v57, v27, 4, 4
	v_bfe_u32 v27, v27, 12, 4
	global_load_ubyte v58, v24, s[10:11]
	global_load_ubyte v59, v30, s[10:11]
	global_load_ubyte v60, v31, s[10:11]
	global_load_ubyte v61, v32, s[10:11]
	global_load_ubyte v62, v36, s[10:11]
	global_load_ubyte v63, v33, s[10:11]
                                        ; kill: killed $vgpr33
                                        ; kill: killed $vgpr32
                                        ; kill: killed $vgpr24
                                        ; kill: killed $vgpr31
                                        ; kill: killed $vgpr36
                                        ; kill: killed $vgpr30
	global_load_ubyte v24, v29, s[10:11]
	global_load_ubyte v30, v28, s[10:11]
	;; [unrolled: 1-line block ×4, first 2 shown]
	s_nop 0
	global_load_ubyte v33, v40, s[10:11]
	global_load_ubyte v36, v41, s[10:11]
                                        ; kill: killed $vgpr25
                                        ; kill: killed $vgpr41
                                        ; kill: killed $vgpr40
                                        ; kill: killed $vgpr39
                                        ; kill: killed $vgpr29
                                        ; kill: killed $vgpr28
	global_load_ubyte v25, v43, s[10:11]
	global_load_ubyte v28, v42, s[10:11]
	;; [unrolled: 1-line block ×6, first 2 shown]
                                        ; kill: killed $vgpr26
                                        ; kill: killed $vgpr43
                                        ; kill: killed $vgpr37
                                        ; kill: killed $vgpr46
                                        ; kill: killed $vgpr38
                                        ; kill: killed $vgpr42
	s_nop 0
	global_load_ubyte v26, v47, s[10:11]
	global_load_ubyte v37, v48, s[10:11]
	;; [unrolled: 1-line block ×6, first 2 shown]
                                        ; kill: killed $vgpr50
                                        ; kill: killed $vgpr44
                                        ; kill: killed $vgpr48
                                        ; kill: killed $vgpr47
                                        ; kill: killed $vgpr45
                                        ; kill: killed $vgpr49
	s_nop 0
	global_load_ubyte v44, v27, s[10:11]
	global_load_ubyte v45, v53, s[10:11]
	global_load_ubyte v47, v54, s[10:11]
	global_load_ubyte v48, v55, s[10:11]
	global_load_ubyte v49, v56, s[10:11]
	global_load_ubyte v50, v51, s[10:11]
                                        ; kill: killed $vgpr27
                                        ; kill: killed $vgpr51
                                        ; kill: killed $vgpr55
                                        ; kill: killed $vgpr54
                                        ; kill: killed $vgpr53
                                        ; kill: killed $vgpr56
	global_load_ubyte v27, v52, s[10:11]
	s_nop 0
	global_load_ubyte v51, v57, s[10:11]
	global_load_dword v53, v[14:15], off offset:32
	s_waitcnt vmcnt(33)
	v_cvt_f32_f16_e32 v52, v35
	v_lshrrev_b32_sdwa v35, v21, v35 dst_sel:DWORD dst_unused:UNUSED_PAD src0_sel:DWORD src1_sel:WORD_1
	v_bfe_u32 v34, v34, v20, 4
	v_lshlrev_b32_e32 v35, 4, v35
	v_and_or_b32 v34, v35, 48, v34
	v_mov_b32_e32 v14, 0
	v_mov_b32_e32 v15, 0
	v_subrev_u32_e32 v34, 32, v34
	v_cvt_f32_i32_e32 v34, v34
	v_cvt_f32_f16_e32 v4, v4
	s_waitcnt vmcnt(30)
	v_lshlrev_b32_e32 v35, 16, v60
	s_waitcnt vmcnt(29)
	v_lshlrev_b32_e32 v55, 16, v61
	s_waitcnt vmcnt(28)
	v_lshl_or_b32 v56, v58, 8, v62
	s_waitcnt vmcnt(27)
	v_lshlrev_b32_e32 v54, 24, v63
	s_waitcnt vmcnt(26)
	v_lshl_or_b32 v24, v59, 8, v24
	s_waitcnt vmcnt(25)
	v_lshlrev_b32_e32 v30, 24, v30
	v_or3_b32 v24, v24, v35, v30
	v_or3_b32 v30, v56, v55, v54
	s_waitcnt vmcnt(22)
	v_lshlrev_b32_e32 v33, 16, v33
	v_dot4c_i32_i8_e32 v14, v24, v5
	v_dot4c_i32_i8_e32 v15, v30, v1
	v_mul_f32_e32 v1, v52, v34
	v_mul_f32_e32 v1, v1, v4
	s_waitcnt vmcnt(20)
	v_lshl_or_b32 v25, v31, 8, v25
	s_waitcnt vmcnt(19)
	v_lshlrev_b32_e32 v28, 24, v28
	s_waitcnt vmcnt(18)
	v_lshl_or_b32 v29, v32, 8, v29
	s_waitcnt vmcnt(17)
	v_lshlrev_b32_e32 v39, 24, v39
	v_lshlrev_b32_e32 v32, 16, v36
	v_or3_b32 v29, v29, v33, v39
	v_or3_b32 v25, v25, v32, v28
	v_dot4c_i32_i8_e32 v14, v29, v6
	v_dot4c_i32_i8_e32 v15, v25, v2
	s_waitcnt vmcnt(14)
	v_lshlrev_b32_e32 v26, 16, v26
	s_waitcnt vmcnt(13)
	v_lshlrev_b32_e32 v37, 16, v37
	s_waitcnt vmcnt(12)
	v_lshl_or_b32 v38, v40, 8, v38
	s_waitcnt vmcnt(10)
	v_lshl_or_b32 v36, v41, 8, v43
	s_waitcnt vmcnt(9)
	v_lshlrev_b32_e32 v31, 24, v46
	v_lshlrev_b32_e32 v41, 24, v42
	v_or3_b32 v26, v36, v26, v31
	v_or3_b32 v28, v38, v37, v41
	v_dot4c_i32_i8_e32 v14, v26, v7
	v_dot4c_i32_i8_e32 v15, v28, v3
	s_waitcnt vmcnt(6)
	v_lshlrev_b32_e32 v42, 16, v47
	s_waitcnt vmcnt(4)
	v_lshlrev_b32_e32 v43, 24, v49
	;; [unrolled: 2-line block ×3, first 2 shown]
	s_waitcnt vmcnt(2)
	v_lshl_or_b32 v27, v45, 8, v27
	v_lshlrev_b32_e32 v45, 16, v48
	s_waitcnt vmcnt(1)
	v_lshl_or_b32 v44, v44, 8, v51
	v_or3_b32 v27, v27, v42, v40
	v_or3_b32 v31, v44, v45, v43
	v_dot4c_i32_i8_e32 v14, v27, v0
	s_waitcnt vmcnt(0)
	v_dot4c_i32_i8_e32 v15, v31, v53
	s_nop 2
	v_add_u32_e32 v0, v15, v14
	v_cvt_f32_i32_e32 v0, v0
	v_fmac_f32_e32 v17, v1, v0
	s_andn2_b64 exec, exec, s[4:5]
	s_cbranch_execnz .LBB115_3
; %bb.4:
	s_or_b64 exec, exec, s[4:5]
.LBB115_5:
	s_or_b64 exec, exec, s[8:9]
	v_mbcnt_lo_u32_b32 v0, -1, 0
	v_mbcnt_hi_u32_b32 v1, -1, v0
	v_and_b32_e32 v0, 64, v1
	v_add_u32_e32 v2, 64, v0
	v_xor_b32_e32 v0, 32, v1
	v_cmp_lt_i32_e32 vcc, v0, v2
	v_cndmask_b32_e32 v0, v1, v0, vcc
	v_lshlrev_b32_e32 v0, 2, v0
	ds_bpermute_b32 v0, v0, v17
	v_xor_b32_e32 v3, 16, v1
	v_cmp_lt_i32_e32 vcc, v3, v2
	v_cndmask_b32_e32 v3, v1, v3, vcc
	v_lshlrev_b32_e32 v3, 2, v3
	s_waitcnt lgkmcnt(0)
	v_add_f32_e32 v0, v17, v0
	ds_bpermute_b32 v3, v3, v0
	v_xor_b32_e32 v4, 8, v1
	v_cmp_lt_i32_e32 vcc, v4, v2
	s_waitcnt lgkmcnt(0)
	v_add_f32_e32 v0, v0, v3
	v_cndmask_b32_e32 v3, v1, v4, vcc
	v_lshlrev_b32_e32 v3, 2, v3
	ds_bpermute_b32 v3, v3, v0
	v_xor_b32_e32 v4, 4, v1
	v_cmp_lt_i32_e32 vcc, v4, v2
	s_waitcnt lgkmcnt(0)
	v_add_f32_e32 v0, v0, v3
	v_cndmask_b32_e32 v3, v1, v4, vcc
	v_lshlrev_b32_e32 v3, 2, v3
	;; [unrolled: 7-line block ×3, first 2 shown]
	ds_bpermute_b32 v3, v3, v0
	v_xor_b32_e32 v4, 1, v1
	v_cmp_lt_i32_e32 vcc, v4, v2
	v_cndmask_b32_e32 v1, v1, v4, vcc
	v_lshlrev_b32_e32 v1, 2, v1
	s_waitcnt lgkmcnt(0)
	v_add_f32_e32 v0, v0, v3
	ds_bpermute_b32 v1, v1, v0
	v_cmp_eq_u32_e32 vcc, 0, v16
	s_and_b64 exec, exec, vcc
	s_cbranch_execz .LBB115_7
; %bb.6:
	s_waitcnt lgkmcnt(0)
	v_add_f32_e32 v0, v0, v1
	v_bfe_u32 v1, v0, 16, 1
	s_movk_i32 s0, 0x7fff
	v_add3_u32 v1, v0, v1, s0
	v_lshrrev_b32_e32 v1, 16, v1
	v_mov_b32_e32 v2, 0x7fc0
	v_cmp_o_f32_e32 vcc, v0, v0
	s_mul_i32 s7, s7, s1
	v_cndmask_b32_e32 v2, v2, v1, vcc
	v_add_u32_e32 v0, s7, v11
	v_mov_b32_e32 v1, 0
	v_lshlrev_b64 v[0:1], 1, v[0:1]
	v_mov_b32_e32 v3, s3
	v_add_co_u32_e32 v0, vcc, s2, v0
	v_addc_co_u32_e32 v1, vcc, v3, v1, vcc
	global_store_short v[0:1], v2, off
.LBB115_7:
	s_endpgm
	.section	.rodata,"a",@progbits
	.p2align	6, 0x0
	.amdhsa_kernel _ZL13mul_mat_vec_qIN3c108BFloat16ELi256ELi8E12block_iq4_xsLi1EXadL_ZL19vec_dot_iq4_xs_q8_1PKvPK10block_q8_1RKiEEEvS4_S4_PT_iii
		.amdhsa_group_segment_fixed_size 0
		.amdhsa_private_segment_fixed_size 0
		.amdhsa_kernarg_size 296
		.amdhsa_user_sgpr_count 6
		.amdhsa_user_sgpr_private_segment_buffer 1
		.amdhsa_user_sgpr_dispatch_ptr 0
		.amdhsa_user_sgpr_queue_ptr 0
		.amdhsa_user_sgpr_kernarg_segment_ptr 1
		.amdhsa_user_sgpr_dispatch_id 0
		.amdhsa_user_sgpr_flat_scratch_init 0
		.amdhsa_user_sgpr_kernarg_preload_length 0
		.amdhsa_user_sgpr_kernarg_preload_offset 0
		.amdhsa_user_sgpr_private_segment_size 0
		.amdhsa_uses_dynamic_stack 0
		.amdhsa_system_sgpr_private_segment_wavefront_offset 0
		.amdhsa_system_sgpr_workgroup_id_x 1
		.amdhsa_system_sgpr_workgroup_id_y 1
		.amdhsa_system_sgpr_workgroup_id_z 0
		.amdhsa_system_sgpr_workgroup_info 0
		.amdhsa_system_vgpr_workitem_id 1
		.amdhsa_next_free_vgpr 64
		.amdhsa_next_free_sgpr 16
		.amdhsa_accum_offset 64
		.amdhsa_reserve_vcc 1
		.amdhsa_reserve_flat_scratch 0
		.amdhsa_float_round_mode_32 0
		.amdhsa_float_round_mode_16_64 0
		.amdhsa_float_denorm_mode_32 3
		.amdhsa_float_denorm_mode_16_64 3
		.amdhsa_dx10_clamp 1
		.amdhsa_ieee_mode 1
		.amdhsa_fp16_overflow 0
		.amdhsa_tg_split 0
		.amdhsa_exception_fp_ieee_invalid_op 0
		.amdhsa_exception_fp_denorm_src 0
		.amdhsa_exception_fp_ieee_div_zero 0
		.amdhsa_exception_fp_ieee_overflow 0
		.amdhsa_exception_fp_ieee_underflow 0
		.amdhsa_exception_fp_ieee_inexact 0
		.amdhsa_exception_int_div_zero 0
	.end_amdhsa_kernel
	.section	.text._ZL13mul_mat_vec_qIN3c108BFloat16ELi256ELi8E12block_iq4_xsLi1EXadL_ZL19vec_dot_iq4_xs_q8_1PKvPK10block_q8_1RKiEEEvS4_S4_PT_iii,"axG",@progbits,_ZL13mul_mat_vec_qIN3c108BFloat16ELi256ELi8E12block_iq4_xsLi1EXadL_ZL19vec_dot_iq4_xs_q8_1PKvPK10block_q8_1RKiEEEvS4_S4_PT_iii,comdat
.Lfunc_end115:
	.size	_ZL13mul_mat_vec_qIN3c108BFloat16ELi256ELi8E12block_iq4_xsLi1EXadL_ZL19vec_dot_iq4_xs_q8_1PKvPK10block_q8_1RKiEEEvS4_S4_PT_iii, .Lfunc_end115-_ZL13mul_mat_vec_qIN3c108BFloat16ELi256ELi8E12block_iq4_xsLi1EXadL_ZL19vec_dot_iq4_xs_q8_1PKvPK10block_q8_1RKiEEEvS4_S4_PT_iii
                                        ; -- End function
	.section	.AMDGPU.csdata,"",@progbits
; Kernel info:
; codeLenInByte = 1572
; NumSgprs: 20
; NumVgprs: 64
; NumAgprs: 0
; TotalNumVgprs: 64
; ScratchSize: 0
; MemoryBound: 0
; FloatMode: 240
; IeeeMode: 1
; LDSByteSize: 0 bytes/workgroup (compile time only)
; SGPRBlocks: 2
; VGPRBlocks: 7
; NumSGPRsForWavesPerEU: 20
; NumVGPRsForWavesPerEU: 64
; AccumOffset: 64
; Occupancy: 8
; WaveLimiterHint : 0
; COMPUTE_PGM_RSRC2:SCRATCH_EN: 0
; COMPUTE_PGM_RSRC2:USER_SGPR: 6
; COMPUTE_PGM_RSRC2:TRAP_HANDLER: 0
; COMPUTE_PGM_RSRC2:TGID_X_EN: 1
; COMPUTE_PGM_RSRC2:TGID_Y_EN: 1
; COMPUTE_PGM_RSRC2:TGID_Z_EN: 0
; COMPUTE_PGM_RSRC2:TIDIG_COMP_CNT: 1
; COMPUTE_PGM_RSRC3_GFX90A:ACCUM_OFFSET: 15
; COMPUTE_PGM_RSRC3_GFX90A:TG_SPLIT: 0
	.section	.text._ZL13mul_mat_vec_qIN3c108BFloat16ELi256ELi8E11block_iq1_mLi1EXadL_ZL18vec_dot_iq1_m_q8_1PKvPK10block_q8_1RKiEEEvS4_S4_PT_iii,"axG",@progbits,_ZL13mul_mat_vec_qIN3c108BFloat16ELi256ELi8E11block_iq1_mLi1EXadL_ZL18vec_dot_iq1_m_q8_1PKvPK10block_q8_1RKiEEEvS4_S4_PT_iii,comdat
	.globl	_ZL13mul_mat_vec_qIN3c108BFloat16ELi256ELi8E11block_iq1_mLi1EXadL_ZL18vec_dot_iq1_m_q8_1PKvPK10block_q8_1RKiEEEvS4_S4_PT_iii ; -- Begin function _ZL13mul_mat_vec_qIN3c108BFloat16ELi256ELi8E11block_iq1_mLi1EXadL_ZL18vec_dot_iq1_m_q8_1PKvPK10block_q8_1RKiEEEvS4_S4_PT_iii
	.p2align	8
	.type	_ZL13mul_mat_vec_qIN3c108BFloat16ELi256ELi8E11block_iq1_mLi1EXadL_ZL18vec_dot_iq1_m_q8_1PKvPK10block_q8_1RKiEEEvS4_S4_PT_iii,@function
_ZL13mul_mat_vec_qIN3c108BFloat16ELi256ELi8E11block_iq1_mLi1EXadL_ZL18vec_dot_iq1_m_q8_1PKvPK10block_q8_1RKiEEEvS4_S4_PT_iii: ; @_ZL13mul_mat_vec_qIN3c108BFloat16ELi256ELi8E11block_iq1_mLi1EXadL_ZL18vec_dot_iq1_m_q8_1PKvPK10block_q8_1RKiEEEvS4_S4_PT_iii
; %bb.0:
	s_load_dword s8, s[4:5], 0x34
	s_load_dwordx4 s[0:3], s[4:5], 0x18
	v_bfe_u32 v1, v0, 10, 10
	s_waitcnt lgkmcnt(0)
	s_lshr_b32 s3, s8, 16
	s_mul_i32 s6, s6, s3
	v_add_u32_e32 v9, s6, v1
	s_cmp_lt_u32 s7, s2
	v_cmp_gt_u32_e32 vcc, s1, v9
	s_cselect_b64 s[2:3], -1, 0
	s_and_b64 s[2:3], s[2:3], vcc
	s_and_saveexec_b64 s[8:9], s[2:3]
	s_cbranch_execz .LBB116_7
; %bb.1:
	s_load_dwordx2 s[2:3], s[4:5], 0x10
	s_ashr_i32 s6, s0, 31
	s_lshr_b32 s6, s6, 24
	s_add_i32 s6, s0, s6
	v_and_b32_e32 v11, 0x3ff, v0
	s_ashr_i32 s6, s6, 8
	v_lshrrev_b32_e32 v15, 3, v11
	v_cmp_gt_u32_e32 vcc, s6, v15
	v_mov_b32_e32 v14, 0
	s_and_saveexec_b64 s[12:13], vcc
	s_cbranch_execz .LBB116_5
; %bb.2:
	s_addk_i32 s0, 0x1ff
	s_load_dwordx4 s[8:11], s[4:5], 0x0
	s_ashr_i32 s4, s0, 31
	s_lshr_b32 s4, s4, 23
	s_add_i32 s0, s0, s4
	s_ashr_i32 s0, s0, 9
	v_and_b32_e32 v1, 1, v11
	s_mul_i32 s0, s7, s0
	v_and_b32_e32 v8, 7, v11
	v_bfe_u32 v0, v11, 1, 2
	v_cmp_eq_u32_e32 vcc, 1, v1
	v_lshlrev_b32_e32 v1, 3, v15
	s_mov_b32 s18, 0xbf600000
	v_mul_lo_u32 v16, v9, s6
	v_mov_b32_e32 v14, 0
	v_lshlrev_b32_e32 v10, 1, v8
	v_cndmask_b32_e64 v17, 0, 6, vcc
	v_lshl_add_u32 v18, s0, 4, v1
	s_mov_b64 s[4:5], 0
	v_lshlrev_b32_e32 v19, 2, v8
	s_mov_b32 s14, 0x40008
	s_movk_i32 s15, 0xf000
	v_lshlrev_b32_e32 v20, 1, v0
	s_movk_i32 s16, 0x700
	s_mov_b32 s0, 0x3d000000
	v_pk_mov_b32 v[12:13], s[18:19], s[18:19] op_sel:[0,1]
	v_mov_b32_e32 v21, 8
.LBB116_3:                              ; =>This Inner Loop Header: Depth=1
	v_add_u32_e32 v0, v16, v15
	s_waitcnt lgkmcnt(0)
	v_mad_i64_i32 v[22:23], s[18:19], v0, 56, s[8:9]
	v_add_co_u32_e32 v0, vcc, v22, v19
	v_addc_co_u32_e32 v1, vcc, 0, v23, vcc
	v_add_co_u32_e32 v2, vcc, v22, v10
	v_addc_co_u32_e32 v3, vcc, 0, v23, vcc
	global_load_dword v26, v[0:1], off
	global_load_ushort v27, v[2:3], off offset:32
	v_mad_i64_i32 v[0:1], s[18:19], v18, 36, s[10:11]
	v_mad_u64_u32 v[24:25], s[20:21], v8, 36, v[0:1]
	global_load_dword v32, v[24:25], off offset:32
	global_load_dwordx4 v[4:7], v[24:25], off
	global_load_dwordx4 v[0:3], v[24:25], off offset:16
	s_getpc_b64 s[18:19]
	s_add_u32 s18, s18, _ZL13iq1s_grid_gpu@rel32@lo+4
	s_addc_u32 s19, s19, _ZL13iq1s_grid_gpu@rel32@hi+12
	v_add_co_u32_e32 v24, vcc, v22, v20
	v_addc_co_u32_e32 v25, vcc, 0, v23, vcc
	global_load_dwordx2 v[22:23], v[22:23], off offset:48
	v_mov_b32_e32 v39, 0
	v_mov_b32_e32 v40, 0
	v_add_u32_e32 v15, 8, v15
	v_cmp_le_u32_e32 vcc, s6, v15
	v_add_u32_e32 v18, 64, v18
	s_or_b64 s[4:5], vcc, s[4:5]
	s_waitcnt vmcnt(5)
	v_and_b32_e32 v28, 0xff, v26
	s_waitcnt vmcnt(4)
	v_lshlrev_b32_e32 v31, 8, v27
	v_lshrrev_b16_e32 v34, 4, v27
	v_and_or_b32 v28, v31, s16, v28
	v_and_b32_e32 v31, 15, v34
	v_bfe_u32 v29, v26, 8, 8
	v_lshrrev_b16_e32 v33, 12, v27
	v_lshlrev_b32_e32 v31, 8, v31
	v_bfe_u32 v30, v26, 16, 8
	v_lshlrev_b32_sdwa v35, v21, v27 dst_sel:DWORD dst_unused:UNUSED_PAD src0_sel:DWORD src1_sel:BYTE_1
	v_alignbit_b32 v26, v33, v26, 24
	v_lshlrev_b32_e32 v28, 3, v28
	v_and_or_b32 v29, v31, s16, v29
	v_and_or_b32 v30, v35, s16, v30
	v_and_b32_e32 v26, 0x7ff, v26
	global_load_dword v35, v28, s[18:19]
	v_lshlrev_b32_e32 v28, 3, v29
	v_lshlrev_b32_e32 v30, 3, v30
	;; [unrolled: 1-line block ×3, first 2 shown]
	global_load_dword v36, v28, s[18:19]
	global_load_dword v37, v30, s[18:19]
	;; [unrolled: 1-line block ×3, first 2 shown]
	global_load_ushort v29, v[24:25], off offset:48
	v_mov_b32_e32 v24, 0
	v_mov_b32_e32 v25, 0
	s_waitcnt vmcnt(7)
	v_dot4c_i32_i8_e32 v24, 0x1010101, v5
	s_waitcnt vmcnt(6)
	v_dot4c_i32_i8_e32 v25, 0x1010101, v1
	v_dot4c_i32_i8_e32 v24, 0x1010101, v6
	;; [unrolled: 1-line block ×3, first 2 shown]
	s_waitcnt vmcnt(5)
	v_alignbit_b32 v30, v23, v22, 16
	v_lshrrev_b16_e32 v31, 12, v22
	v_cvt_f32_i32_e32 v24, v24
	v_cvt_f32_i32_e32 v25, v25
	v_and_b32_sdwa v41, v23, s15 dst_sel:DWORD dst_unused:UNUSED_PAD src0_sel:WORD_1 src1_sel:DWORD
	v_and_b32_sdwa v23, v27, v21 dst_sel:DWORD dst_unused:UNUSED_PAD src0_sel:BYTE_1 src1_sel:DWORD
	v_and_b32_e32 v27, 8, v27
	v_cvt_f32_ubyte0_e32 v23, v23
	v_mov_b32_e32 v28, 0
	v_dot4c_i32_i8_e32 v28, 0x1010101, v3
	v_dot4c_i32_i8_e32 v28, 0x1010101, v32
	v_and_b32_e32 v34, 8, v34
	v_and_b32_e32 v33, 8, v33
	v_mov_b32_e32 v26, 0
	v_dot4c_i32_i8_e32 v26, 0x1010101, v7
	v_dot4c_i32_i8_e32 v26, 0x1010101, v0
	v_cvt_f32_f16_e32 v4, v4
	s_waitcnt vmcnt(0)
	v_lshrrev_b32_e32 v22, v17, v29
	v_pk_lshrrev_b16 v29, s14, v30
	v_lshlrev_b32_e32 v30, 1, v22
	v_lshrrev_b32_e32 v42, 2, v22
	v_cvt_f32_ubyte0_e32 v22, v27
	v_pk_fma_f32 v[22:23], v[22:23], s[0:1], v[12:13] op_sel_hi:[1,0,0] neg_lo:[1,0,0] neg_hi:[1,0,0]
	v_pk_fma_f32 v[22:23], v[22:23], v[24:25], 0 op_sel_hi:[1,1,0]
	v_and_b32_e32 v24, 0xf0f0f0f, v35
	v_lshrrev_b32_e32 v25, 4, v35
	v_and_b32_e32 v25, 0xf0f0f0f, v25
	v_dot4c_i32_i8_e32 v39, v24, v5
	v_and_b32_e32 v43, 0xf0000f0, v29
	v_dot4c_i32_i8_e32 v39, v25, v6
	v_and_b32_e32 v5, 0xf0f0f0f, v36
	v_and_b32_e32 v24, 0xf0f0f0f, v37
	v_lshrrev_b32_e32 v25, 4, v37
	v_cvt_f32_i32_e32 v27, v28
	v_cvt_f32_ubyte0_e32 v29, v33
	v_cvt_f32_ubyte0_e32 v28, v34
	v_and_or_b32 v33, v42, 14, 1
	v_or_b32_e32 v34, v43, v31
	v_dot4c_i32_i8_e32 v39, v5, v7
	v_and_b32_e32 v5, 0xf0f0f0f, v25
	v_dot4c_i32_i8_e32 v40, v24, v1
	v_cvt_f32_ubyte0_e32 v31, v33
	v_or_b32_sdwa v33, v34, v43 dst_sel:DWORD dst_unused:UNUSED_PAD src0_sel:DWORD src1_sel:WORD_1
	v_lshrrev_b32_e32 v6, 4, v36
	v_and_b32_e32 v34, 0xf0f0f0f, v38
	v_lshrrev_b32_e32 v35, 4, v38
	v_dot4c_i32_i8_e32 v40, v5, v2
	v_and_b32_e32 v6, 0xf0f0f0f, v6
	v_and_b32_e32 v1, 0xf0f0f0f, v35
	v_dot4c_i32_i8_e32 v40, v34, v3
	v_cvt_f32_i32_e32 v26, v26
	v_dot4c_i32_i8_e32 v39, v6, v0
	v_dot4c_i32_i8_e32 v40, v1, v32
	v_or_b32_e32 v33, v33, v41
	v_pk_fma_f32 v[28:29], v[28:29], s[0:1], v[12:13] op_sel_hi:[1,0,0] neg_lo:[1,0,0] neg_hi:[1,0,0]
	v_cvt_f32_i32_e32 v0, v39
	v_cvt_f32_i32_e32 v1, v40
	v_cvt_f32_f16_e32 v5, v33
	v_and_or_b32 v30, v30, 14, 1
	v_pk_fma_f32 v[2:3], v[28:29], v[26:27], v[22:23]
	v_cvt_f32_ubyte0_e32 v30, v30
	v_pk_add_f32 v[0:1], v[2:3], v[0:1]
	v_pk_mul_f32 v[0:1], v[0:1], v[30:31]
	v_mul_f32_e32 v4, v5, v4
	v_add_f32_e32 v0, v0, v1
	v_fmac_f32_e32 v14, v4, v0
	s_andn2_b64 exec, exec, s[4:5]
	s_cbranch_execnz .LBB116_3
; %bb.4:
	s_or_b64 exec, exec, s[4:5]
.LBB116_5:
	s_or_b64 exec, exec, s[12:13]
	v_mbcnt_lo_u32_b32 v0, -1, 0
	v_mbcnt_hi_u32_b32 v1, -1, v0
	v_and_b32_e32 v0, 64, v1
	v_add_u32_e32 v2, 64, v0
	v_xor_b32_e32 v0, 32, v1
	v_cmp_lt_i32_e32 vcc, v0, v2
	v_cndmask_b32_e32 v0, v1, v0, vcc
	v_lshlrev_b32_e32 v0, 2, v0
	ds_bpermute_b32 v0, v0, v14
	v_xor_b32_e32 v3, 16, v1
	v_cmp_lt_i32_e32 vcc, v3, v2
	v_cndmask_b32_e32 v3, v1, v3, vcc
	v_lshlrev_b32_e32 v3, 2, v3
	s_waitcnt lgkmcnt(0)
	v_add_f32_e32 v0, v14, v0
	ds_bpermute_b32 v3, v3, v0
	v_xor_b32_e32 v4, 8, v1
	v_cmp_lt_i32_e32 vcc, v4, v2
	s_waitcnt lgkmcnt(0)
	v_add_f32_e32 v0, v0, v3
	v_cndmask_b32_e32 v3, v1, v4, vcc
	v_lshlrev_b32_e32 v3, 2, v3
	ds_bpermute_b32 v3, v3, v0
	v_xor_b32_e32 v4, 4, v1
	v_cmp_lt_i32_e32 vcc, v4, v2
	s_waitcnt lgkmcnt(0)
	v_add_f32_e32 v0, v0, v3
	v_cndmask_b32_e32 v3, v1, v4, vcc
	v_lshlrev_b32_e32 v3, 2, v3
	ds_bpermute_b32 v3, v3, v0
	v_xor_b32_e32 v4, 2, v1
	v_cmp_lt_i32_e32 vcc, v4, v2
	s_waitcnt lgkmcnt(0)
	v_add_f32_e32 v0, v0, v3
	v_cndmask_b32_e32 v3, v1, v4, vcc
	v_lshlrev_b32_e32 v3, 2, v3
	ds_bpermute_b32 v3, v3, v0
	v_xor_b32_e32 v4, 1, v1
	v_cmp_lt_i32_e32 vcc, v4, v2
	v_cndmask_b32_e32 v1, v1, v4, vcc
	v_lshlrev_b32_e32 v1, 2, v1
	s_waitcnt lgkmcnt(0)
	v_add_f32_e32 v0, v0, v3
	ds_bpermute_b32 v1, v1, v0
	v_cmp_eq_u32_e32 vcc, 0, v11
	s_and_b64 exec, exec, vcc
	s_cbranch_execz .LBB116_7
; %bb.6:
	s_waitcnt lgkmcnt(0)
	v_add_f32_e32 v0, v0, v1
	v_bfe_u32 v1, v0, 16, 1
	s_movk_i32 s0, 0x7fff
	v_add3_u32 v1, v0, v1, s0
	v_lshrrev_b32_e32 v1, 16, v1
	v_mov_b32_e32 v2, 0x7fc0
	v_cmp_o_f32_e32 vcc, v0, v0
	s_mul_i32 s7, s7, s1
	v_cndmask_b32_e32 v2, v2, v1, vcc
	v_add_u32_e32 v0, s7, v9
	v_mov_b32_e32 v1, 0
	v_lshlrev_b64 v[0:1], 1, v[0:1]
	v_mov_b32_e32 v3, s3
	v_add_co_u32_e32 v0, vcc, s2, v0
	v_addc_co_u32_e32 v1, vcc, v3, v1, vcc
	global_store_short v[0:1], v2, off
.LBB116_7:
	s_endpgm
	.section	.rodata,"a",@progbits
	.p2align	6, 0x0
	.amdhsa_kernel _ZL13mul_mat_vec_qIN3c108BFloat16ELi256ELi8E11block_iq1_mLi1EXadL_ZL18vec_dot_iq1_m_q8_1PKvPK10block_q8_1RKiEEEvS4_S4_PT_iii
		.amdhsa_group_segment_fixed_size 0
		.amdhsa_private_segment_fixed_size 0
		.amdhsa_kernarg_size 296
		.amdhsa_user_sgpr_count 6
		.amdhsa_user_sgpr_private_segment_buffer 1
		.amdhsa_user_sgpr_dispatch_ptr 0
		.amdhsa_user_sgpr_queue_ptr 0
		.amdhsa_user_sgpr_kernarg_segment_ptr 1
		.amdhsa_user_sgpr_dispatch_id 0
		.amdhsa_user_sgpr_flat_scratch_init 0
		.amdhsa_user_sgpr_kernarg_preload_length 0
		.amdhsa_user_sgpr_kernarg_preload_offset 0
		.amdhsa_user_sgpr_private_segment_size 0
		.amdhsa_uses_dynamic_stack 0
		.amdhsa_system_sgpr_private_segment_wavefront_offset 0
		.amdhsa_system_sgpr_workgroup_id_x 1
		.amdhsa_system_sgpr_workgroup_id_y 1
		.amdhsa_system_sgpr_workgroup_id_z 0
		.amdhsa_system_sgpr_workgroup_info 0
		.amdhsa_system_vgpr_workitem_id 1
		.amdhsa_next_free_vgpr 44
		.amdhsa_next_free_sgpr 22
		.amdhsa_accum_offset 44
		.amdhsa_reserve_vcc 1
		.amdhsa_reserve_flat_scratch 0
		.amdhsa_float_round_mode_32 0
		.amdhsa_float_round_mode_16_64 0
		.amdhsa_float_denorm_mode_32 3
		.amdhsa_float_denorm_mode_16_64 3
		.amdhsa_dx10_clamp 1
		.amdhsa_ieee_mode 1
		.amdhsa_fp16_overflow 0
		.amdhsa_tg_split 0
		.amdhsa_exception_fp_ieee_invalid_op 0
		.amdhsa_exception_fp_denorm_src 0
		.amdhsa_exception_fp_ieee_div_zero 0
		.amdhsa_exception_fp_ieee_overflow 0
		.amdhsa_exception_fp_ieee_underflow 0
		.amdhsa_exception_fp_ieee_inexact 0
		.amdhsa_exception_int_div_zero 0
	.end_amdhsa_kernel
	.section	.text._ZL13mul_mat_vec_qIN3c108BFloat16ELi256ELi8E11block_iq1_mLi1EXadL_ZL18vec_dot_iq1_m_q8_1PKvPK10block_q8_1RKiEEEvS4_S4_PT_iii,"axG",@progbits,_ZL13mul_mat_vec_qIN3c108BFloat16ELi256ELi8E11block_iq1_mLi1EXadL_ZL18vec_dot_iq1_m_q8_1PKvPK10block_q8_1RKiEEEvS4_S4_PT_iii,comdat
.Lfunc_end116:
	.size	_ZL13mul_mat_vec_qIN3c108BFloat16ELi256ELi8E11block_iq1_mLi1EXadL_ZL18vec_dot_iq1_m_q8_1PKvPK10block_q8_1RKiEEEvS4_S4_PT_iii, .Lfunc_end116-_ZL13mul_mat_vec_qIN3c108BFloat16ELi256ELi8E11block_iq1_mLi1EXadL_ZL18vec_dot_iq1_m_q8_1PKvPK10block_q8_1RKiEEEvS4_S4_PT_iii
                                        ; -- End function
	.section	.AMDGPU.csdata,"",@progbits
; Kernel info:
; codeLenInByte = 1316
; NumSgprs: 26
; NumVgprs: 44
; NumAgprs: 0
; TotalNumVgprs: 44
; ScratchSize: 0
; MemoryBound: 0
; FloatMode: 240
; IeeeMode: 1
; LDSByteSize: 0 bytes/workgroup (compile time only)
; SGPRBlocks: 3
; VGPRBlocks: 5
; NumSGPRsForWavesPerEU: 26
; NumVGPRsForWavesPerEU: 44
; AccumOffset: 44
; Occupancy: 8
; WaveLimiterHint : 0
; COMPUTE_PGM_RSRC2:SCRATCH_EN: 0
; COMPUTE_PGM_RSRC2:USER_SGPR: 6
; COMPUTE_PGM_RSRC2:TRAP_HANDLER: 0
; COMPUTE_PGM_RSRC2:TGID_X_EN: 1
; COMPUTE_PGM_RSRC2:TGID_Y_EN: 1
; COMPUTE_PGM_RSRC2:TGID_Z_EN: 0
; COMPUTE_PGM_RSRC2:TIDIG_COMP_CNT: 1
; COMPUTE_PGM_RSRC3_GFX90A:ACCUM_OFFSET: 10
; COMPUTE_PGM_RSRC3_GFX90A:TG_SPLIT: 0
	.section	.text._ZL12mul_mat_q4_0IfLb0EEvPKvS1_PT_iiiii,"axG",@progbits,_ZL12mul_mat_q4_0IfLb0EEvPKvS1_PT_iiiii,comdat
	.globl	_ZL12mul_mat_q4_0IfLb0EEvPKvS1_PT_iiiii ; -- Begin function _ZL12mul_mat_q4_0IfLb0EEvPKvS1_PT_iiiii
	.p2align	8
	.type	_ZL12mul_mat_q4_0IfLb0EEvPKvS1_PT_iiiii,@function
_ZL12mul_mat_q4_0IfLb0EEvPKvS1_PT_iiiii: ; @_ZL12mul_mat_q4_0IfLb0EEvPKvS1_PT_iiiii
; %bb.0:
	s_load_dword s14, s[4:5], 0x18
	s_load_dwordx4 s[8:11], s[4:5], 0x20
	s_waitcnt lgkmcnt(0)
	s_lshl_b32 s11, s7, 6
	v_bfe_u32 v41, v0, 10, 10
	s_cmp_gt_i32 s14, 31
	s_cbranch_scc1 .LBB117_2
; %bb.1:
	v_bfe_u32 v1, v0, 10, 10
	s_mov_b32 s0, 0
	v_and_b32_e32 v37, 0x3ff, v0
	v_add_u32_e32 v43, s11, v1
	s_mov_b32 s1, s0
	s_mov_b64 s[2:3], 0
	s_branch .LBB117_3
.LBB117_2:
	s_mov_b64 s[2:3], -1
                                        ; implicit-def: $sgpr0_sgpr1
                                        ; implicit-def: $vgpr1
                                        ; implicit-def: $vgpr37
                                        ; implicit-def: $vgpr43
.LBB117_3:
	s_load_dwordx2 s[12:13], s[4:5], 0x10
	s_lshl_b32 s6, s6, 7
	s_andn2_b64 vcc, exec, s[2:3]
	v_pk_mov_b32 v[8:9], s[0:1], s[0:1] op_sel:[0,1]
	v_pk_mov_b32 v[16:17], s[0:1], s[0:1] op_sel:[0,1]
	;; [unrolled: 1-line block ×16, first 2 shown]
	s_cbranch_vccnz .LBB117_13
; %bb.4:
	s_load_dwordx4 s[0:3], s[4:5], 0x0
	s_ashr_i32 s4, s14, 31
	s_lshr_b32 s4, s4, 27
	s_ashr_i32 s7, s9, 31
	s_add_i32 s4, s14, s4
	s_lshr_b32 s7, s7, 27
	s_ashr_i32 s5, s4, 5
	s_add_i32 s7, s9, s7
	s_ashr_i32 s16, s7, 5
	s_mul_i32 s7, s5, s6
	s_mul_hi_i32 s9, s7, 18
	s_mul_i32 s7, s7, 18
	s_waitcnt lgkmcnt(0)
	s_add_u32 s7, s0, s7
	s_addc_u32 s9, s1, s9
	v_mul_lo_u32 v42, s5, v41
	s_lshl_b32 s14, s5, 3
	v_add_u32_e32 v44, s14, v42
	v_add_u32_e32 v48, s14, v44
	;; [unrolled: 1-line block ×11, first 2 shown]
	v_and_b32_e32 v37, 0x3ff, v0
	v_add_u32_e32 v68, s14, v66
	v_add_u32_e32 v70, s14, v68
	v_lshrrev_b32_e32 v79, 3, v37
	v_add_u32_e32 v72, s14, v70
	v_and_b32_e32 v76, 7, v37
	v_lshl_add_u32 v0, v41, 2, v79
	v_add_u32_e32 v74, s14, v72
	v_and_b32_e32 v1, 0x7fc, v0
	v_lshlrev_b32_e32 v3, 2, v76
	s_movk_i32 s14, 0x6200
	v_add3_u32 v4, v1, v3, s14
	v_add_u32_e32 v1, 32, v0
	v_lshlrev_b32_e32 v2, 2, v37
	s_movk_i32 s1, 0x84
	v_mul_lo_u32 v78, s5, v0
	v_lshlrev_b32_e32 v5, 5, v0
	v_and_b32_e32 v6, 0xffc, v1
	v_lshlrev_b32_e32 v7, 5, v1
	v_add_u32_e32 v1, 64, v0
	v_add_u32_e32 v0, 0x60, v0
	v_lshrrev_b32_e32 v36, 2, v37
	v_and_b32_e32 v40, 12, v2
	v_mad_u32_u24 v45, v41, s1, v2
	s_andn2_b32 s4, s4, 31
	v_and_b32_e32 v8, 0xffc, v1
	v_lshlrev_b32_e32 v9, 5, v1
	v_and_b32_e32 v1, 0xffc, v0
	v_and_b32_e32 v2, 28, v2
	v_add_u32_e32 v80, s4, v78
	v_add3_u32 v6, v6, v3, s14
	v_add3_u32 v8, v8, v3, s14
	;; [unrolled: 1-line block ×3, first 2 shown]
	v_mov_b32_e32 v3, s3
	v_add_co_u32_e32 v86, vcc, s2, v2
	v_lshl_add_u32 v2, v41, 3, v36
	v_add_u32_e32 v82, s4, v80
	v_addc_co_u32_e32 v87, vcc, 0, v3, vcc
	v_and_b32_e32 v3, 63, v2
	v_add_u32_e32 v84, s4, v82
	s_add_i32 s4, s8, -1
	v_or_b32_e32 v13, s11, v3
	v_and_b32_e32 v2, 3, v37
	v_min_i32_e32 v13, s4, v13
	v_mad_u64_u32 v[88:89], s[14:15], v13, s16, v[2:3]
	v_lshlrev_b32_e32 v2, 2, v2
	v_add_u32_e32 v43, s11, v41
	v_lshl_or_b32 v2, v3, 4, v2
	v_lshlrev_b32_e32 v11, 5, v0
	v_cvt_f64_i32_e32 v[0:1], s4
	v_add_u32_e32 v81, 0x7280, v2
	v_cvt_f64_u32_e32 v[2:3], v43
	v_min_f64 v[2:3], v[2:3], v[0:1]
	v_cvt_i32_f64_e32 v2, v[2:3]
	v_mul_lo_u32 v83, s16, v2
	v_add_u32_e32 v2, 8, v43
	v_cvt_f64_u32_e32 v[2:3], v2
	v_min_f64 v[2:3], v[2:3], v[0:1]
	v_cvt_i32_f64_e32 v2, v[2:3]
	v_mul_lo_u32 v89, s16, v2
	v_add_u32_e32 v2, 16, v43
	v_cvt_f64_u32_e32 v[2:3], v2
	v_min_f64 v[2:3], v[2:3], v[0:1]
	v_cvt_i32_f64_e32 v2, v[2:3]
	v_mul_lo_u32 v93, s16, v2
	v_add_u32_e32 v2, 24, v43
	v_cvt_f64_u32_e32 v[2:3], v2
	v_min_f64 v[2:3], v[2:3], v[0:1]
	v_cvt_i32_f64_e32 v2, v[2:3]
	v_mul_lo_u32 v97, s16, v2
	v_add_u32_e32 v2, 32, v43
	v_cvt_f64_u32_e32 v[2:3], v2
	v_min_f64 v[2:3], v[2:3], v[0:1]
	v_cvt_i32_f64_e32 v2, v[2:3]
	v_mul_lo_u32 v101, s16, v2
	v_add_u32_e32 v2, 40, v43
	v_cvt_f64_u32_e32 v[2:3], v2
	v_min_f64 v[2:3], v[2:3], v[0:1]
	v_cvt_i32_f64_e32 v2, v[2:3]
	v_mul_lo_u32 v103, s16, v2
	v_add_u32_e32 v2, 48, v43
	v_cvt_f64_u32_e32 v[2:3], v2
	v_min_f64 v[2:3], v[2:3], v[0:1]
	v_cvt_i32_f64_e32 v2, v[2:3]
	v_mul_lo_u32 v105, s16, v2
	v_add_u32_e32 v2, 56, v43
	v_cvt_f64_u32_e32 v[2:3], v2
	v_min_f64 v[0:1], v[2:3], v[0:1]
	v_and_b32_e32 v12, 31, v37
	v_lshlrev_b32_e32 v13, 7, v41
	v_cvt_i32_f64_e32 v0, v[0:1]
	v_lshl_or_b32 v12, v12, 2, v13
	v_mul_lo_u32 v107, s16, v0
	v_add_u32_e32 v0, 32, v37
	v_add_u32_e32 v1, 64, v37
	;; [unrolled: 1-line block ×3, first 2 shown]
	s_mov_b32 s0, 0
	v_add_u32_e32 v85, 0x4200, v12
	v_add_u32_e32 v91, 0x4600, v12
	;; [unrolled: 1-line block ×8, first 2 shown]
	v_lshlrev_b32_e32 v3, 5, v37
	v_lshrrev_b32_e32 v110, 3, v0
	v_and_b32_e32 v2, 0x1fc, v2
	v_and_b32_e32 v1, 0x1fc, v1
	;; [unrolled: 1-line block ×4, first 2 shown]
	v_add_u32_e32 v2, v3, v2
	v_add_u32_e32 v1, v3, v1
	;; [unrolled: 1-line block ×4, first 2 shown]
	v_mov_b32_e32 v12, 0x7280
	v_mad_u32_u24 v121, v37, s1, 64
	s_mov_b32 s1, s0
	v_add_u32_e32 v49, 0x420, v45
	v_add_u32_e32 v51, 0x840, v45
	;; [unrolled: 1-line block ×15, first 2 shown]
	v_mul_u32_u24_e32 v109, 0x84, v37
	v_add_u32_e32 v111, 0x6e00, v2
	v_add_u32_e32 v112, 0x6a00, v1
	;; [unrolled: 1-line block ×5, first 2 shown]
	v_lshl_add_u32 v116, v41, 4, v12
	v_add_u32_e32 v117, 0x6e10, v2
	v_add_u32_e32 v118, 0x6a10, v1
	;; [unrolled: 1-line block ×4, first 2 shown]
	v_pk_mov_b32 v[46:47], s[0:1], s[0:1] op_sel:[0,1]
	v_add_u32_e32 v122, v4, v5
	v_add_u32_e32 v123, v6, v7
	;; [unrolled: 1-line block ×4, first 2 shown]
	s_mov_b32 s4, 0x41000000
	v_pk_mov_b32 v[30:31], s[0:1], s[0:1] op_sel:[0,1]
	v_pk_mov_b32 v[22:23], s[0:1], s[0:1] op_sel:[0,1]
	;; [unrolled: 1-line block ×15, first 2 shown]
	s_branch .LBB117_6
.LBB117_5:                              ;   in Loop: Header=BB117_6 Depth=1
	s_add_i32 s0, s0, 8
	s_cmp_ge_i32 s0, s5
	s_cbranch_scc1 .LBB117_12
.LBB117_6:                              ; =>This Loop Header: Depth=1
                                        ;     Child Loop BB117_7 Depth 2
                                        ;     Child Loop BB117_10 Depth 2
	s_mul_i32 s14, s0, 18
	s_mul_hi_u32 s1, s0, 18
	s_add_u32 s14, s7, s14
	s_addc_u32 s15, s9, s1
	v_mad_u64_u32 v[0:1], s[16:17], v36, 18, s[14:15]
	v_add_co_u32_e32 v0, vcc, v0, v40
	v_addc_co_u32_e32 v1, vcc, 0, v1, vcc
	v_add_co_u32_e32 v0, vcc, 2, v0
	v_addc_co_u32_e32 v1, vcc, 0, v1, vcc
	v_mad_u64_u32 v[2:3], s[16:17], v42, 18, v[0:1]
	v_mad_u64_u32 v[4:5], s[16:17], v44, 18, v[0:1]
	v_mad_u64_u32 v[6:7], s[16:17], v48, 18, v[0:1]
	v_mad_u64_u32 v[98:99], s[16:17], v50, 18, v[0:1]
	v_mad_u64_u32 v[126:127], s[16:17], v52, 18, v[0:1]
	v_mad_u64_u32 v[128:129], s[16:17], v54, 18, v[0:1]
	v_mad_u64_u32 v[130:131], s[16:17], v56, 18, v[0:1]
	v_mad_u64_u32 v[132:133], s[16:17], v58, 18, v[0:1]
	global_load_dword v90, v[2:3], off
	global_load_dword v92, v[4:5], off
	;; [unrolled: 1-line block ×6, first 2 shown]
                                        ; kill: killed $vgpr128_vgpr129
                                        ; kill: killed $vgpr126_vgpr127
	global_load_dword v136, v[130:131], off
	global_load_dword v137, v[132:133], off
	v_mad_u64_u32 v[2:3], s[16:17], v60, 18, v[0:1]
	v_mad_u64_u32 v[4:5], s[16:17], v62, 18, v[0:1]
	;; [unrolled: 1-line block ×8, first 2 shown]
	global_load_dword v138, v[2:3], off
	global_load_dword v139, v[4:5], off
	;; [unrolled: 1-line block ×4, first 2 shown]
	s_nop 0
	global_load_dword v127, v[126:127], off
	s_nop 0
	global_load_dword v142, v[128:129], off
	global_load_dword v143, v[130:131], off
	;; [unrolled: 1-line block ×3, first 2 shown]
	v_mad_u64_u32 v[0:1], s[14:15], v76, 18, s[14:15]
	v_mad_u64_u32 v[2:3], s[14:15], v78, 18, v[0:1]
	;; [unrolled: 1-line block ×5, first 2 shown]
	v_add_u32_e32 v132, s0, v79
	global_load_ushort v145, v[2:3], off
	global_load_ushort v146, v[4:5], off
	global_load_ushort v147, v[6:7], off
	global_load_ushort v148, v[0:1], off
	v_add_u32_e32 v0, v132, v83
	v_add_u32_e32 v2, v132, v89
	;; [unrolled: 1-line block ×5, first 2 shown]
	v_mad_i64_i32 v[0:1], s[14:15], v0, 36, v[86:87]
	v_mad_i64_i32 v[2:3], s[14:15], v2, 36, v[86:87]
	;; [unrolled: 1-line block ×5, first 2 shown]
	v_add_u32_e32 v128, v132, v103
	v_add_u32_e32 v130, v132, v105
	;; [unrolled: 1-line block ×3, first 2 shown]
	v_mad_i64_i32 v[128:129], s[14:15], v128, 36, v[86:87]
	v_mad_i64_i32 v[130:131], s[14:15], v130, 36, v[86:87]
	;; [unrolled: 1-line block ×3, first 2 shown]
	global_load_dword v149, v[0:1], off offset:4
	s_nop 0
	global_load_dword v2, v[2:3], off offset:4
	s_nop 0
	;; [unrolled: 2-line block ×3, first 2 shown]
	global_load_dword v4, v[6:7], off offset:4
	global_load_dword v5, v[98:99], off offset:4
	s_nop 0
	global_load_dword v6, v[128:129], off offset:4
	global_load_dword v7, v[130:131], off offset:4
	;; [unrolled: 1-line block ×3, first 2 shown]
	v_add_u32_e32 v126, s0, v88
	v_mad_u64_u32 v[0:1], s[14:15], v126, 36, s[2:3]
	global_load_dword v0, v[0:1], off
	s_mov_b32 s1, -4
	s_waitcnt vmcnt(28)
	ds_write_b32 v45, v90
	s_waitcnt vmcnt(27)
	ds_write_b32 v49, v92
	;; [unrolled: 2-line block ×16, first 2 shown]
	v_mov_b32_e32 v127, v116
	v_mov_b32_e32 v128, v115
	;; [unrolled: 1-line block ×7, first 2 shown]
	s_waitcnt vmcnt(12)
	v_cvt_f32_f16_e32 v1, v145
	s_waitcnt vmcnt(11)
	v_cvt_f32_f16_e32 v90, v146
	;; [unrolled: 2-line block ×4, first 2 shown]
	ds_write_b32 v122, v1
	ds_write_b32 v123, v90
	ds_write_b32 v124, v92
	ds_write_b32 v125, v94
	s_waitcnt vmcnt(8)
	ds_write_b32 v85, v149
	s_waitcnt vmcnt(7)
	ds_write_b32 v91, v2
	;; [unrolled: 2-line block ×9, first 2 shown]
	s_waitcnt lgkmcnt(0)
	s_barrier
.LBB117_7:                              ;   Parent Loop BB117_6 Depth=1
                                        ; =>  This Inner Loop Header: Depth=2
	ds_read_b128 v[0:3], v128
	ds_read_b128 v[4:7], v128 offset:16
	ds_read2_b32 v[98:99], v127 offset1:32
	ds_read_b32 v90, v130
	ds_read2_b32 v[138:139], v129 offset1:1
	ds_read2_b32 v[142:143], v129 offset0:2 offset1:3
	v_add_u32_e32 v94, 0x1080, v129
	v_add_u32_e32 v96, 0x2100, v129
	v_mov_b32_e32 v170, 0
	s_waitcnt lgkmcnt(1)
	v_lshrrev_b32_e32 v92, 4, v138
	v_and_b32_e32 v135, 0xf0f0f0f, v92
	v_lshrrev_b32_e32 v92, 4, v139
	v_and_b32_e32 v137, 0xf0f0f0f, v139
	v_and_b32_e32 v139, 0xf0f0f0f, v92
	s_waitcnt lgkmcnt(0)
	v_lshrrev_b32_e32 v92, 4, v142
	v_and_b32_e32 v141, 0xf0f0f0f, v92
	v_lshrrev_b32_e32 v92, 4, v143
	v_and_b32_e32 v144, 0xf0f0f0f, v92
	ds_read_b32 v92, v131
	ds_read2_b32 v[146:147], v94 offset1:1
	v_and_b32_e32 v134, 0xf0f0f0f, v138
	v_and_b32_e32 v140, 0xf0f0f0f, v142
	;; [unrolled: 1-line block ×3, first 2 shown]
	v_mov_b32_e32 v172, 0
	s_waitcnt lgkmcnt(0)
	v_lshrrev_b32_e32 v94, 4, v146
	v_and_b32_e32 v138, 0xf0f0f0f, v94
	v_lshrrev_b32_e32 v94, 4, v147
	v_and_b32_e32 v145, 0xf0f0f0f, v94
	v_add_u32_e32 v94, 0x1088, v129
	v_and_b32_e32 v136, 0xf0f0f0f, v146
	v_and_b32_e32 v143, 0xf0f0f0f, v147
	ds_read2_b32 v[146:147], v94 offset1:1
	v_mov_b32_e32 v173, 0
	v_mov_b32_e32 v174, 0
	v_dot4c_i32_i8_e32 v170, v134, v0
	v_dot4c_i32_i8_e32 v172, v136, v0
	s_waitcnt lgkmcnt(0)
	v_lshrrev_b32_e32 v94, 4, v146
	v_and_b32_e32 v149, 0xf0f0f0f, v94
	v_lshrrev_b32_e32 v94, 4, v147
	v_and_b32_e32 v151, 0xf0f0f0f, v94
	ds_read_b32 v94, v132
	ds_read2_b32 v[152:153], v96 offset1:1
	v_and_b32_e32 v150, 0xf0f0f0f, v147
	v_and_b32_e32 v148, 0xf0f0f0f, v146
	v_dot4c_i32_i8_e32 v170, v135, v4
	v_dot4c_i32_i8_e32 v172, v138, v4
	s_waitcnt lgkmcnt(0)
	v_lshrrev_b32_e32 v96, 4, v152
	v_and_b32_e32 v147, 0xf0f0f0f, v96
	v_lshrrev_b32_e32 v96, 4, v153
	v_and_b32_e32 v146, 0xf0f0f0f, v152
	v_and_b32_e32 v152, 0xf0f0f0f, v153
	v_and_b32_e32 v153, 0xf0f0f0f, v96
	v_add_u32_e32 v96, 0x2108, v129
	ds_read2_b32 v[154:155], v96 offset1:1
	v_dot4c_i32_i8_e32 v173, v146, v0
	v_dot4c_i32_i8_e32 v173, v147, v4
	;; [unrolled: 1-line block ×4, first 2 shown]
	s_waitcnt lgkmcnt(0)
	v_lshrrev_b32_e32 v96, 4, v154
	v_and_b32_e32 v157, 0xf0f0f0f, v96
	v_lshrrev_b32_e32 v96, 4, v155
	v_and_b32_e32 v156, 0xf0f0f0f, v154
	v_and_b32_e32 v159, 0xf0f0f0f, v96
	v_add_u32_e32 v154, 0x3180, v129
	ds_read_b32 v96, v133
	ds_read2_b32 v[160:161], v154 offset1:1
	v_and_b32_e32 v158, 0xf0f0f0f, v155
	v_dot4c_i32_i8_e32 v173, v152, v1
	v_dot4c_i32_i8_e32 v170, v139, v5
	;; [unrolled: 1-line block ×3, first 2 shown]
	s_waitcnt lgkmcnt(0)
	v_and_b32_e32 v154, 0xf0f0f0f, v160
	v_lshrrev_b32_e32 v155, 4, v160
	v_and_b32_e32 v155, 0xf0f0f0f, v155
	v_dot4c_i32_i8_e32 v174, v154, v0
	v_dot4c_i32_i8_e32 v174, v155, v4
	v_and_b32_e32 v0, 0xf0f0f0f, v161
	v_dot4c_i32_i8_e32 v174, v0, v1
	v_add_u32_e32 v1, 0x3188, v129
	v_lshrrev_b32_e32 v4, 4, v161
	ds_read2_b32 v[160:161], v1 offset1:1
	v_and_b32_e32 v4, 0xf0f0f0f, v4
	v_dot4c_i32_i8_e32 v173, v153, v5
	v_dot4c_i32_i8_e32 v174, v4, v5
	;; [unrolled: 1-line block ×3, first 2 shown]
	s_waitcnt lgkmcnt(0)
	v_and_b32_e32 v1, 0xf0f0f0f, v160
	v_lshrrev_b32_e32 v5, 4, v160
	v_dot4c_i32_i8_e32 v172, v148, v2
	v_dot4c_i32_i8_e32 v173, v156, v2
	v_and_b32_e32 v5, 0xf0f0f0f, v5
	v_dot4c_i32_i8_e32 v174, v1, v2
	v_dot4c_i32_i8_e32 v170, v141, v6
	;; [unrolled: 1-line block ×5, first 2 shown]
	v_and_b32_e32 v2, 0xf0f0f0f, v161
	v_lshrrev_b32_e32 v6, 4, v161
	ds_read_b128 v[160:163], v128 offset:1024
	ds_read_b128 v[164:167], v128 offset:1040
	v_dot4c_i32_i8_e32 v170, v142, v3
	v_dot4c_i32_i8_e32 v172, v150, v3
	;; [unrolled: 1-line block ×4, first 2 shown]
	v_mov_b32_e32 v3, 0
	s_waitcnt lgkmcnt(1)
	v_dot4c_i32_i8_e32 v3, v134, v160
	s_waitcnt lgkmcnt(0)
	v_dot4c_i32_i8_e32 v3, v135, v164
	v_dot4c_i32_i8_e32 v3, v137, v161
	v_dot4c_i32_i8_e32 v3, v139, v165
	v_dot4c_i32_i8_e32 v3, v140, v162
	v_dot4c_i32_i8_e32 v3, v141, v166
	v_dot4c_i32_i8_e32 v3, v142, v163
	v_dot4c_i32_i8_e32 v3, v144, v167
	v_dot4c_i32_i8_e32 v170, v144, v7
	v_cvt_f32_f16_e32 v169, v99
	v_cvt_f32_f16_e32 v168, v98
	v_cvt_f32_i32_e32 v171, v3
	v_mov_b32_e32 v3, 0
	v_dot4c_i32_i8_e32 v3, v136, v160
	v_dot4c_i32_i8_e32 v3, v138, v164
	v_cvt_f32_f16_sdwa v99, v99 dst_sel:DWORD dst_unused:UNUSED_PAD src0_sel:WORD_1
	v_cvt_f32_f16_sdwa v98, v98 dst_sel:DWORD dst_unused:UNUSED_PAD src0_sel:WORD_1
	v_dot4c_i32_i8_e32 v3, v143, v161
	v_cvt_f32_i32_e32 v170, v170
	v_dot4c_i32_i8_e32 v3, v145, v165
	v_dot4c_i32_i8_e32 v3, v148, v162
	;; [unrolled: 1-line block ×3, first 2 shown]
	v_pk_mul_f32 v[98:99], v[98:99], s[4:5] op_sel_hi:[1,0]
	v_dot4c_i32_i8_e32 v3, v150, v163
	v_pk_fma_f32 v[170:171], v[168:169], v[170:171], v[98:99] neg_lo:[0,0,1] neg_hi:[0,0,1]
	v_dot4c_i32_i8_e32 v3, v151, v167
	v_pk_fma_f32 v[46:47], v[90:91], v[170:171], v[46:47] op_sel_hi:[0,1,1]
	v_dot4c_i32_i8_e32 v172, v151, v7
	v_and_b32_e32 v6, 0xf0f0f0f, v6
	v_cvt_f32_i32_e32 v171, v3
	v_mov_b32_e32 v3, 0
	v_dot4c_i32_i8_e32 v3, v146, v160
	v_dot4c_i32_i8_e32 v3, v147, v164
	;; [unrolled: 1-line block ×3, first 2 shown]
	v_cvt_f32_i32_e32 v170, v172
	v_dot4c_i32_i8_e32 v3, v153, v165
	v_dot4c_i32_i8_e32 v3, v156, v162
	;; [unrolled: 1-line block ×4, first 2 shown]
	v_pk_fma_f32 v[170:171], v[168:169], v[170:171], v[98:99] neg_lo:[0,0,1] neg_hi:[0,0,1]
	v_dot4c_i32_i8_e32 v3, v159, v167
	v_pk_fma_f32 v[38:39], v[92:93], v[170:171], v[38:39] op_sel_hi:[0,1,1]
	v_dot4c_i32_i8_e32 v173, v159, v7
	v_dot4c_i32_i8_e32 v174, v6, v7
	v_cvt_f32_i32_e32 v171, v3
	v_mov_b32_e32 v3, 0
	v_dot4c_i32_i8_e32 v3, v154, v160
	v_dot4c_i32_i8_e32 v3, v155, v164
	;; [unrolled: 1-line block ×8, first 2 shown]
	v_cvt_f32_i32_e32 v170, v173
	v_cvt_f32_i32_e32 v160, v174
	v_mov_b32_e32 v7, 0
	v_cvt_f32_i32_e32 v161, v3
	v_pk_fma_f32 v[170:171], v[168:169], v[170:171], v[98:99] neg_lo:[0,0,1] neg_hi:[0,0,1]
	v_mov_b32_e32 v3, 0
	v_mov_b32_e32 v172, 0
	v_pk_fma_f32 v[98:99], v[168:169], v[160:161], v[98:99] neg_lo:[0,0,1] neg_hi:[0,0,1]
	v_pk_fma_f32 v[32:33], v[96:97], v[98:99], v[32:33] op_sel_hi:[0,1,1]
	ds_read_b128 v[160:163], v128 offset:2048
	ds_read_b128 v[164:167], v128 offset:2064
	ds_read2_b32 v[98:99], v127 offset0:64 offset1:96
	v_mov_b32_e32 v173, 0
	v_pk_fma_f32 v[34:35], v[94:95], v[170:171], v[34:35] op_sel_hi:[0,1,1]
	s_waitcnt lgkmcnt(2)
	v_dot4c_i32_i8_e32 v3, v134, v160
	v_dot4c_i32_i8_e32 v7, v136, v160
	;; [unrolled: 1-line block ×4, first 2 shown]
	s_waitcnt lgkmcnt(1)
	v_dot4c_i32_i8_e32 v3, v135, v164
	v_dot4c_i32_i8_e32 v7, v138, v164
	;; [unrolled: 1-line block ×28, first 2 shown]
	ds_read_b128 v[160:163], v128 offset:3072
	ds_read_b128 v[164:167], v128 offset:3088
	v_mov_b32_e32 v170, 0
	s_waitcnt lgkmcnt(2)
	v_cvt_f32_f16_e32 v169, v99
	v_cvt_f32_f16_e32 v168, v98
	s_waitcnt lgkmcnt(1)
	v_dot4c_i32_i8_e32 v170, v134, v160
	s_waitcnt lgkmcnt(0)
	v_dot4c_i32_i8_e32 v170, v135, v164
	v_dot4c_i32_i8_e32 v170, v137, v161
	;; [unrolled: 1-line block ×7, first 2 shown]
	v_cvt_f32_f16_sdwa v99, v99 dst_sel:DWORD dst_unused:UNUSED_PAD src0_sel:WORD_1
	v_cvt_f32_f16_sdwa v98, v98 dst_sel:DWORD dst_unused:UNUSED_PAD src0_sel:WORD_1
	s_add_i32 s1, s1, 4
	v_cvt_f32_i32_e32 v171, v170
	v_cvt_f32_i32_e32 v170, v3
	v_mov_b32_e32 v3, 0
	v_dot4c_i32_i8_e32 v3, v136, v160
	v_dot4c_i32_i8_e32 v3, v138, v164
	;; [unrolled: 1-line block ×6, first 2 shown]
	v_pk_mul_f32 v[98:99], v[98:99], s[4:5] op_sel_hi:[1,0]
	v_dot4c_i32_i8_e32 v3, v150, v163
	v_pk_fma_f32 v[170:171], v[170:171], v[168:169], v[98:99] neg_lo:[0,0,1] neg_hi:[0,0,1]
	v_dot4c_i32_i8_e32 v3, v151, v167
	v_pk_fma_f32 v[30:31], v[90:91], v[170:171], v[30:31] op_sel_hi:[0,1,1]
	v_cvt_f32_i32_e32 v170, v7
	v_mov_b32_e32 v7, 0
	v_cvt_f32_i32_e32 v171, v3
	v_mov_b32_e32 v3, 0
	v_dot4c_i32_i8_e32 v3, v146, v160
	v_dot4c_i32_i8_e32 v3, v147, v164
	;; [unrolled: 1-line block ×7, first 2 shown]
	v_pk_fma_f32 v[170:171], v[170:171], v[168:169], v[98:99] neg_lo:[0,0,1] neg_hi:[0,0,1]
	v_dot4c_i32_i8_e32 v3, v159, v167
	v_pk_fma_f32 v[28:29], v[92:93], v[170:171], v[28:29] op_sel_hi:[0,1,1]
	v_cvt_f32_i32_e32 v170, v172
	v_mov_b32_e32 v172, 0
	v_cvt_f32_i32_e32 v171, v3
	v_mov_b32_e32 v3, 0
	v_dot4c_i32_i8_e32 v3, v154, v160
	v_dot4c_i32_i8_e32 v3, v155, v164
	;; [unrolled: 1-line block ×8, first 2 shown]
	v_cvt_f32_i32_e32 v160, v173
	v_pk_fma_f32 v[170:171], v[170:171], v[168:169], v[98:99] neg_lo:[0,0,1] neg_hi:[0,0,1]
	v_mov_b32_e32 v173, 0
	v_cvt_f32_i32_e32 v161, v3
	v_mov_b32_e32 v3, 0
	v_pk_fma_f32 v[26:27], v[94:95], v[170:171], v[26:27] op_sel_hi:[0,1,1]
	v_mov_b32_e32 v170, 0
	v_pk_fma_f32 v[98:99], v[160:161], v[168:169], v[98:99] neg_lo:[0,0,1] neg_hi:[0,0,1]
	v_pk_fma_f32 v[24:25], v[96:97], v[98:99], v[24:25] op_sel_hi:[0,1,1]
	ds_read_b128 v[160:163], v128 offset:4096
	ds_read_b128 v[164:167], v128 offset:4112
	ds_read2_b32 v[98:99], v127 offset0:128 offset1:160
	v_add_u32_e32 v133, 4, v133
	v_add_u32_e32 v132, 4, v132
	s_waitcnt lgkmcnt(2)
	v_dot4c_i32_i8_e32 v3, v134, v160
	v_dot4c_i32_i8_e32 v7, v136, v160
	;; [unrolled: 1-line block ×4, first 2 shown]
	s_waitcnt lgkmcnt(1)
	v_dot4c_i32_i8_e32 v3, v135, v164
	v_dot4c_i32_i8_e32 v7, v138, v164
	;; [unrolled: 1-line block ×28, first 2 shown]
	ds_read_b128 v[160:163], v128 offset:5120
	ds_read_b128 v[164:167], v128 offset:5136
	s_waitcnt lgkmcnt(2)
	v_cvt_f32_f16_e32 v169, v99
	v_cvt_f32_f16_e32 v168, v98
	v_cvt_f32_f16_sdwa v99, v99 dst_sel:DWORD dst_unused:UNUSED_PAD src0_sel:WORD_1
	s_waitcnt lgkmcnt(1)
	v_dot4c_i32_i8_e32 v170, v134, v160
	s_waitcnt lgkmcnt(0)
	v_dot4c_i32_i8_e32 v170, v135, v164
	v_dot4c_i32_i8_e32 v170, v137, v161
	;; [unrolled: 1-line block ×7, first 2 shown]
	v_cvt_f32_f16_sdwa v98, v98 dst_sel:DWORD dst_unused:UNUSED_PAD src0_sel:WORD_1
	v_add_u32_e32 v131, 4, v131
	v_add_u32_e32 v130, 4, v130
	v_cvt_f32_i32_e32 v171, v170
	v_cvt_f32_i32_e32 v170, v3
	v_mov_b32_e32 v3, 0
	v_dot4c_i32_i8_e32 v3, v136, v160
	v_dot4c_i32_i8_e32 v3, v138, v164
	;; [unrolled: 1-line block ×6, first 2 shown]
	v_pk_mul_f32 v[98:99], v[98:99], s[4:5] op_sel_hi:[1,0]
	v_dot4c_i32_i8_e32 v3, v150, v163
	v_pk_fma_f32 v[170:171], v[170:171], v[168:169], v[98:99] neg_lo:[0,0,1] neg_hi:[0,0,1]
	v_dot4c_i32_i8_e32 v3, v151, v167
	v_pk_fma_f32 v[22:23], v[90:91], v[170:171], v[22:23] op_sel_hi:[0,1,1]
	v_cvt_f32_i32_e32 v170, v7
	v_mov_b32_e32 v7, 0
	v_cvt_f32_i32_e32 v171, v3
	v_mov_b32_e32 v3, 0
	v_dot4c_i32_i8_e32 v3, v146, v160
	v_dot4c_i32_i8_e32 v3, v147, v164
	;; [unrolled: 1-line block ×7, first 2 shown]
	v_pk_fma_f32 v[170:171], v[170:171], v[168:169], v[98:99] neg_lo:[0,0,1] neg_hi:[0,0,1]
	v_dot4c_i32_i8_e32 v3, v159, v167
	v_pk_fma_f32 v[20:21], v[92:93], v[170:171], v[20:21] op_sel_hi:[0,1,1]
	v_cvt_f32_i32_e32 v170, v172
	v_add_u32_e32 v129, 16, v129
	v_cvt_f32_i32_e32 v171, v3
	v_mov_b32_e32 v3, 0
	v_dot4c_i32_i8_e32 v3, v154, v160
	v_dot4c_i32_i8_e32 v3, v155, v164
	;; [unrolled: 1-line block ×8, first 2 shown]
	v_cvt_f32_i32_e32 v160, v173
	v_pk_fma_f32 v[170:171], v[170:171], v[168:169], v[98:99] neg_lo:[0,0,1] neg_hi:[0,0,1]
	v_pk_fma_f32 v[18:19], v[94:95], v[170:171], v[18:19] op_sel_hi:[0,1,1]
	v_cvt_f32_i32_e32 v161, v3
	v_mov_b32_e32 v3, 0
	v_mov_b32_e32 v170, 0
	s_cmp_lt_u32 s1, 12
	v_pk_fma_f32 v[98:99], v[160:161], v[168:169], v[98:99] neg_lo:[0,0,1] neg_hi:[0,0,1]
	v_pk_fma_f32 v[16:17], v[96:97], v[98:99], v[16:17] op_sel_hi:[0,1,1]
	ds_read_b128 v[160:163], v128 offset:6144
	ds_read_b128 v[164:167], v128 offset:6160
	ds_read2_b32 v[98:99], v127 offset0:192 offset1:224
	v_mov_b32_e32 v168, 0
	v_mov_b32_e32 v169, 0
	s_waitcnt lgkmcnt(2)
	v_dot4c_i32_i8_e32 v3, v134, v160
	v_dot4c_i32_i8_e32 v7, v136, v160
	;; [unrolled: 1-line block ×4, first 2 shown]
	s_waitcnt lgkmcnt(1)
	v_dot4c_i32_i8_e32 v3, v135, v164
	v_dot4c_i32_i8_e32 v7, v138, v164
	;; [unrolled: 1-line block ×28, first 2 shown]
	ds_read_b128 v[160:163], v128 offset:7168
	ds_read_b128 v[164:167], v128 offset:7184
	v_add_u32_e32 v128, 32, v128
	v_add_u32_e32 v127, 4, v127
	s_waitcnt lgkmcnt(1)
	v_dot4c_i32_i8_e32 v170, v134, v160
	s_waitcnt lgkmcnt(0)
	v_dot4c_i32_i8_e32 v170, v135, v164
	v_dot4c_i32_i8_e32 v170, v137, v161
	;; [unrolled: 1-line block ×4, first 2 shown]
	v_cvt_f32_i32_e32 v140, v3
	v_mov_b32_e32 v3, 0
	v_dot4c_i32_i8_e32 v3, v136, v160
	v_dot4c_i32_i8_e32 v3, v138, v164
	v_dot4c_i32_i8_e32 v3, v143, v161
	v_dot4c_i32_i8_e32 v3, v145, v165
	v_dot4c_i32_i8_e32 v3, v148, v162
	v_dot4c_i32_i8_e32 v3, v149, v166
	v_dot4c_i32_i8_e32 v3, v150, v163
	v_dot4c_i32_i8_e32 v3, v151, v167
	v_cvt_f32_f16_e32 v135, v99
	v_cvt_f32_f16_e32 v134, v98
	v_cvt_f32_f16_sdwa v99, v99 dst_sel:DWORD dst_unused:UNUSED_PAD src0_sel:WORD_1
	v_cvt_f32_i32_e32 v137, v3
	v_mov_b32_e32 v3, 0
	v_dot4c_i32_i8_e32 v3, v146, v160
	v_dot4c_i32_i8_e32 v3, v147, v164
	v_cvt_f32_f16_sdwa v98, v98 dst_sel:DWORD dst_unused:UNUSED_PAD src0_sel:WORD_1
	v_dot4c_i32_i8_e32 v3, v152, v161
	v_cvt_f32_i32_e32 v136, v7
	v_dot4c_i32_i8_e32 v3, v153, v165
	v_dot4c_i32_i8_e32 v3, v156, v162
	;; [unrolled: 1-line block ×3, first 2 shown]
	v_pk_mul_f32 v[98:99], v[98:99], s[4:5] op_sel_hi:[1,0]
	v_dot4c_i32_i8_e32 v3, v158, v163
	v_pk_fma_f32 v[136:137], v[136:137], v[134:135], v[98:99] neg_lo:[0,0,1] neg_hi:[0,0,1]
	v_dot4c_i32_i8_e32 v3, v159, v167
	v_pk_fma_f32 v[12:13], v[92:93], v[136:137], v[12:13] op_sel_hi:[0,1,1]
	v_dot4c_i32_i8_e32 v170, v141, v166
	v_dot4c_i32_i8_e32 v170, v142, v163
	v_cvt_f32_i32_e32 v137, v3
	v_mov_b32_e32 v3, 0
	v_dot4c_i32_i8_e32 v3, v154, v160
	v_dot4c_i32_i8_e32 v3, v155, v164
	;; [unrolled: 1-line block ×9, first 2 shown]
	v_cvt_f32_i32_e32 v136, v168
	v_cvt_f32_i32_e32 v0, v169
	;; [unrolled: 1-line block ×4, first 2 shown]
	v_pk_fma_f32 v[136:137], v[136:137], v[134:135], v[98:99] neg_lo:[0,0,1] neg_hi:[0,0,1]
	v_pk_fma_f32 v[10:11], v[94:95], v[136:137], v[10:11] op_sel_hi:[0,1,1]
	v_pk_fma_f32 v[140:141], v[140:141], v[134:135], v[98:99] neg_lo:[0,0,1] neg_hi:[0,0,1]
	v_pk_fma_f32 v[0:1], v[0:1], v[134:135], v[98:99] neg_lo:[0,0,1] neg_hi:[0,0,1]
	v_pk_fma_f32 v[14:15], v[90:91], v[140:141], v[14:15] op_sel_hi:[0,1,1]
	v_pk_fma_f32 v[8:9], v[96:97], v[0:1], v[8:9] op_sel_hi:[0,1,1]
	s_cbranch_scc1 .LBB117_7
; %bb.8:                                ;   in Loop: Header=BB117_6 Depth=1
	s_or_b32 s1, s0, 4
	s_cmp_ge_i32 s1, s5
	s_barrier
	s_cbranch_scc1 .LBB117_5
; %bb.9:                                ;   in Loop: Header=BB117_6 Depth=1
	v_add_u32_e32 v90, s0, v110
	v_add_u32_e32 v92, v90, v101
	v_add_u32_e32 v0, v90, v83
	v_add_u32_e32 v2, v90, v89
	v_add_u32_e32 v4, v90, v93
	v_add_u32_e32 v6, v90, v97
	v_mad_i64_i32 v[98:99], s[14:15], v92, 36, v[86:87]
	v_add_u32_e32 v92, v90, v103
	v_mad_i64_i32 v[0:1], s[14:15], v0, 36, v[86:87]
	v_mad_i64_i32 v[2:3], s[14:15], v2, 36, v[86:87]
	;; [unrolled: 1-line block ×5, first 2 shown]
	v_add_u32_e32 v92, v90, v105
	v_add_u32_e32 v90, v90, v107
	v_mad_i64_i32 v[130:131], s[14:15], v92, 36, v[86:87]
	v_mad_i64_i32 v[132:133], s[14:15], v90, 36, v[86:87]
	global_load_dword v90, v[0:1], off offset:4
	s_nop 0
	global_load_dword v2, v[2:3], off offset:4
	s_nop 0
	;; [unrolled: 2-line block ×3, first 2 shown]
	global_load_dword v4, v[6:7], off offset:4
	global_load_dword v5, v[98:99], off offset:4
                                        ; kill: killed $vgpr6_vgpr7
                                        ; kill: killed $vgpr98_vgpr99
	s_nop 0
	global_load_dword v6, v[128:129], off offset:4
	global_load_dword v7, v[130:131], off offset:4
	;; [unrolled: 1-line block ×3, first 2 shown]
	v_add_u32_e32 v0, 4, v126
	v_mad_u64_u32 v[0:1], s[14:15], v0, 36, s[2:3]
	global_load_dword v0, v[0:1], off
	s_mov_b32 s1, 12
	v_mov_b32_e32 v126, v116
	v_mov_b32_e32 v127, v115
	;; [unrolled: 1-line block ×7, first 2 shown]
	s_waitcnt vmcnt(8)
	ds_write_b32 v85, v90
	s_waitcnt vmcnt(7)
	ds_write_b32 v91, v2
	;; [unrolled: 2-line block ×9, first 2 shown]
	s_waitcnt lgkmcnt(0)
	s_barrier
.LBB117_10:                             ;   Parent Loop BB117_6 Depth=1
                                        ; =>  This Inner Loop Header: Depth=2
	ds_read_b128 v[0:3], v127
	ds_read_b128 v[4:7], v127 offset:16
	ds_read2_b32 v[98:99], v126 offset1:32
	ds_read_b32 v90, v129
	ds_read2_b32 v[134:135], v128 offset1:1
	ds_read2_b32 v[142:143], v128 offset0:2 offset1:3
	v_add_u32_e32 v94, 0x1080, v128
	v_add_u32_e32 v96, 0x2100, v128
	v_mov_b32_e32 v170, 0
	s_waitcnt lgkmcnt(1)
	v_lshrrev_b32_e32 v92, 4, v134
	v_and_b32_e32 v133, 0xf0f0f0f, v134
	v_and_b32_e32 v134, 0xf0f0f0f, v92
	v_lshrrev_b32_e32 v92, 4, v135
	v_and_b32_e32 v138, 0xf0f0f0f, v92
	s_waitcnt lgkmcnt(0)
	v_lshrrev_b32_e32 v92, 4, v142
	v_and_b32_e32 v140, 0xf0f0f0f, v92
	v_lshrrev_b32_e32 v92, 4, v143
	v_and_b32_e32 v141, 0xf0f0f0f, v143
	v_and_b32_e32 v143, 0xf0f0f0f, v92
	ds_read_b32 v92, v130
	ds_read2_b32 v[144:145], v94 offset1:1
	v_and_b32_e32 v136, 0xf0f0f0f, v135
	v_and_b32_e32 v139, 0xf0f0f0f, v142
	v_mov_b32_e32 v172, 0
	v_mov_b32_e32 v173, 0
	s_waitcnt lgkmcnt(0)
	v_lshrrev_b32_e32 v94, 4, v144
	v_and_b32_e32 v137, 0xf0f0f0f, v94
	v_lshrrev_b32_e32 v94, 4, v145
	v_and_b32_e32 v135, 0xf0f0f0f, v144
	v_and_b32_e32 v144, 0xf0f0f0f, v94
	v_add_u32_e32 v94, 0x1088, v128
	ds_read2_b32 v[150:151], v94 offset1:1
	v_and_b32_e32 v142, 0xf0f0f0f, v145
	v_dot4c_i32_i8_e32 v170, v133, v0
	v_dot4c_i32_i8_e32 v172, v135, v0
	;; [unrolled: 1-line block ×3, first 2 shown]
	s_waitcnt lgkmcnt(0)
	v_lshrrev_b32_e32 v94, 4, v150
	v_and_b32_e32 v148, 0xf0f0f0f, v94
	v_lshrrev_b32_e32 v94, 4, v151
	v_and_b32_e32 v147, 0xf0f0f0f, v150
	v_and_b32_e32 v150, 0xf0f0f0f, v94
	ds_read_b32 v94, v131
	ds_read2_b32 v[152:153], v96 offset1:1
	v_and_b32_e32 v149, 0xf0f0f0f, v151
	v_dot4c_i32_i8_e32 v172, v137, v4
	v_dot4c_i32_i8_e32 v170, v136, v1
	;; [unrolled: 1-line block ×3, first 2 shown]
	s_waitcnt lgkmcnt(0)
	v_lshrrev_b32_e32 v96, 4, v152
	v_and_b32_e32 v146, 0xf0f0f0f, v96
	v_lshrrev_b32_e32 v96, 4, v153
	v_and_b32_e32 v145, 0xf0f0f0f, v152
	v_and_b32_e32 v152, 0xf0f0f0f, v96
	v_add_u32_e32 v96, 0x2108, v128
	ds_read2_b32 v[158:159], v96 offset1:1
	v_and_b32_e32 v151, 0xf0f0f0f, v153
	v_add_u32_e32 v153, 0x3180, v128
	v_dot4c_i32_i8_e32 v173, v145, v0
	v_dot4c_i32_i8_e32 v173, v146, v4
	s_waitcnt lgkmcnt(0)
	v_lshrrev_b32_e32 v96, 4, v158
	v_and_b32_e32 v156, 0xf0f0f0f, v96
	v_lshrrev_b32_e32 v96, 4, v159
	v_and_b32_e32 v155, 0xf0f0f0f, v158
	v_and_b32_e32 v158, 0xf0f0f0f, v96
	ds_read_b32 v96, v132
	ds_read2_b32 v[160:161], v153 offset1:1
	v_and_b32_e32 v157, 0xf0f0f0f, v159
	v_mov_b32_e32 v159, 0
	v_dot4c_i32_i8_e32 v173, v151, v1
	v_dot4c_i32_i8_e32 v170, v138, v5
	s_waitcnt lgkmcnt(0)
	v_and_b32_e32 v153, 0xf0f0f0f, v160
	v_lshrrev_b32_e32 v154, 4, v160
	v_and_b32_e32 v154, 0xf0f0f0f, v154
	v_dot4c_i32_i8_e32 v159, v153, v0
	v_dot4c_i32_i8_e32 v159, v154, v4
	v_and_b32_e32 v0, 0xf0f0f0f, v161
	v_dot4c_i32_i8_e32 v159, v0, v1
	v_add_u32_e32 v1, 0x3188, v128
	v_lshrrev_b32_e32 v4, 4, v161
	ds_read2_b32 v[160:161], v1 offset1:1
	v_and_b32_e32 v4, 0xf0f0f0f, v4
	v_dot4c_i32_i8_e32 v172, v144, v5
	v_dot4c_i32_i8_e32 v173, v152, v5
	v_dot4c_i32_i8_e32 v159, v4, v5
	s_waitcnt lgkmcnt(0)
	v_and_b32_e32 v1, 0xf0f0f0f, v160
	v_lshrrev_b32_e32 v5, 4, v160
	v_dot4c_i32_i8_e32 v170, v139, v2
	v_dot4c_i32_i8_e32 v172, v147, v2
	;; [unrolled: 1-line block ×3, first 2 shown]
	v_and_b32_e32 v5, 0xf0f0f0f, v5
	v_dot4c_i32_i8_e32 v159, v1, v2
	v_dot4c_i32_i8_e32 v170, v140, v6
	;; [unrolled: 1-line block ×5, first 2 shown]
	v_and_b32_e32 v2, 0xf0f0f0f, v161
	v_lshrrev_b32_e32 v6, 4, v161
	ds_read_b128 v[160:163], v127 offset:1024
	ds_read_b128 v[164:167], v127 offset:1040
	v_dot4c_i32_i8_e32 v170, v141, v3
	v_dot4c_i32_i8_e32 v172, v149, v3
	;; [unrolled: 1-line block ×4, first 2 shown]
	v_mov_b32_e32 v3, 0
	s_waitcnt lgkmcnt(1)
	v_dot4c_i32_i8_e32 v3, v133, v160
	s_waitcnt lgkmcnt(0)
	v_dot4c_i32_i8_e32 v3, v134, v164
	v_dot4c_i32_i8_e32 v3, v136, v161
	v_dot4c_i32_i8_e32 v3, v138, v165
	v_dot4c_i32_i8_e32 v3, v139, v162
	v_dot4c_i32_i8_e32 v3, v140, v166
	v_dot4c_i32_i8_e32 v3, v141, v163
	v_dot4c_i32_i8_e32 v3, v143, v167
	v_dot4c_i32_i8_e32 v170, v143, v7
	v_cvt_f32_f16_e32 v169, v99
	v_cvt_f32_f16_e32 v168, v98
	v_cvt_f32_i32_e32 v171, v3
	v_mov_b32_e32 v3, 0
	v_dot4c_i32_i8_e32 v3, v135, v160
	v_dot4c_i32_i8_e32 v3, v137, v164
	v_cvt_f32_f16_sdwa v99, v99 dst_sel:DWORD dst_unused:UNUSED_PAD src0_sel:WORD_1
	v_cvt_f32_f16_sdwa v98, v98 dst_sel:DWORD dst_unused:UNUSED_PAD src0_sel:WORD_1
	v_dot4c_i32_i8_e32 v3, v142, v161
	v_cvt_f32_i32_e32 v170, v170
	v_dot4c_i32_i8_e32 v3, v144, v165
	v_dot4c_i32_i8_e32 v3, v147, v162
	;; [unrolled: 1-line block ×3, first 2 shown]
	v_pk_mul_f32 v[98:99], v[98:99], s[4:5] op_sel_hi:[1,0]
	v_dot4c_i32_i8_e32 v3, v149, v163
	v_pk_fma_f32 v[170:171], v[168:169], v[170:171], v[98:99] neg_lo:[0,0,1] neg_hi:[0,0,1]
	v_dot4c_i32_i8_e32 v3, v150, v167
	v_pk_fma_f32 v[46:47], v[90:91], v[170:171], v[46:47] op_sel_hi:[0,1,1]
	v_dot4c_i32_i8_e32 v172, v150, v7
	v_and_b32_e32 v6, 0xf0f0f0f, v6
	v_cvt_f32_i32_e32 v171, v3
	v_mov_b32_e32 v3, 0
	v_dot4c_i32_i8_e32 v3, v145, v160
	v_dot4c_i32_i8_e32 v3, v146, v164
	;; [unrolled: 1-line block ×3, first 2 shown]
	v_cvt_f32_i32_e32 v170, v172
	v_dot4c_i32_i8_e32 v3, v152, v165
	v_dot4c_i32_i8_e32 v3, v155, v162
	;; [unrolled: 1-line block ×4, first 2 shown]
	v_pk_fma_f32 v[170:171], v[168:169], v[170:171], v[98:99] neg_lo:[0,0,1] neg_hi:[0,0,1]
	v_dot4c_i32_i8_e32 v3, v158, v167
	v_pk_fma_f32 v[38:39], v[92:93], v[170:171], v[38:39] op_sel_hi:[0,1,1]
	v_dot4c_i32_i8_e32 v173, v158, v7
	v_dot4c_i32_i8_e32 v159, v6, v7
	v_cvt_f32_i32_e32 v171, v3
	v_mov_b32_e32 v3, 0
	v_dot4c_i32_i8_e32 v3, v153, v160
	v_dot4c_i32_i8_e32 v3, v154, v164
	;; [unrolled: 1-line block ×8, first 2 shown]
	v_cvt_f32_i32_e32 v170, v173
	v_cvt_f32_i32_e32 v160, v159
	v_mov_b32_e32 v7, 0
	v_cvt_f32_i32_e32 v161, v3
	v_pk_fma_f32 v[170:171], v[168:169], v[170:171], v[98:99] neg_lo:[0,0,1] neg_hi:[0,0,1]
	v_mov_b32_e32 v3, 0
	v_mov_b32_e32 v159, 0
	v_pk_fma_f32 v[98:99], v[168:169], v[160:161], v[98:99] neg_lo:[0,0,1] neg_hi:[0,0,1]
	v_pk_fma_f32 v[32:33], v[96:97], v[98:99], v[32:33] op_sel_hi:[0,1,1]
	ds_read_b128 v[160:163], v127 offset:2048
	ds_read_b128 v[164:167], v127 offset:2064
	ds_read2_b32 v[98:99], v126 offset0:64 offset1:96
	v_mov_b32_e32 v172, 0
	v_pk_fma_f32 v[34:35], v[94:95], v[170:171], v[34:35] op_sel_hi:[0,1,1]
	s_waitcnt lgkmcnt(2)
	v_dot4c_i32_i8_e32 v3, v133, v160
	v_dot4c_i32_i8_e32 v7, v135, v160
	v_dot4c_i32_i8_e32 v159, v145, v160
	v_dot4c_i32_i8_e32 v172, v153, v160
	s_waitcnt lgkmcnt(1)
	v_dot4c_i32_i8_e32 v3, v134, v164
	v_dot4c_i32_i8_e32 v7, v137, v164
	;; [unrolled: 1-line block ×28, first 2 shown]
	ds_read_b128 v[160:163], v127 offset:3072
	ds_read_b128 v[164:167], v127 offset:3088
	v_mov_b32_e32 v170, 0
	s_waitcnt lgkmcnt(2)
	v_cvt_f32_f16_e32 v169, v99
	v_cvt_f32_f16_e32 v168, v98
	s_waitcnt lgkmcnt(1)
	v_dot4c_i32_i8_e32 v170, v133, v160
	s_waitcnt lgkmcnt(0)
	v_dot4c_i32_i8_e32 v170, v134, v164
	v_dot4c_i32_i8_e32 v170, v136, v161
	v_dot4c_i32_i8_e32 v170, v138, v165
	v_dot4c_i32_i8_e32 v170, v139, v162
	v_dot4c_i32_i8_e32 v170, v140, v166
	v_dot4c_i32_i8_e32 v170, v141, v163
	v_dot4c_i32_i8_e32 v170, v143, v167
	v_cvt_f32_f16_sdwa v99, v99 dst_sel:DWORD dst_unused:UNUSED_PAD src0_sel:WORD_1
	v_cvt_f32_f16_sdwa v98, v98 dst_sel:DWORD dst_unused:UNUSED_PAD src0_sel:WORD_1
	s_add_i32 s1, s1, 4
	v_cvt_f32_i32_e32 v171, v170
	v_cvt_f32_i32_e32 v170, v3
	v_mov_b32_e32 v3, 0
	v_dot4c_i32_i8_e32 v3, v135, v160
	v_dot4c_i32_i8_e32 v3, v137, v164
	;; [unrolled: 1-line block ×6, first 2 shown]
	v_pk_mul_f32 v[98:99], v[98:99], s[4:5] op_sel_hi:[1,0]
	v_dot4c_i32_i8_e32 v3, v149, v163
	v_pk_fma_f32 v[170:171], v[170:171], v[168:169], v[98:99] neg_lo:[0,0,1] neg_hi:[0,0,1]
	v_dot4c_i32_i8_e32 v3, v150, v167
	v_pk_fma_f32 v[30:31], v[90:91], v[170:171], v[30:31] op_sel_hi:[0,1,1]
	v_cvt_f32_i32_e32 v170, v7
	v_mov_b32_e32 v7, 0
	v_cvt_f32_i32_e32 v171, v3
	v_mov_b32_e32 v3, 0
	v_dot4c_i32_i8_e32 v3, v145, v160
	v_dot4c_i32_i8_e32 v3, v146, v164
	v_dot4c_i32_i8_e32 v3, v151, v161
	v_dot4c_i32_i8_e32 v3, v152, v165
	v_dot4c_i32_i8_e32 v3, v155, v162
	v_dot4c_i32_i8_e32 v3, v156, v166
	v_dot4c_i32_i8_e32 v3, v157, v163
	v_pk_fma_f32 v[170:171], v[170:171], v[168:169], v[98:99] neg_lo:[0,0,1] neg_hi:[0,0,1]
	v_dot4c_i32_i8_e32 v3, v158, v167
	v_pk_fma_f32 v[28:29], v[92:93], v[170:171], v[28:29] op_sel_hi:[0,1,1]
	v_cvt_f32_i32_e32 v170, v159
	v_mov_b32_e32 v159, 0
	v_cvt_f32_i32_e32 v171, v3
	v_mov_b32_e32 v3, 0
	v_dot4c_i32_i8_e32 v3, v153, v160
	v_dot4c_i32_i8_e32 v3, v154, v164
	;; [unrolled: 1-line block ×8, first 2 shown]
	v_cvt_f32_i32_e32 v160, v172
	v_pk_fma_f32 v[170:171], v[170:171], v[168:169], v[98:99] neg_lo:[0,0,1] neg_hi:[0,0,1]
	v_mov_b32_e32 v172, 0
	v_cvt_f32_i32_e32 v161, v3
	v_mov_b32_e32 v3, 0
	v_pk_fma_f32 v[26:27], v[94:95], v[170:171], v[26:27] op_sel_hi:[0,1,1]
	v_mov_b32_e32 v170, 0
	v_pk_fma_f32 v[98:99], v[160:161], v[168:169], v[98:99] neg_lo:[0,0,1] neg_hi:[0,0,1]
	v_pk_fma_f32 v[24:25], v[96:97], v[98:99], v[24:25] op_sel_hi:[0,1,1]
	ds_read_b128 v[160:163], v127 offset:4096
	ds_read_b128 v[164:167], v127 offset:4112
	ds_read2_b32 v[98:99], v126 offset0:128 offset1:160
	v_add_u32_e32 v132, 4, v132
	v_add_u32_e32 v131, 4, v131
	s_waitcnt lgkmcnt(2)
	v_dot4c_i32_i8_e32 v3, v133, v160
	v_dot4c_i32_i8_e32 v7, v135, v160
	;; [unrolled: 1-line block ×4, first 2 shown]
	s_waitcnt lgkmcnt(1)
	v_dot4c_i32_i8_e32 v3, v134, v164
	v_dot4c_i32_i8_e32 v7, v137, v164
	;; [unrolled: 1-line block ×28, first 2 shown]
	ds_read_b128 v[160:163], v127 offset:5120
	ds_read_b128 v[164:167], v127 offset:5136
	s_waitcnt lgkmcnt(2)
	v_cvt_f32_f16_e32 v169, v99
	v_cvt_f32_f16_e32 v168, v98
	v_cvt_f32_f16_sdwa v99, v99 dst_sel:DWORD dst_unused:UNUSED_PAD src0_sel:WORD_1
	s_waitcnt lgkmcnt(1)
	v_dot4c_i32_i8_e32 v170, v133, v160
	s_waitcnt lgkmcnt(0)
	v_dot4c_i32_i8_e32 v170, v134, v164
	v_dot4c_i32_i8_e32 v170, v136, v161
	;; [unrolled: 1-line block ×7, first 2 shown]
	v_cvt_f32_f16_sdwa v98, v98 dst_sel:DWORD dst_unused:UNUSED_PAD src0_sel:WORD_1
	v_add_u32_e32 v130, 4, v130
	v_add_u32_e32 v129, 4, v129
	v_cvt_f32_i32_e32 v171, v170
	v_cvt_f32_i32_e32 v170, v3
	v_mov_b32_e32 v3, 0
	v_dot4c_i32_i8_e32 v3, v135, v160
	v_dot4c_i32_i8_e32 v3, v137, v164
	;; [unrolled: 1-line block ×6, first 2 shown]
	v_pk_mul_f32 v[98:99], v[98:99], s[4:5] op_sel_hi:[1,0]
	v_dot4c_i32_i8_e32 v3, v149, v163
	v_pk_fma_f32 v[170:171], v[170:171], v[168:169], v[98:99] neg_lo:[0,0,1] neg_hi:[0,0,1]
	v_dot4c_i32_i8_e32 v3, v150, v167
	v_pk_fma_f32 v[22:23], v[90:91], v[170:171], v[22:23] op_sel_hi:[0,1,1]
	v_cvt_f32_i32_e32 v170, v7
	v_mov_b32_e32 v7, 0
	v_cvt_f32_i32_e32 v171, v3
	v_mov_b32_e32 v3, 0
	v_dot4c_i32_i8_e32 v3, v145, v160
	v_dot4c_i32_i8_e32 v3, v146, v164
	;; [unrolled: 1-line block ×7, first 2 shown]
	v_pk_fma_f32 v[170:171], v[170:171], v[168:169], v[98:99] neg_lo:[0,0,1] neg_hi:[0,0,1]
	v_dot4c_i32_i8_e32 v3, v158, v167
	v_pk_fma_f32 v[20:21], v[92:93], v[170:171], v[20:21] op_sel_hi:[0,1,1]
	v_cvt_f32_i32_e32 v170, v159
	v_mov_b32_e32 v159, 0
	v_cvt_f32_i32_e32 v171, v3
	v_mov_b32_e32 v3, 0
	v_dot4c_i32_i8_e32 v3, v153, v160
	v_dot4c_i32_i8_e32 v3, v154, v164
	;; [unrolled: 1-line block ×8, first 2 shown]
	v_cvt_f32_i32_e32 v160, v172
	v_pk_fma_f32 v[170:171], v[170:171], v[168:169], v[98:99] neg_lo:[0,0,1] neg_hi:[0,0,1]
	v_pk_fma_f32 v[18:19], v[94:95], v[170:171], v[18:19] op_sel_hi:[0,1,1]
	v_cvt_f32_i32_e32 v161, v3
	v_mov_b32_e32 v3, 0
	v_add_u32_e32 v128, 16, v128
	s_cmp_lt_u32 s1, 28
	v_pk_fma_f32 v[98:99], v[160:161], v[168:169], v[98:99] neg_lo:[0,0,1] neg_hi:[0,0,1]
	v_pk_fma_f32 v[16:17], v[96:97], v[98:99], v[16:17] op_sel_hi:[0,1,1]
	ds_read_b128 v[160:163], v127 offset:6144
	ds_read_b128 v[164:167], v127 offset:6160
	ds_read2_b32 v[98:99], v126 offset0:192 offset1:224
	v_mov_b32_e32 v168, 0
	v_mov_b32_e32 v169, 0
	s_waitcnt lgkmcnt(2)
	v_dot4c_i32_i8_e32 v3, v133, v160
	v_dot4c_i32_i8_e32 v7, v135, v160
	;; [unrolled: 1-line block ×4, first 2 shown]
	s_waitcnt lgkmcnt(1)
	v_dot4c_i32_i8_e32 v3, v134, v164
	v_dot4c_i32_i8_e32 v7, v137, v164
	;; [unrolled: 1-line block ×28, first 2 shown]
	ds_read_b128 v[160:163], v127 offset:7168
	ds_read_b128 v[164:167], v127 offset:7184
	v_add_u32_e32 v127, 32, v127
	v_add_u32_e32 v126, 4, v126
	s_waitcnt lgkmcnt(1)
	v_dot4c_i32_i8_e32 v169, v133, v160
	s_waitcnt lgkmcnt(0)
	v_dot4c_i32_i8_e32 v169, v134, v164
	v_dot4c_i32_i8_e32 v169, v136, v161
	;; [unrolled: 1-line block ×5, first 2 shown]
	v_cvt_f32_i32_e32 v140, v3
	v_mov_b32_e32 v3, 0
	v_dot4c_i32_i8_e32 v3, v135, v160
	v_dot4c_i32_i8_e32 v3, v137, v164
	;; [unrolled: 1-line block ×8, first 2 shown]
	v_cvt_f32_f16_e32 v139, v99
	v_cvt_f32_f16_e32 v138, v98
	v_cvt_f32_f16_sdwa v99, v99 dst_sel:DWORD dst_unused:UNUSED_PAD src0_sel:WORD_1
	v_cvt_f32_i32_e32 v135, v3
	v_mov_b32_e32 v3, 0
	v_dot4c_i32_i8_e32 v3, v145, v160
	v_dot4c_i32_i8_e32 v3, v146, v164
	v_cvt_f32_f16_sdwa v98, v98 dst_sel:DWORD dst_unused:UNUSED_PAD src0_sel:WORD_1
	v_dot4c_i32_i8_e32 v3, v151, v161
	v_cvt_f32_i32_e32 v134, v7
	v_dot4c_i32_i8_e32 v3, v152, v165
	v_dot4c_i32_i8_e32 v3, v155, v162
	;; [unrolled: 1-line block ×3, first 2 shown]
	v_pk_mul_f32 v[98:99], v[98:99], s[4:5] op_sel_hi:[1,0]
	v_dot4c_i32_i8_e32 v3, v157, v163
	v_pk_fma_f32 v[134:135], v[134:135], v[138:139], v[98:99] neg_lo:[0,0,1] neg_hi:[0,0,1]
	v_dot4c_i32_i8_e32 v3, v158, v167
	v_pk_fma_f32 v[12:13], v[92:93], v[134:135], v[12:13] op_sel_hi:[0,1,1]
	v_dot4c_i32_i8_e32 v169, v141, v163
	v_dot4c_i32_i8_e32 v169, v143, v167
	v_cvt_f32_i32_e32 v135, v3
	v_mov_b32_e32 v3, 0
	v_dot4c_i32_i8_e32 v3, v153, v160
	v_dot4c_i32_i8_e32 v3, v154, v164
	v_dot4c_i32_i8_e32 v3, v0, v161
	v_dot4c_i32_i8_e32 v3, v4, v165
	v_dot4c_i32_i8_e32 v3, v1, v162
	v_dot4c_i32_i8_e32 v3, v5, v166
	v_dot4c_i32_i8_e32 v3, v2, v163
	v_dot4c_i32_i8_e32 v3, v6, v167
	v_cvt_f32_i32_e32 v141, v169
	v_cvt_f32_i32_e32 v134, v159
	;; [unrolled: 1-line block ×4, first 2 shown]
	v_pk_fma_f32 v[140:141], v[140:141], v[138:139], v[98:99] neg_lo:[0,0,1] neg_hi:[0,0,1]
	v_pk_fma_f32 v[134:135], v[134:135], v[138:139], v[98:99] neg_lo:[0,0,1] neg_hi:[0,0,1]
	v_pk_fma_f32 v[14:15], v[90:91], v[140:141], v[14:15] op_sel_hi:[0,1,1]
	v_pk_fma_f32 v[0:1], v[0:1], v[138:139], v[98:99] neg_lo:[0,0,1] neg_hi:[0,0,1]
	v_pk_fma_f32 v[10:11], v[94:95], v[134:135], v[10:11] op_sel_hi:[0,1,1]
	v_pk_fma_f32 v[8:9], v[96:97], v[0:1], v[8:9] op_sel_hi:[0,1,1]
	s_cbranch_scc1 .LBB117_10
; %bb.11:                               ;   in Loop: Header=BB117_6 Depth=1
	s_barrier
	s_branch .LBB117_5
.LBB117_12:
	v_mov_b32_e32 v1, v41
.LBB117_13:
	v_cmp_gt_u32_e32 vcc, s8, v43
	s_and_saveexec_b64 s[0:1], vcc
	s_cbranch_execz .LBB117_64
; %bb.14:
	v_add_u32_e32 v0, s6, v37
	v_mul_lo_u32 v5, v43, s10
	v_cmp_gt_u32_e32 vcc, s10, v0
	s_and_saveexec_b64 s[2:3], vcc
	s_cbranch_execz .LBB117_16
; %bb.15:
	v_add_u32_e32 v2, v0, v5
	v_mov_b32_e32 v3, 0
	v_lshlrev_b64 v[2:3], 2, v[2:3]
	s_waitcnt lgkmcnt(0)
	v_mov_b32_e32 v4, s13
	v_add_co_u32_e64 v2, s[0:1], s12, v2
	v_addc_co_u32_e64 v3, s[0:1], v4, v3, s[0:1]
	global_store_dword v[2:3], v46, off
.LBB117_16:
	s_or_b64 exec, exec, s[2:3]
	v_add_u32_e32 v2, 32, v0
	v_cmp_gt_u32_e64 s[0:1], s10, v2
	s_and_saveexec_b64 s[4:5], s[0:1]
	s_cbranch_execz .LBB117_18
; %bb.17:
	v_add_u32_e32 v6, v2, v5
	v_mov_b32_e32 v7, 0
	v_lshlrev_b64 v[6:7], 2, v[6:7]
	s_waitcnt lgkmcnt(0)
	v_mov_b32_e32 v3, s13
	v_add_co_u32_e64 v6, s[2:3], s12, v6
	v_addc_co_u32_e64 v7, s[2:3], v3, v7, s[2:3]
	global_store_dword v[6:7], v38, off
.LBB117_18:
	s_or_b64 exec, exec, s[4:5]
	v_add_u32_e32 v3, 64, v0
	v_cmp_gt_u32_e64 s[2:3], s10, v3
	s_and_saveexec_b64 s[6:7], s[2:3]
	;; [unrolled: 15-line block ×3, first 2 shown]
	s_cbranch_execz .LBB117_22
; %bb.21:
	v_add_u32_e32 v6, v4, v5
	v_mov_b32_e32 v7, 0
	v_lshlrev_b64 v[6:7], 2, v[6:7]
	s_waitcnt lgkmcnt(0)
	v_mov_b32_e32 v5, s13
	v_add_co_u32_e64 v6, s[6:7], s12, v6
	v_addc_co_u32_e64 v7, s[6:7], v5, v7, s[6:7]
	global_store_dword v[6:7], v32, off
.LBB117_22:
	s_or_b64 exec, exec, s[14:15]
	v_add3_u32 v5, v1, s11, 8
	v_cmp_gt_u32_e64 s[6:7], s8, v5
	s_and_b64 exec, exec, s[6:7]
	s_cbranch_execz .LBB117_64
; %bb.23:
	v_mul_lo_u32 v5, v5, s10
	s_and_saveexec_b64 s[14:15], vcc
	s_cbranch_execnz .LBB117_65
; %bb.24:
	s_or_b64 exec, exec, s[14:15]
	s_and_saveexec_b64 s[14:15], s[0:1]
	s_cbranch_execnz .LBB117_66
.LBB117_25:
	s_or_b64 exec, exec, s[14:15]
	s_and_saveexec_b64 s[14:15], s[2:3]
	s_cbranch_execnz .LBB117_67
.LBB117_26:
	s_or_b64 exec, exec, s[14:15]
	s_and_saveexec_b64 s[14:15], s[4:5]
	s_cbranch_execz .LBB117_28
.LBB117_27:
	v_add_u32_e32 v6, v5, v4
	v_mov_b32_e32 v7, 0
	v_lshlrev_b64 v[6:7], 2, v[6:7]
	s_waitcnt lgkmcnt(0)
	v_mov_b32_e32 v5, s13
	v_add_co_u32_e64 v6, s[6:7], s12, v6
	v_addc_co_u32_e64 v7, s[6:7], v5, v7, s[6:7]
	global_store_dword v[6:7], v33, off
.LBB117_28:
	s_or_b64 exec, exec, s[14:15]
	v_add3_u32 v5, v1, s11, 16
	v_cmp_gt_u32_e64 s[6:7], s8, v5
	s_and_b64 exec, exec, s[6:7]
	s_cbranch_execz .LBB117_64
; %bb.29:
	v_mul_lo_u32 v5, v5, s10
	s_and_saveexec_b64 s[14:15], vcc
	s_cbranch_execnz .LBB117_68
; %bb.30:
	s_or_b64 exec, exec, s[14:15]
	s_and_saveexec_b64 s[14:15], s[0:1]
	s_cbranch_execnz .LBB117_69
.LBB117_31:
	s_or_b64 exec, exec, s[14:15]
	s_and_saveexec_b64 s[14:15], s[2:3]
	s_cbranch_execnz .LBB117_70
.LBB117_32:
	s_or_b64 exec, exec, s[14:15]
	s_and_saveexec_b64 s[14:15], s[4:5]
	s_cbranch_execz .LBB117_34
.LBB117_33:
	v_add_u32_e32 v6, v5, v4
	v_mov_b32_e32 v7, 0
	v_lshlrev_b64 v[6:7], 2, v[6:7]
	s_waitcnt lgkmcnt(0)
	v_mov_b32_e32 v5, s13
	v_add_co_u32_e64 v6, s[6:7], s12, v6
	v_addc_co_u32_e64 v7, s[6:7], v5, v7, s[6:7]
	global_store_dword v[6:7], v24, off
.LBB117_34:
	s_or_b64 exec, exec, s[14:15]
	v_add3_u32 v5, v1, s11, 24
	v_cmp_gt_u32_e64 s[6:7], s8, v5
	s_and_b64 exec, exec, s[6:7]
	s_cbranch_execz .LBB117_64
; %bb.35:
	v_mul_lo_u32 v5, v5, s10
	s_and_saveexec_b64 s[14:15], vcc
	s_cbranch_execnz .LBB117_71
; %bb.36:
	s_or_b64 exec, exec, s[14:15]
	s_and_saveexec_b64 s[14:15], s[0:1]
	s_cbranch_execnz .LBB117_72
.LBB117_37:
	s_or_b64 exec, exec, s[14:15]
	s_and_saveexec_b64 s[14:15], s[2:3]
	s_cbranch_execnz .LBB117_73
.LBB117_38:
	s_or_b64 exec, exec, s[14:15]
	s_and_saveexec_b64 s[14:15], s[4:5]
	s_cbranch_execz .LBB117_40
.LBB117_39:
	v_add_u32_e32 v6, v5, v4
	v_mov_b32_e32 v7, 0
	v_lshlrev_b64 v[6:7], 2, v[6:7]
	s_waitcnt lgkmcnt(0)
	v_mov_b32_e32 v5, s13
	v_add_co_u32_e64 v6, s[6:7], s12, v6
	v_addc_co_u32_e64 v7, s[6:7], v5, v7, s[6:7]
	global_store_dword v[6:7], v25, off
.LBB117_40:
	s_or_b64 exec, exec, s[14:15]
	v_add3_u32 v5, v1, s11, 32
	v_cmp_gt_u32_e64 s[6:7], s8, v5
	s_and_b64 exec, exec, s[6:7]
	s_cbranch_execz .LBB117_64
; %bb.41:
	v_mul_lo_u32 v5, v5, s10
	s_and_saveexec_b64 s[14:15], vcc
	s_cbranch_execnz .LBB117_74
; %bb.42:
	s_or_b64 exec, exec, s[14:15]
	s_and_saveexec_b64 s[14:15], s[0:1]
	s_cbranch_execnz .LBB117_75
.LBB117_43:
	s_or_b64 exec, exec, s[14:15]
	s_and_saveexec_b64 s[14:15], s[2:3]
	s_cbranch_execnz .LBB117_76
.LBB117_44:
	s_or_b64 exec, exec, s[14:15]
	s_and_saveexec_b64 s[14:15], s[4:5]
	s_cbranch_execz .LBB117_46
.LBB117_45:
	v_add_u32_e32 v6, v5, v4
	v_mov_b32_e32 v7, 0
	v_lshlrev_b64 v[6:7], 2, v[6:7]
	s_waitcnt lgkmcnt(0)
	v_mov_b32_e32 v5, s13
	v_add_co_u32_e64 v6, s[6:7], s12, v6
	v_addc_co_u32_e64 v7, s[6:7], v5, v7, s[6:7]
	global_store_dword v[6:7], v16, off
.LBB117_46:
	s_or_b64 exec, exec, s[14:15]
	v_add3_u32 v5, v1, s11, 40
	v_cmp_gt_u32_e64 s[6:7], s8, v5
	s_and_b64 exec, exec, s[6:7]
	s_cbranch_execz .LBB117_64
; %bb.47:
	v_mul_lo_u32 v5, v5, s10
	s_and_saveexec_b64 s[14:15], vcc
	s_cbranch_execnz .LBB117_77
; %bb.48:
	s_or_b64 exec, exec, s[14:15]
	s_and_saveexec_b64 s[14:15], s[0:1]
	s_cbranch_execnz .LBB117_78
.LBB117_49:
	s_or_b64 exec, exec, s[14:15]
	s_and_saveexec_b64 s[14:15], s[2:3]
	s_cbranch_execnz .LBB117_79
.LBB117_50:
	s_or_b64 exec, exec, s[14:15]
	s_and_saveexec_b64 s[14:15], s[4:5]
	s_cbranch_execz .LBB117_52
.LBB117_51:
	v_add_u32_e32 v6, v5, v4
	v_mov_b32_e32 v7, 0
	v_lshlrev_b64 v[6:7], 2, v[6:7]
	s_waitcnt lgkmcnt(0)
	v_mov_b32_e32 v5, s13
	v_add_co_u32_e64 v6, s[6:7], s12, v6
	v_addc_co_u32_e64 v7, s[6:7], v5, v7, s[6:7]
	global_store_dword v[6:7], v17, off
.LBB117_52:
	s_or_b64 exec, exec, s[14:15]
	v_add3_u32 v5, v1, s11, 48
	v_cmp_gt_u32_e64 s[6:7], s8, v5
	s_and_b64 exec, exec, s[6:7]
	s_cbranch_execz .LBB117_64
; %bb.53:
	v_mul_lo_u32 v5, v5, s10
	s_and_saveexec_b64 s[14:15], vcc
	s_cbranch_execnz .LBB117_80
; %bb.54:
	s_or_b64 exec, exec, s[14:15]
	s_and_saveexec_b64 s[14:15], s[0:1]
	s_cbranch_execnz .LBB117_81
.LBB117_55:
	s_or_b64 exec, exec, s[14:15]
	s_and_saveexec_b64 s[14:15], s[2:3]
	s_cbranch_execnz .LBB117_82
.LBB117_56:
	s_or_b64 exec, exec, s[14:15]
	s_and_saveexec_b64 s[14:15], s[4:5]
	s_cbranch_execz .LBB117_58
.LBB117_57:
	v_add_u32_e32 v6, v5, v4
	v_mov_b32_e32 v7, 0
	v_lshlrev_b64 v[6:7], 2, v[6:7]
	s_waitcnt lgkmcnt(0)
	v_mov_b32_e32 v5, s13
	v_add_co_u32_e64 v6, s[6:7], s12, v6
	v_addc_co_u32_e64 v7, s[6:7], v5, v7, s[6:7]
	global_store_dword v[6:7], v8, off
.LBB117_58:
	s_or_b64 exec, exec, s[14:15]
	v_add3_u32 v1, v1, s11, 56
	v_cmp_gt_u32_e64 s[6:7], s8, v1
	s_and_b64 exec, exec, s[6:7]
	s_cbranch_execz .LBB117_64
; %bb.59:
	v_mul_lo_u32 v1, v1, s10
	s_and_saveexec_b64 s[6:7], vcc
	s_cbranch_execnz .LBB117_83
; %bb.60:
	s_or_b64 exec, exec, s[6:7]
	s_and_saveexec_b64 s[6:7], s[0:1]
	s_cbranch_execnz .LBB117_84
.LBB117_61:
	s_or_b64 exec, exec, s[6:7]
	s_and_saveexec_b64 s[0:1], s[2:3]
	s_cbranch_execnz .LBB117_85
.LBB117_62:
	s_or_b64 exec, exec, s[0:1]
	s_and_b64 exec, exec, s[4:5]
	s_cbranch_execz .LBB117_64
.LBB117_63:
	v_add_u32_e32 v0, v1, v4
	v_mov_b32_e32 v1, 0
	v_lshlrev_b64 v[0:1], 2, v[0:1]
	s_waitcnt lgkmcnt(0)
	v_mov_b32_e32 v2, s13
	v_add_co_u32_e32 v0, vcc, s12, v0
	v_addc_co_u32_e32 v1, vcc, v2, v1, vcc
	global_store_dword v[0:1], v9, off
.LBB117_64:
	s_endpgm
.LBB117_65:
	v_add_u32_e32 v6, v5, v0
	v_mov_b32_e32 v7, 0
	v_lshlrev_b64 v[6:7], 2, v[6:7]
	s_waitcnt lgkmcnt(0)
	v_mov_b32_e32 v32, s13
	v_add_co_u32_e64 v6, s[6:7], s12, v6
	v_addc_co_u32_e64 v7, s[6:7], v32, v7, s[6:7]
	global_store_dword v[6:7], v47, off
	s_or_b64 exec, exec, s[14:15]
	s_and_saveexec_b64 s[14:15], s[0:1]
	s_cbranch_execz .LBB117_25
.LBB117_66:
	v_add_u32_e32 v6, v5, v2
	v_mov_b32_e32 v7, 0
	v_lshlrev_b64 v[6:7], 2, v[6:7]
	s_waitcnt lgkmcnt(0)
	v_mov_b32_e32 v32, s13
	v_add_co_u32_e64 v6, s[6:7], s12, v6
	v_addc_co_u32_e64 v7, s[6:7], v32, v7, s[6:7]
	global_store_dword v[6:7], v39, off
	s_or_b64 exec, exec, s[14:15]
	s_and_saveexec_b64 s[14:15], s[2:3]
	s_cbranch_execz .LBB117_26
.LBB117_67:
	v_add_u32_e32 v6, v5, v3
	v_mov_b32_e32 v7, 0
	v_lshlrev_b64 v[6:7], 2, v[6:7]
	s_waitcnt lgkmcnt(0)
	v_mov_b32_e32 v32, s13
	v_add_co_u32_e64 v6, s[6:7], s12, v6
	v_addc_co_u32_e64 v7, s[6:7], v32, v7, s[6:7]
	global_store_dword v[6:7], v35, off
	s_or_b64 exec, exec, s[14:15]
	s_and_saveexec_b64 s[14:15], s[4:5]
	s_cbranch_execnz .LBB117_27
	s_branch .LBB117_28
.LBB117_68:
	v_add_u32_e32 v6, v5, v0
	v_mov_b32_e32 v7, 0
	v_lshlrev_b64 v[6:7], 2, v[6:7]
	s_waitcnt lgkmcnt(0)
	v_mov_b32_e32 v32, s13
	v_add_co_u32_e64 v6, s[6:7], s12, v6
	v_addc_co_u32_e64 v7, s[6:7], v32, v7, s[6:7]
	global_store_dword v[6:7], v30, off
	s_or_b64 exec, exec, s[14:15]
	s_and_saveexec_b64 s[14:15], s[0:1]
	s_cbranch_execz .LBB117_31
.LBB117_69:
	v_add_u32_e32 v6, v5, v2
	v_mov_b32_e32 v7, 0
	v_lshlrev_b64 v[6:7], 2, v[6:7]
	s_waitcnt lgkmcnt(0)
	v_mov_b32_e32 v30, s13
	v_add_co_u32_e64 v6, s[6:7], s12, v6
	v_addc_co_u32_e64 v7, s[6:7], v30, v7, s[6:7]
	global_store_dword v[6:7], v28, off
	s_or_b64 exec, exec, s[14:15]
	s_and_saveexec_b64 s[14:15], s[2:3]
	s_cbranch_execz .LBB117_32
.LBB117_70:
	v_add_u32_e32 v6, v5, v3
	v_mov_b32_e32 v7, 0
	v_lshlrev_b64 v[6:7], 2, v[6:7]
	s_waitcnt lgkmcnt(0)
	v_mov_b32_e32 v28, s13
	v_add_co_u32_e64 v6, s[6:7], s12, v6
	v_addc_co_u32_e64 v7, s[6:7], v28, v7, s[6:7]
	global_store_dword v[6:7], v26, off
	s_or_b64 exec, exec, s[14:15]
	s_and_saveexec_b64 s[14:15], s[4:5]
	s_cbranch_execnz .LBB117_33
	s_branch .LBB117_34
.LBB117_71:
	v_add_u32_e32 v6, v5, v0
	v_mov_b32_e32 v7, 0
	v_lshlrev_b64 v[6:7], 2, v[6:7]
	s_waitcnt lgkmcnt(0)
	v_mov_b32_e32 v24, s13
	v_add_co_u32_e64 v6, s[6:7], s12, v6
	v_addc_co_u32_e64 v7, s[6:7], v24, v7, s[6:7]
	global_store_dword v[6:7], v31, off
	s_or_b64 exec, exec, s[14:15]
	s_and_saveexec_b64 s[14:15], s[0:1]
	s_cbranch_execz .LBB117_37
.LBB117_72:
	v_add_u32_e32 v6, v5, v2
	v_mov_b32_e32 v7, 0
	v_lshlrev_b64 v[6:7], 2, v[6:7]
	s_waitcnt lgkmcnt(0)
	v_mov_b32_e32 v24, s13
	v_add_co_u32_e64 v6, s[6:7], s12, v6
	v_addc_co_u32_e64 v7, s[6:7], v24, v7, s[6:7]
	global_store_dword v[6:7], v29, off
	s_or_b64 exec, exec, s[14:15]
	s_and_saveexec_b64 s[14:15], s[2:3]
	s_cbranch_execz .LBB117_38
.LBB117_73:
	v_add_u32_e32 v6, v5, v3
	v_mov_b32_e32 v7, 0
	v_lshlrev_b64 v[6:7], 2, v[6:7]
	s_waitcnt lgkmcnt(0)
	v_mov_b32_e32 v24, s13
	v_add_co_u32_e64 v6, s[6:7], s12, v6
	v_addc_co_u32_e64 v7, s[6:7], v24, v7, s[6:7]
	global_store_dword v[6:7], v27, off
	s_or_b64 exec, exec, s[14:15]
	s_and_saveexec_b64 s[14:15], s[4:5]
	s_cbranch_execnz .LBB117_39
	s_branch .LBB117_40
.LBB117_74:
	v_add_u32_e32 v6, v5, v0
	v_mov_b32_e32 v7, 0
	v_lshlrev_b64 v[6:7], 2, v[6:7]
	s_waitcnt lgkmcnt(0)
	v_mov_b32_e32 v24, s13
	v_add_co_u32_e64 v6, s[6:7], s12, v6
	v_addc_co_u32_e64 v7, s[6:7], v24, v7, s[6:7]
	global_store_dword v[6:7], v22, off
	s_or_b64 exec, exec, s[14:15]
	s_and_saveexec_b64 s[14:15], s[0:1]
	s_cbranch_execz .LBB117_43
.LBB117_75:
	v_add_u32_e32 v6, v5, v2
	v_mov_b32_e32 v7, 0
	v_lshlrev_b64 v[6:7], 2, v[6:7]
	s_waitcnt lgkmcnt(0)
	v_mov_b32_e32 v22, s13
	v_add_co_u32_e64 v6, s[6:7], s12, v6
	v_addc_co_u32_e64 v7, s[6:7], v22, v7, s[6:7]
	global_store_dword v[6:7], v20, off
	s_or_b64 exec, exec, s[14:15]
	s_and_saveexec_b64 s[14:15], s[2:3]
	s_cbranch_execz .LBB117_44
.LBB117_76:
	v_add_u32_e32 v6, v5, v3
	v_mov_b32_e32 v7, 0
	v_lshlrev_b64 v[6:7], 2, v[6:7]
	s_waitcnt lgkmcnt(0)
	v_mov_b32_e32 v20, s13
	v_add_co_u32_e64 v6, s[6:7], s12, v6
	v_addc_co_u32_e64 v7, s[6:7], v20, v7, s[6:7]
	global_store_dword v[6:7], v18, off
	s_or_b64 exec, exec, s[14:15]
	s_and_saveexec_b64 s[14:15], s[4:5]
	s_cbranch_execnz .LBB117_45
	s_branch .LBB117_46
.LBB117_77:
	v_add_u32_e32 v6, v5, v0
	v_mov_b32_e32 v7, 0
	v_lshlrev_b64 v[6:7], 2, v[6:7]
	s_waitcnt lgkmcnt(0)
	v_mov_b32_e32 v16, s13
	v_add_co_u32_e64 v6, s[6:7], s12, v6
	v_addc_co_u32_e64 v7, s[6:7], v16, v7, s[6:7]
	global_store_dword v[6:7], v23, off
	s_or_b64 exec, exec, s[14:15]
	s_and_saveexec_b64 s[14:15], s[0:1]
	s_cbranch_execz .LBB117_49
.LBB117_78:
	v_add_u32_e32 v6, v5, v2
	v_mov_b32_e32 v7, 0
	v_lshlrev_b64 v[6:7], 2, v[6:7]
	s_waitcnt lgkmcnt(0)
	v_mov_b32_e32 v16, s13
	v_add_co_u32_e64 v6, s[6:7], s12, v6
	v_addc_co_u32_e64 v7, s[6:7], v16, v7, s[6:7]
	global_store_dword v[6:7], v21, off
	s_or_b64 exec, exec, s[14:15]
	s_and_saveexec_b64 s[14:15], s[2:3]
	s_cbranch_execz .LBB117_50
.LBB117_79:
	v_add_u32_e32 v6, v5, v3
	v_mov_b32_e32 v7, 0
	v_lshlrev_b64 v[6:7], 2, v[6:7]
	s_waitcnt lgkmcnt(0)
	v_mov_b32_e32 v16, s13
	v_add_co_u32_e64 v6, s[6:7], s12, v6
	v_addc_co_u32_e64 v7, s[6:7], v16, v7, s[6:7]
	global_store_dword v[6:7], v19, off
	s_or_b64 exec, exec, s[14:15]
	s_and_saveexec_b64 s[14:15], s[4:5]
	s_cbranch_execnz .LBB117_51
	s_branch .LBB117_52
.LBB117_80:
	v_add_u32_e32 v6, v5, v0
	v_mov_b32_e32 v7, 0
	v_lshlrev_b64 v[6:7], 2, v[6:7]
	s_waitcnt lgkmcnt(0)
	v_mov_b32_e32 v16, s13
	v_add_co_u32_e64 v6, s[6:7], s12, v6
	v_addc_co_u32_e64 v7, s[6:7], v16, v7, s[6:7]
	global_store_dword v[6:7], v14, off
	s_or_b64 exec, exec, s[14:15]
	s_and_saveexec_b64 s[14:15], s[0:1]
	s_cbranch_execz .LBB117_55
.LBB117_81:
	v_add_u32_e32 v6, v5, v2
	v_mov_b32_e32 v7, 0
	v_lshlrev_b64 v[6:7], 2, v[6:7]
	s_waitcnt lgkmcnt(0)
	v_mov_b32_e32 v14, s13
	v_add_co_u32_e64 v6, s[6:7], s12, v6
	v_addc_co_u32_e64 v7, s[6:7], v14, v7, s[6:7]
	global_store_dword v[6:7], v12, off
	s_or_b64 exec, exec, s[14:15]
	s_and_saveexec_b64 s[14:15], s[2:3]
	s_cbranch_execz .LBB117_56
.LBB117_82:
	v_add_u32_e32 v6, v5, v3
	v_mov_b32_e32 v7, 0
	v_lshlrev_b64 v[6:7], 2, v[6:7]
	s_waitcnt lgkmcnt(0)
	v_mov_b32_e32 v12, s13
	v_add_co_u32_e64 v6, s[6:7], s12, v6
	v_addc_co_u32_e64 v7, s[6:7], v12, v7, s[6:7]
	global_store_dword v[6:7], v10, off
	s_or_b64 exec, exec, s[14:15]
	s_and_saveexec_b64 s[14:15], s[4:5]
	s_cbranch_execnz .LBB117_57
	s_branch .LBB117_58
.LBB117_83:
	v_add_u32_e32 v6, v1, v0
	v_mov_b32_e32 v7, 0
	v_lshlrev_b64 v[6:7], 2, v[6:7]
	s_waitcnt lgkmcnt(0)
	v_mov_b32_e32 v0, s13
	v_add_co_u32_e32 v6, vcc, s12, v6
	v_addc_co_u32_e32 v7, vcc, v0, v7, vcc
	global_store_dword v[6:7], v15, off
	s_or_b64 exec, exec, s[6:7]
	s_and_saveexec_b64 s[6:7], s[0:1]
	s_cbranch_execz .LBB117_61
.LBB117_84:
	v_add_u32_e32 v6, v1, v2
	v_mov_b32_e32 v7, 0
	v_lshlrev_b64 v[6:7], 2, v[6:7]
	s_waitcnt lgkmcnt(0)
	v_mov_b32_e32 v0, s13
	v_add_co_u32_e32 v6, vcc, s12, v6
	v_addc_co_u32_e32 v7, vcc, v0, v7, vcc
	global_store_dword v[6:7], v13, off
	s_or_b64 exec, exec, s[6:7]
	s_and_saveexec_b64 s[0:1], s[2:3]
	s_cbranch_execz .LBB117_62
.LBB117_85:
	v_add_u32_e32 v2, v1, v3
	v_mov_b32_e32 v3, 0
	v_lshlrev_b64 v[2:3], 2, v[2:3]
	s_waitcnt lgkmcnt(0)
	v_mov_b32_e32 v0, s13
	v_add_co_u32_e32 v2, vcc, s12, v2
	v_addc_co_u32_e32 v3, vcc, v0, v3, vcc
	global_store_dword v[2:3], v11, off
	s_or_b64 exec, exec, s[0:1]
	s_and_b64 exec, exec, s[4:5]
	s_cbranch_execnz .LBB117_63
	s_branch .LBB117_64
	.section	.rodata,"a",@progbits
	.p2align	6, 0x0
	.amdhsa_kernel _ZL12mul_mat_q4_0IfLb0EEvPKvS1_PT_iiiii
		.amdhsa_group_segment_fixed_size 30336
		.amdhsa_private_segment_fixed_size 0
		.amdhsa_kernarg_size 44
		.amdhsa_user_sgpr_count 6
		.amdhsa_user_sgpr_private_segment_buffer 1
		.amdhsa_user_sgpr_dispatch_ptr 0
		.amdhsa_user_sgpr_queue_ptr 0
		.amdhsa_user_sgpr_kernarg_segment_ptr 1
		.amdhsa_user_sgpr_dispatch_id 0
		.amdhsa_user_sgpr_flat_scratch_init 0
		.amdhsa_user_sgpr_kernarg_preload_length 0
		.amdhsa_user_sgpr_kernarg_preload_offset 0
		.amdhsa_user_sgpr_private_segment_size 0
		.amdhsa_uses_dynamic_stack 0
		.amdhsa_system_sgpr_private_segment_wavefront_offset 0
		.amdhsa_system_sgpr_workgroup_id_x 1
		.amdhsa_system_sgpr_workgroup_id_y 1
		.amdhsa_system_sgpr_workgroup_id_z 0
		.amdhsa_system_sgpr_workgroup_info 0
		.amdhsa_system_vgpr_workitem_id 1
		.amdhsa_next_free_vgpr 175
		.amdhsa_next_free_sgpr 18
		.amdhsa_accum_offset 176
		.amdhsa_reserve_vcc 1
		.amdhsa_reserve_flat_scratch 0
		.amdhsa_float_round_mode_32 0
		.amdhsa_float_round_mode_16_64 0
		.amdhsa_float_denorm_mode_32 3
		.amdhsa_float_denorm_mode_16_64 3
		.amdhsa_dx10_clamp 1
		.amdhsa_ieee_mode 1
		.amdhsa_fp16_overflow 0
		.amdhsa_tg_split 0
		.amdhsa_exception_fp_ieee_invalid_op 0
		.amdhsa_exception_fp_denorm_src 0
		.amdhsa_exception_fp_ieee_div_zero 0
		.amdhsa_exception_fp_ieee_overflow 0
		.amdhsa_exception_fp_ieee_underflow 0
		.amdhsa_exception_fp_ieee_inexact 0
		.amdhsa_exception_int_div_zero 0
	.end_amdhsa_kernel
	.section	.text._ZL12mul_mat_q4_0IfLb0EEvPKvS1_PT_iiiii,"axG",@progbits,_ZL12mul_mat_q4_0IfLb0EEvPKvS1_PT_iiiii,comdat
.Lfunc_end117:
	.size	_ZL12mul_mat_q4_0IfLb0EEvPKvS1_PT_iiiii, .Lfunc_end117-_ZL12mul_mat_q4_0IfLb0EEvPKvS1_PT_iiiii
                                        ; -- End function
	.section	.AMDGPU.csdata,"",@progbits
; Kernel info:
; codeLenInByte = 10056
; NumSgprs: 22
; NumVgprs: 175
; NumAgprs: 0
; TotalNumVgprs: 175
; ScratchSize: 0
; MemoryBound: 0
; FloatMode: 240
; IeeeMode: 1
; LDSByteSize: 30336 bytes/workgroup (compile time only)
; SGPRBlocks: 2
; VGPRBlocks: 21
; NumSGPRsForWavesPerEU: 22
; NumVGPRsForWavesPerEU: 175
; AccumOffset: 176
; Occupancy: 2
; WaveLimiterHint : 0
; COMPUTE_PGM_RSRC2:SCRATCH_EN: 0
; COMPUTE_PGM_RSRC2:USER_SGPR: 6
; COMPUTE_PGM_RSRC2:TRAP_HANDLER: 0
; COMPUTE_PGM_RSRC2:TGID_X_EN: 1
; COMPUTE_PGM_RSRC2:TGID_Y_EN: 1
; COMPUTE_PGM_RSRC2:TGID_Z_EN: 0
; COMPUTE_PGM_RSRC2:TIDIG_COMP_CNT: 1
; COMPUTE_PGM_RSRC3_GFX90A:ACCUM_OFFSET: 43
; COMPUTE_PGM_RSRC3_GFX90A:TG_SPLIT: 0
	.section	.text._ZL12mul_mat_q4_0IfLb1EEvPKvS1_PT_iiiii,"axG",@progbits,_ZL12mul_mat_q4_0IfLb1EEvPKvS1_PT_iiiii,comdat
	.globl	_ZL12mul_mat_q4_0IfLb1EEvPKvS1_PT_iiiii ; -- Begin function _ZL12mul_mat_q4_0IfLb1EEvPKvS1_PT_iiiii
	.p2align	8
	.type	_ZL12mul_mat_q4_0IfLb1EEvPKvS1_PT_iiiii,@function
_ZL12mul_mat_q4_0IfLb1EEvPKvS1_PT_iiiii: ; @_ZL12mul_mat_q4_0IfLb1EEvPKvS1_PT_iiiii
; %bb.0:
	s_load_dwordx4 s[8:11], s[4:5], 0x18
	s_load_dword s14, s[4:5], 0x28
	s_lshl_b32 s15, s7, 6
	v_bfe_u32 v35, v0, 10, 10
	s_waitcnt lgkmcnt(0)
	s_cmp_gt_i32 s8, 31
	s_cbranch_scc1 .LBB118_2
; %bb.1:
	v_bfe_u32 v1, v0, 10, 10
	s_mov_b32 s0, 0
	v_and_b32_e32 v33, 0x3ff, v0
	v_add_u32_e32 v37, s15, v1
	s_mov_b32 s1, s0
	s_mov_b64 s[2:3], 0
	s_branch .LBB118_3
.LBB118_2:
	s_mov_b64 s[2:3], -1
                                        ; implicit-def: $sgpr0_sgpr1
                                        ; implicit-def: $vgpr1
                                        ; implicit-def: $vgpr33
                                        ; implicit-def: $vgpr37
.LBB118_3:
	s_load_dwordx2 s[12:13], s[4:5], 0x10
	s_lshl_b32 s6, s6, 7
	s_andn2_b64 vcc, exec, s[2:3]
	v_pk_mov_b32 v[8:9], s[0:1], s[0:1] op_sel:[0,1]
	v_pk_mov_b32 v[16:17], s[0:1], s[0:1] op_sel:[0,1]
	;; [unrolled: 1-line block ×16, first 2 shown]
	s_cbranch_vccnz .LBB118_13
; %bb.4:
	s_load_dwordx4 s[0:3], s[4:5], 0x0
	s_ashr_i32 s4, s8, 31
	s_lshr_b32 s4, s4, 27
	s_add_i32 s4, s8, s4
	s_ashr_i32 s5, s4, 5
	s_ashr_i32 s4, s11, 31
	s_lshr_b32 s4, s4, 27
	s_add_i32 s4, s11, s4
	s_mul_i32 s7, s5, s6
	s_ashr_i32 s4, s4, 5
	s_mul_hi_i32 s8, s7, 18
	s_mul_i32 s7, s7, 18
	s_waitcnt lgkmcnt(0)
	s_add_u32 s7, s0, s7
	s_addc_u32 s8, s1, s8
	s_not_b32 s0, s6
	s_add_i32 s9, s0, s9
	v_and_b32_e32 v33, 0x3ff, v0
	v_lshlrev_b32_e32 v0, 2, v33
	v_min_i32_e32 v1, s9, v35
	s_movk_i32 s1, 0x84
	v_add_u32_e32 v4, 8, v35
	v_mul_lo_u32 v36, v1, s5
	v_mad_u64_u32 v[38:39], s[16:17], v1, s1, v[0:1]
	v_min_i32_e32 v1, s9, v4
	v_add_u32_e32 v5, 16, v35
	v_mul_lo_u32 v40, v1, s5
	v_mad_u64_u32 v[44:45], s[16:17], v1, s1, v[0:1]
	v_min_i32_e32 v1, s9, v5
	v_add_u32_e32 v6, 24, v35
	v_mul_lo_u32 v46, v1, s5
	v_mad_u64_u32 v[48:49], s[16:17], v1, s1, v[0:1]
	v_min_i32_e32 v1, s9, v6
	v_add_u32_e32 v7, 32, v35
	v_mul_lo_u32 v50, v1, s5
	v_mad_u64_u32 v[52:53], s[16:17], v1, s1, v[0:1]
	v_min_i32_e32 v1, s9, v7
	v_add_u32_e32 v8, 40, v35
	v_mul_lo_u32 v54, v1, s5
	v_mad_u64_u32 v[56:57], s[16:17], v1, s1, v[0:1]
	v_min_i32_e32 v1, s9, v8
	v_add_u32_e32 v9, 48, v35
	v_mul_lo_u32 v58, v1, s5
	v_mad_u64_u32 v[62:63], s[16:17], v1, s1, v[0:1]
	v_min_i32_e32 v1, s9, v9
	v_add_u32_e32 v10, 56, v35
	v_mul_lo_u32 v64, v1, s5
	v_mad_u64_u32 v[66:67], s[16:17], v1, s1, v[0:1]
	v_min_i32_e32 v1, s9, v10
	v_mul_lo_u32 v68, v1, s5
	v_mad_u64_u32 v[70:71], s[16:17], v1, s1, v[0:1]
	v_add_u32_e32 v1, 64, v35
	v_min_i32_e32 v1, s9, v1
	v_mul_lo_u32 v72, v1, s5
	v_mad_u64_u32 v[74:75], s[16:17], v1, s1, v[0:1]
	v_add_u32_e32 v1, 0x48, v35
	v_min_i32_e32 v1, s9, v1
	;; [unrolled: 4-line block ×8, first 2 shown]
	v_lshrrev_b32_e32 v39, 3, v33
	v_mul_lo_u32 v104, v1, s5
	v_mad_u64_u32 v[106:107], s[16:17], v1, s1, v[0:1]
	v_lshl_add_u32 v1, v35, 2, v39
	v_min_i32_e32 v2, s9, v1
	v_ashrrev_i32_e32 v3, 31, v2
	v_lshrrev_b32_e32 v3, 30, v3
	v_and_b32_e32 v108, 7, v33
	v_mul_lo_u32 v110, v2, s5
	v_add_u32_e32 v3, v2, v3
	v_lshlrev_b32_e32 v13, 5, v2
	v_add_u32_e32 v2, 32, v1
	v_and_b32_e32 v3, -4, v3
	v_lshlrev_b32_e32 v11, 2, v108
	s_movk_i32 s11, 0x6200
	v_min_i32_e32 v2, s9, v2
	v_add3_u32 v12, v3, v11, s11
	v_ashrrev_i32_e32 v3, 31, v2
	v_lshrrev_b32_e32 v3, 30, v3
	v_mul_lo_u32 v112, v2, s5
	v_add_u32_e32 v3, v2, v3
	v_lshlrev_b32_e32 v15, 5, v2
	v_add_u32_e32 v2, 64, v1
	v_and_b32_e32 v3, -4, v3
	v_min_i32_e32 v2, s9, v2
	v_add3_u32 v14, v3, v11, s11
	v_ashrrev_i32_e32 v3, 31, v2
	v_add_u32_e32 v1, 0x60, v1
	v_lshrrev_b32_e32 v3, 30, v3
	v_min_i32_e32 v1, s9, v1
	v_mul_lo_u32 v114, v2, s5
	v_add_u32_e32 v3, v2, v3
	v_lshlrev_b32_e32 v17, 5, v2
	v_ashrrev_i32_e32 v2, 31, v1
	v_lshrrev_b32_e32 v32, 2, v33
	v_and_b32_e32 v34, 12, v0
	v_lshrrev_b32_e32 v2, 30, v2
	v_and_b32_e32 v0, 28, v0
	v_mul_lo_u32 v116, v1, s5
	v_add_u32_e32 v2, v1, v2
	v_lshlrev_b32_e32 v18, 5, v1
	v_mov_b32_e32 v1, s3
	v_add_co_u32_e32 v118, vcc, s2, v0
	v_lshl_add_u32 v0, v35, 3, v32
	v_addc_co_u32_e32 v119, vcc, 0, v1, vcc
	v_and_b32_e32 v1, 63, v0
	s_add_i32 s9, s10, -1
	v_or_b32_e32 v20, s15, v1
	v_and_b32_e32 v0, 3, v33
	v_min_i32_e32 v20, s9, v20
	v_mad_u64_u32 v[120:121], s[16:17], v20, s4, v[0:1]
	v_lshlrev_b32_e32 v0, 2, v0
	v_and_b32_e32 v3, -4, v3
	v_and_b32_e32 v2, -4, v2
	v_add_u32_e32 v37, s15, v35
	v_lshl_or_b32 v0, v1, 4, v0
	v_add3_u32 v16, v3, v11, s11
	v_add3_u32 v11, v2, v11, s11
	v_cvt_f64_i32_e32 v[2:3], s9
	v_add_u32_e32 v41, 0x7280, v0
	v_cvt_f64_u32_e32 v[0:1], v37
	v_and_b32_e32 v19, 31, v33
	v_min_f64 v[0:1], v[0:1], v[2:3]
	v_cvt_i32_f64_e32 v0, v[0:1]
	v_lshlrev_b32_e32 v19, 2, v19
	v_lshlrev_b32_e32 v20, 7, v35
	v_mul_lo_u32 v45, s4, v0
	v_or_b32_e32 v0, v20, v19
	v_add_u32_e32 v47, 0x4200, v0
	v_add_u32_e32 v0, 8, v37
	v_cvt_f64_u32_e32 v[0:1], v0
	v_min_f64 v[0:1], v[0:1], v[2:3]
	v_cvt_i32_f64_e32 v0, v[0:1]
	v_mul_lo_u32 v49, s4, v0
	v_lshl_or_b32 v0, v4, 7, v19
	v_add_u32_e32 v51, 0x4200, v0
	v_add_u32_e32 v0, 16, v37
	v_cvt_f64_u32_e32 v[0:1], v0
	v_min_f64 v[0:1], v[0:1], v[2:3]
	v_cvt_i32_f64_e32 v0, v[0:1]
	v_mul_lo_u32 v53, s4, v0
	v_lshl_or_b32 v0, v5, 7, v19
	;; [unrolled: 7-line block ×7, first 2 shown]
	v_add_u32_e32 v77, 0x4200, v0
	v_add_u32_e32 v0, 32, v33
	;; [unrolled: 1-line block ×4, first 2 shown]
	s_mov_b32 s0, 0
	v_lshlrev_b32_e32 v3, 5, v33
	v_lshrrev_b32_e32 v83, 3, v0
	v_and_b32_e32 v2, 0x1fc, v2
	v_and_b32_e32 v1, 0x1fc, v1
	;; [unrolled: 1-line block ×4, first 2 shown]
	v_add_u32_e32 v2, v3, v2
	v_add_u32_e32 v1, v3, v1
	;; [unrolled: 1-line block ×4, first 2 shown]
	v_mov_b32_e32 v4, 0x7280
	v_mad_u32_u24 v107, v33, s1, 64
	s_mov_b32 s1, s0
	v_mul_u32_u24_e32 v81, 0x84, v33
	v_add_u32_e32 v85, 0x6e00, v2
	v_add_u32_e32 v87, 0x6a00, v1
	;; [unrolled: 1-line block ×5, first 2 shown]
	v_lshl_add_u32 v97, v35, 4, v4
	v_add_u32_e32 v99, 0x6e10, v2
	v_add_u32_e32 v101, 0x6a10, v1
	;; [unrolled: 1-line block ×4, first 2 shown]
	v_pk_mov_b32 v[90:91], s[0:1], s[0:1] op_sel:[0,1]
	v_add_u32_e32 v109, v12, v13
	v_add_u32_e32 v111, v14, v15
	;; [unrolled: 1-line block ×4, first 2 shown]
	s_mov_b32 s4, 0x41000000
	v_pk_mov_b32 v[30:31], s[0:1], s[0:1] op_sel:[0,1]
	v_pk_mov_b32 v[22:23], s[0:1], s[0:1] op_sel:[0,1]
	v_pk_mov_b32 v[14:15], s[0:1], s[0:1] op_sel:[0,1]
	v_pk_mov_b32 v[78:79], s[0:1], s[0:1] op_sel:[0,1]
	v_pk_mov_b32 v[28:29], s[0:1], s[0:1] op_sel:[0,1]
	v_pk_mov_b32 v[20:21], s[0:1], s[0:1] op_sel:[0,1]
	v_pk_mov_b32 v[12:13], s[0:1], s[0:1] op_sel:[0,1]
	v_pk_mov_b32 v[60:61], s[0:1], s[0:1] op_sel:[0,1]
	v_pk_mov_b32 v[26:27], s[0:1], s[0:1] op_sel:[0,1]
	v_pk_mov_b32 v[18:19], s[0:1], s[0:1] op_sel:[0,1]
	v_pk_mov_b32 v[10:11], s[0:1], s[0:1] op_sel:[0,1]
	v_pk_mov_b32 v[42:43], s[0:1], s[0:1] op_sel:[0,1]
	v_pk_mov_b32 v[24:25], s[0:1], s[0:1] op_sel:[0,1]
	v_pk_mov_b32 v[16:17], s[0:1], s[0:1] op_sel:[0,1]
	v_pk_mov_b32 v[8:9], s[0:1], s[0:1] op_sel:[0,1]
	s_branch .LBB118_6
.LBB118_5:                              ;   in Loop: Header=BB118_6 Depth=1
	s_add_i32 s0, s0, 8
	s_cmp_ge_i32 s0, s5
	s_cbranch_scc1 .LBB118_12
.LBB118_6:                              ; =>This Loop Header: Depth=1
                                        ;     Child Loop BB118_7 Depth 2
                                        ;     Child Loop BB118_10 Depth 2
	s_mul_i32 s9, s0, 18
	s_mul_hi_u32 s1, s0, 18
	s_add_u32 s16, s7, s9
	s_addc_u32 s17, s8, s1
	v_mad_u64_u32 v[0:1], s[18:19], v32, 18, s[16:17]
	v_add_co_u32_e32 v0, vcc, v0, v34
	v_addc_co_u32_e32 v1, vcc, 0, v1, vcc
	v_add_co_u32_e32 v0, vcc, 2, v0
	v_addc_co_u32_e32 v1, vcc, 0, v1, vcc
	v_mad_i64_i32 v[2:3], s[18:19], v36, 18, v[0:1]
	v_mad_i64_i32 v[4:5], s[18:19], v40, 18, v[0:1]
	;; [unrolled: 1-line block ×8, first 2 shown]
	global_load_dword v121, v[2:3], off
	global_load_dword v132, v[4:5], off
	;; [unrolled: 1-line block ×6, first 2 shown]
                                        ; kill: killed $vgpr126_vgpr127
                                        ; kill: killed $vgpr124_vgpr125
	global_load_dword v137, v[128:129], off
	global_load_dword v138, v[130:131], off
	v_mad_i64_i32 v[2:3], s[18:19], v72, 18, v[0:1]
	v_mad_i64_i32 v[4:5], s[18:19], v76, 18, v[0:1]
	;; [unrolled: 1-line block ×8, first 2 shown]
	global_load_dword v130, v[2:3], off
	global_load_dword v131, v[4:5], off
	;; [unrolled: 1-line block ×8, first 2 shown]
	v_mad_u64_u32 v[0:1], s[16:17], v108, 18, s[16:17]
	v_mad_i64_i32 v[2:3], s[16:17], v110, 18, v[0:1]
	v_mad_i64_i32 v[4:5], s[16:17], v112, 18, v[0:1]
	;; [unrolled: 1-line block ×4, first 2 shown]
	v_add_u32_e32 v128, s0, v39
	global_load_ushort v145, v[2:3], off
	global_load_ushort v146, v[4:5], off
	;; [unrolled: 1-line block ×4, first 2 shown]
	v_add_u32_e32 v0, v128, v45
	v_add_u32_e32 v2, v128, v49
	;; [unrolled: 1-line block ×5, first 2 shown]
	v_mad_i64_i32 v[0:1], s[16:17], v0, 36, v[118:119]
	v_mad_i64_i32 v[2:3], s[16:17], v2, 36, v[118:119]
	;; [unrolled: 1-line block ×5, first 2 shown]
	v_add_u32_e32 v124, v128, v67
	v_add_u32_e32 v126, v128, v71
	;; [unrolled: 1-line block ×3, first 2 shown]
	v_mad_i64_i32 v[124:125], s[16:17], v124, 36, v[118:119]
	v_mad_i64_i32 v[126:127], s[16:17], v126, 36, v[118:119]
	;; [unrolled: 1-line block ×3, first 2 shown]
	global_load_dword v149, v[0:1], off offset:4
	s_nop 0
	global_load_dword v2, v[2:3], off offset:4
	s_nop 0
	global_load_dword v3, v[4:5], off offset:4
	s_nop 0
	global_load_dword v4, v[6:7], off offset:4
	global_load_dword v5, v[122:123], off offset:4
	s_nop 0
	global_load_dword v6, v[124:125], off offset:4
	global_load_dword v7, v[126:127], off offset:4
	;; [unrolled: 1-line block ×3, first 2 shown]
	v_add_u32_e32 v117, s0, v120
	v_mad_u64_u32 v[0:1], s[16:17], v117, 36, s[2:3]
	global_load_dword v0, v[0:1], off
	s_mov_b32 s1, -4
	s_waitcnt vmcnt(28)
	ds_write_b32 v38, v121
	s_waitcnt vmcnt(27)
	ds_write_b32 v44, v132
	;; [unrolled: 2-line block ×16, first 2 shown]
	v_mov_b32_e32 v125, v81
	v_mov_b32_e32 v127, v93
	;; [unrolled: 1-line block ×5, first 2 shown]
	s_waitcnt vmcnt(12)
	v_cvt_f32_f16_e32 v1, v145
	s_waitcnt vmcnt(11)
	v_cvt_f32_f16_e32 v121, v146
	;; [unrolled: 2-line block ×4, first 2 shown]
	ds_write_b32 v109, v1
	ds_write_b32 v111, v121
	;; [unrolled: 1-line block ×4, first 2 shown]
	s_waitcnt vmcnt(8)
	ds_write_b32 v47, v149
	s_waitcnt vmcnt(7)
	ds_write_b32 v51, v2
	;; [unrolled: 2-line block ×9, first 2 shown]
	v_mov_b32_e32 v121, v97
	v_mov_b32_e32 v123, v95
	s_waitcnt lgkmcnt(0)
	s_barrier
.LBB118_7:                              ;   Parent Loop BB118_6 Depth=1
                                        ; =>  This Inner Loop Header: Depth=2
	ds_read_b128 v[0:3], v123
	ds_read_b128 v[4:7], v123 offset:16
	ds_read2_b32 v[130:131], v121 offset1:32
	ds_read_b32 v122, v127
	ds_read2_b32 v[138:139], v125 offset1:1
	ds_read2_b32 v[142:143], v125 offset0:2 offset1:3
	v_add_u32_e32 v126, 0x1080, v125
	v_add_u32_e32 v128, 0x2100, v125
	v_mov_b32_e32 v170, 0
	s_waitcnt lgkmcnt(1)
	v_lshrrev_b32_e32 v124, 4, v138
	v_and_b32_e32 v135, 0xf0f0f0f, v124
	v_lshrrev_b32_e32 v124, 4, v139
	v_and_b32_e32 v137, 0xf0f0f0f, v139
	v_and_b32_e32 v139, 0xf0f0f0f, v124
	s_waitcnt lgkmcnt(0)
	v_lshrrev_b32_e32 v124, 4, v142
	v_and_b32_e32 v141, 0xf0f0f0f, v124
	v_lshrrev_b32_e32 v124, 4, v143
	v_and_b32_e32 v144, 0xf0f0f0f, v124
	ds_read_b32 v124, v129
	ds_read2_b32 v[146:147], v126 offset1:1
	v_and_b32_e32 v134, 0xf0f0f0f, v138
	v_and_b32_e32 v140, 0xf0f0f0f, v142
	;; [unrolled: 1-line block ×3, first 2 shown]
	v_mov_b32_e32 v172, 0
	s_waitcnt lgkmcnt(0)
	v_lshrrev_b32_e32 v126, 4, v146
	v_and_b32_e32 v138, 0xf0f0f0f, v126
	v_lshrrev_b32_e32 v126, 4, v147
	v_and_b32_e32 v145, 0xf0f0f0f, v126
	v_add_u32_e32 v126, 0x1088, v125
	v_and_b32_e32 v136, 0xf0f0f0f, v146
	v_and_b32_e32 v143, 0xf0f0f0f, v147
	ds_read2_b32 v[146:147], v126 offset1:1
	v_mov_b32_e32 v173, 0
	v_mov_b32_e32 v174, 0
	v_dot4c_i32_i8_e32 v170, v134, v0
	v_dot4c_i32_i8_e32 v172, v136, v0
	s_waitcnt lgkmcnt(0)
	v_lshrrev_b32_e32 v126, 4, v146
	v_and_b32_e32 v149, 0xf0f0f0f, v126
	v_lshrrev_b32_e32 v126, 4, v147
	v_and_b32_e32 v151, 0xf0f0f0f, v126
	ds_read_b32 v126, v132
	ds_read2_b32 v[152:153], v128 offset1:1
	v_and_b32_e32 v150, 0xf0f0f0f, v147
	v_and_b32_e32 v148, 0xf0f0f0f, v146
	v_dot4c_i32_i8_e32 v170, v135, v4
	v_dot4c_i32_i8_e32 v172, v138, v4
	s_waitcnt lgkmcnt(0)
	v_lshrrev_b32_e32 v128, 4, v152
	v_and_b32_e32 v147, 0xf0f0f0f, v128
	v_lshrrev_b32_e32 v128, 4, v153
	v_and_b32_e32 v146, 0xf0f0f0f, v152
	v_and_b32_e32 v152, 0xf0f0f0f, v153
	;; [unrolled: 1-line block ×3, first 2 shown]
	v_add_u32_e32 v128, 0x2108, v125
	ds_read2_b32 v[154:155], v128 offset1:1
	v_dot4c_i32_i8_e32 v173, v146, v0
	v_dot4c_i32_i8_e32 v173, v147, v4
	v_dot4c_i32_i8_e32 v170, v137, v1
	v_dot4c_i32_i8_e32 v172, v143, v1
	s_waitcnt lgkmcnt(0)
	v_lshrrev_b32_e32 v128, 4, v154
	v_and_b32_e32 v157, 0xf0f0f0f, v128
	v_lshrrev_b32_e32 v128, 4, v155
	v_and_b32_e32 v156, 0xf0f0f0f, v154
	v_and_b32_e32 v159, 0xf0f0f0f, v128
	v_add_u32_e32 v154, 0x3180, v125
	ds_read_b32 v128, v133
	ds_read2_b32 v[160:161], v154 offset1:1
	v_and_b32_e32 v158, 0xf0f0f0f, v155
	v_dot4c_i32_i8_e32 v173, v152, v1
	v_dot4c_i32_i8_e32 v170, v139, v5
	;; [unrolled: 1-line block ×3, first 2 shown]
	s_waitcnt lgkmcnt(0)
	v_and_b32_e32 v154, 0xf0f0f0f, v160
	v_lshrrev_b32_e32 v155, 4, v160
	v_and_b32_e32 v155, 0xf0f0f0f, v155
	v_dot4c_i32_i8_e32 v174, v154, v0
	v_dot4c_i32_i8_e32 v174, v155, v4
	v_and_b32_e32 v0, 0xf0f0f0f, v161
	v_dot4c_i32_i8_e32 v174, v0, v1
	v_add_u32_e32 v1, 0x3188, v125
	v_lshrrev_b32_e32 v4, 4, v161
	ds_read2_b32 v[160:161], v1 offset1:1
	v_and_b32_e32 v4, 0xf0f0f0f, v4
	v_dot4c_i32_i8_e32 v173, v153, v5
	v_dot4c_i32_i8_e32 v174, v4, v5
	;; [unrolled: 1-line block ×3, first 2 shown]
	s_waitcnt lgkmcnt(0)
	v_and_b32_e32 v1, 0xf0f0f0f, v160
	v_lshrrev_b32_e32 v5, 4, v160
	v_dot4c_i32_i8_e32 v172, v148, v2
	v_dot4c_i32_i8_e32 v173, v156, v2
	v_and_b32_e32 v5, 0xf0f0f0f, v5
	v_dot4c_i32_i8_e32 v174, v1, v2
	v_dot4c_i32_i8_e32 v170, v141, v6
	;; [unrolled: 1-line block ×5, first 2 shown]
	v_and_b32_e32 v2, 0xf0f0f0f, v161
	v_lshrrev_b32_e32 v6, 4, v161
	ds_read_b128 v[160:163], v123 offset:1024
	ds_read_b128 v[164:167], v123 offset:1040
	v_dot4c_i32_i8_e32 v170, v142, v3
	v_dot4c_i32_i8_e32 v172, v150, v3
	;; [unrolled: 1-line block ×4, first 2 shown]
	v_mov_b32_e32 v3, 0
	s_waitcnt lgkmcnt(1)
	v_dot4c_i32_i8_e32 v3, v134, v160
	s_waitcnt lgkmcnt(0)
	v_dot4c_i32_i8_e32 v3, v135, v164
	v_dot4c_i32_i8_e32 v3, v137, v161
	;; [unrolled: 1-line block ×8, first 2 shown]
	v_cvt_f32_f16_e32 v169, v131
	v_cvt_f32_f16_e32 v168, v130
	v_cvt_f32_i32_e32 v171, v3
	v_mov_b32_e32 v3, 0
	v_dot4c_i32_i8_e32 v3, v136, v160
	v_dot4c_i32_i8_e32 v3, v138, v164
	v_cvt_f32_f16_sdwa v131, v131 dst_sel:DWORD dst_unused:UNUSED_PAD src0_sel:WORD_1
	v_cvt_f32_f16_sdwa v130, v130 dst_sel:DWORD dst_unused:UNUSED_PAD src0_sel:WORD_1
	v_dot4c_i32_i8_e32 v3, v143, v161
	v_cvt_f32_i32_e32 v170, v170
	v_dot4c_i32_i8_e32 v3, v145, v165
	v_dot4c_i32_i8_e32 v3, v148, v162
	;; [unrolled: 1-line block ×3, first 2 shown]
	v_pk_mul_f32 v[130:131], v[130:131], s[4:5] op_sel_hi:[1,0]
	v_dot4c_i32_i8_e32 v3, v150, v163
	v_pk_fma_f32 v[170:171], v[168:169], v[170:171], v[130:131] neg_lo:[0,0,1] neg_hi:[0,0,1]
	v_dot4c_i32_i8_e32 v3, v151, v167
	v_pk_fma_f32 v[90:91], v[122:123], v[170:171], v[90:91] op_sel_hi:[0,1,1]
	v_dot4c_i32_i8_e32 v172, v151, v7
	v_and_b32_e32 v6, 0xf0f0f0f, v6
	v_cvt_f32_i32_e32 v171, v3
	v_mov_b32_e32 v3, 0
	v_dot4c_i32_i8_e32 v3, v146, v160
	v_dot4c_i32_i8_e32 v3, v147, v164
	;; [unrolled: 1-line block ×3, first 2 shown]
	v_cvt_f32_i32_e32 v170, v172
	v_dot4c_i32_i8_e32 v3, v153, v165
	v_dot4c_i32_i8_e32 v3, v156, v162
	;; [unrolled: 1-line block ×4, first 2 shown]
	v_pk_fma_f32 v[170:171], v[168:169], v[170:171], v[130:131] neg_lo:[0,0,1] neg_hi:[0,0,1]
	v_dot4c_i32_i8_e32 v3, v159, v167
	v_pk_fma_f32 v[78:79], v[124:125], v[170:171], v[78:79] op_sel_hi:[0,1,1]
	v_dot4c_i32_i8_e32 v173, v159, v7
	v_dot4c_i32_i8_e32 v174, v6, v7
	v_cvt_f32_i32_e32 v171, v3
	v_mov_b32_e32 v3, 0
	v_dot4c_i32_i8_e32 v3, v154, v160
	v_dot4c_i32_i8_e32 v3, v155, v164
	v_dot4c_i32_i8_e32 v3, v0, v161
	v_dot4c_i32_i8_e32 v3, v4, v165
	v_dot4c_i32_i8_e32 v3, v1, v162
	v_dot4c_i32_i8_e32 v3, v5, v166
	v_dot4c_i32_i8_e32 v3, v2, v163
	v_dot4c_i32_i8_e32 v3, v6, v167
	v_cvt_f32_i32_e32 v170, v173
	v_cvt_f32_i32_e32 v160, v174
	v_mov_b32_e32 v7, 0
	v_cvt_f32_i32_e32 v161, v3
	v_pk_fma_f32 v[170:171], v[168:169], v[170:171], v[130:131] neg_lo:[0,0,1] neg_hi:[0,0,1]
	v_mov_b32_e32 v3, 0
	v_mov_b32_e32 v172, 0
	v_pk_fma_f32 v[130:131], v[168:169], v[160:161], v[130:131] neg_lo:[0,0,1] neg_hi:[0,0,1]
	v_pk_fma_f32 v[42:43], v[128:129], v[130:131], v[42:43] op_sel_hi:[0,1,1]
	ds_read_b128 v[160:163], v123 offset:2048
	ds_read_b128 v[164:167], v123 offset:2064
	ds_read2_b32 v[130:131], v121 offset0:64 offset1:96
	v_mov_b32_e32 v173, 0
	v_pk_fma_f32 v[60:61], v[126:127], v[170:171], v[60:61] op_sel_hi:[0,1,1]
	s_waitcnt lgkmcnt(2)
	v_dot4c_i32_i8_e32 v3, v134, v160
	v_dot4c_i32_i8_e32 v7, v136, v160
	;; [unrolled: 1-line block ×4, first 2 shown]
	s_waitcnt lgkmcnt(1)
	v_dot4c_i32_i8_e32 v3, v135, v164
	v_dot4c_i32_i8_e32 v7, v138, v164
	;; [unrolled: 1-line block ×28, first 2 shown]
	ds_read_b128 v[160:163], v123 offset:3072
	ds_read_b128 v[164:167], v123 offset:3088
	v_mov_b32_e32 v170, 0
	s_waitcnt lgkmcnt(2)
	v_cvt_f32_f16_e32 v169, v131
	v_cvt_f32_f16_e32 v168, v130
	s_waitcnt lgkmcnt(1)
	v_dot4c_i32_i8_e32 v170, v134, v160
	s_waitcnt lgkmcnt(0)
	v_dot4c_i32_i8_e32 v170, v135, v164
	v_dot4c_i32_i8_e32 v170, v137, v161
	;; [unrolled: 1-line block ×7, first 2 shown]
	v_cvt_f32_f16_sdwa v131, v131 dst_sel:DWORD dst_unused:UNUSED_PAD src0_sel:WORD_1
	v_cvt_f32_f16_sdwa v130, v130 dst_sel:DWORD dst_unused:UNUSED_PAD src0_sel:WORD_1
	s_add_i32 s1, s1, 4
	v_cvt_f32_i32_e32 v171, v170
	v_cvt_f32_i32_e32 v170, v3
	v_mov_b32_e32 v3, 0
	v_dot4c_i32_i8_e32 v3, v136, v160
	v_dot4c_i32_i8_e32 v3, v138, v164
	v_dot4c_i32_i8_e32 v3, v143, v161
	v_dot4c_i32_i8_e32 v3, v145, v165
	v_dot4c_i32_i8_e32 v3, v148, v162
	v_dot4c_i32_i8_e32 v3, v149, v166
	v_pk_mul_f32 v[130:131], v[130:131], s[4:5] op_sel_hi:[1,0]
	v_dot4c_i32_i8_e32 v3, v150, v163
	v_pk_fma_f32 v[170:171], v[170:171], v[168:169], v[130:131] neg_lo:[0,0,1] neg_hi:[0,0,1]
	v_dot4c_i32_i8_e32 v3, v151, v167
	v_pk_fma_f32 v[30:31], v[122:123], v[170:171], v[30:31] op_sel_hi:[0,1,1]
	v_cvt_f32_i32_e32 v170, v7
	v_mov_b32_e32 v7, 0
	v_cvt_f32_i32_e32 v171, v3
	v_mov_b32_e32 v3, 0
	v_dot4c_i32_i8_e32 v3, v146, v160
	v_dot4c_i32_i8_e32 v3, v147, v164
	;; [unrolled: 1-line block ×7, first 2 shown]
	v_pk_fma_f32 v[170:171], v[170:171], v[168:169], v[130:131] neg_lo:[0,0,1] neg_hi:[0,0,1]
	v_dot4c_i32_i8_e32 v3, v159, v167
	v_pk_fma_f32 v[28:29], v[124:125], v[170:171], v[28:29] op_sel_hi:[0,1,1]
	v_cvt_f32_i32_e32 v170, v172
	v_mov_b32_e32 v172, 0
	v_cvt_f32_i32_e32 v171, v3
	v_mov_b32_e32 v3, 0
	v_dot4c_i32_i8_e32 v3, v154, v160
	v_dot4c_i32_i8_e32 v3, v155, v164
	v_dot4c_i32_i8_e32 v3, v0, v161
	v_dot4c_i32_i8_e32 v3, v4, v165
	v_dot4c_i32_i8_e32 v3, v1, v162
	v_dot4c_i32_i8_e32 v3, v5, v166
	v_dot4c_i32_i8_e32 v3, v2, v163
	v_dot4c_i32_i8_e32 v3, v6, v167
	v_cvt_f32_i32_e32 v160, v173
	v_pk_fma_f32 v[170:171], v[170:171], v[168:169], v[130:131] neg_lo:[0,0,1] neg_hi:[0,0,1]
	v_mov_b32_e32 v173, 0
	v_cvt_f32_i32_e32 v161, v3
	v_mov_b32_e32 v3, 0
	v_pk_fma_f32 v[26:27], v[126:127], v[170:171], v[26:27] op_sel_hi:[0,1,1]
	v_mov_b32_e32 v170, 0
	v_pk_fma_f32 v[130:131], v[160:161], v[168:169], v[130:131] neg_lo:[0,0,1] neg_hi:[0,0,1]
	v_pk_fma_f32 v[24:25], v[128:129], v[130:131], v[24:25] op_sel_hi:[0,1,1]
	ds_read_b128 v[160:163], v123 offset:4096
	ds_read_b128 v[164:167], v123 offset:4112
	ds_read2_b32 v[130:131], v121 offset0:128 offset1:160
	v_add_u32_e32 v133, 4, v133
	v_add_u32_e32 v132, 4, v132
	s_waitcnt lgkmcnt(2)
	v_dot4c_i32_i8_e32 v3, v134, v160
	v_dot4c_i32_i8_e32 v7, v136, v160
	;; [unrolled: 1-line block ×4, first 2 shown]
	s_waitcnt lgkmcnt(1)
	v_dot4c_i32_i8_e32 v3, v135, v164
	v_dot4c_i32_i8_e32 v7, v138, v164
	;; [unrolled: 1-line block ×28, first 2 shown]
	ds_read_b128 v[160:163], v123 offset:5120
	ds_read_b128 v[164:167], v123 offset:5136
	s_waitcnt lgkmcnt(2)
	v_cvt_f32_f16_e32 v169, v131
	v_cvt_f32_f16_e32 v168, v130
	v_cvt_f32_f16_sdwa v131, v131 dst_sel:DWORD dst_unused:UNUSED_PAD src0_sel:WORD_1
	s_waitcnt lgkmcnt(1)
	v_dot4c_i32_i8_e32 v170, v134, v160
	s_waitcnt lgkmcnt(0)
	v_dot4c_i32_i8_e32 v170, v135, v164
	v_dot4c_i32_i8_e32 v170, v137, v161
	v_dot4c_i32_i8_e32 v170, v139, v165
	v_dot4c_i32_i8_e32 v170, v140, v162
	v_dot4c_i32_i8_e32 v170, v141, v166
	v_dot4c_i32_i8_e32 v170, v142, v163
	v_dot4c_i32_i8_e32 v170, v144, v167
	v_cvt_f32_f16_sdwa v130, v130 dst_sel:DWORD dst_unused:UNUSED_PAD src0_sel:WORD_1
	s_cmp_lt_u32 s1, 12
	v_pk_mul_f32 v[130:131], v[130:131], s[4:5] op_sel_hi:[1,0]
	v_cvt_f32_i32_e32 v171, v170
	v_cvt_f32_i32_e32 v170, v3
	v_mov_b32_e32 v3, 0
	v_dot4c_i32_i8_e32 v3, v136, v160
	v_dot4c_i32_i8_e32 v3, v138, v164
	;; [unrolled: 1-line block ×7, first 2 shown]
	v_pk_fma_f32 v[170:171], v[170:171], v[168:169], v[130:131] neg_lo:[0,0,1] neg_hi:[0,0,1]
	v_dot4c_i32_i8_e32 v3, v151, v167
	v_pk_fma_f32 v[22:23], v[122:123], v[170:171], v[22:23] op_sel_hi:[0,1,1]
	v_cvt_f32_i32_e32 v170, v7
	v_mov_b32_e32 v7, 0
	v_cvt_f32_i32_e32 v171, v3
	v_mov_b32_e32 v3, 0
	v_dot4c_i32_i8_e32 v3, v146, v160
	v_dot4c_i32_i8_e32 v3, v147, v164
	;; [unrolled: 1-line block ×7, first 2 shown]
	v_pk_fma_f32 v[170:171], v[170:171], v[168:169], v[130:131] neg_lo:[0,0,1] neg_hi:[0,0,1]
	v_dot4c_i32_i8_e32 v3, v159, v167
	v_pk_fma_f32 v[20:21], v[124:125], v[170:171], v[20:21] op_sel_hi:[0,1,1]
	v_cvt_f32_i32_e32 v170, v172
	s_nop 0
	v_cvt_f32_i32_e32 v171, v3
	v_mov_b32_e32 v3, 0
	v_dot4c_i32_i8_e32 v3, v154, v160
	v_dot4c_i32_i8_e32 v3, v155, v164
	;; [unrolled: 1-line block ×8, first 2 shown]
	v_cvt_f32_i32_e32 v160, v173
	v_pk_fma_f32 v[170:171], v[170:171], v[168:169], v[130:131] neg_lo:[0,0,1] neg_hi:[0,0,1]
	v_pk_fma_f32 v[18:19], v[126:127], v[170:171], v[18:19] op_sel_hi:[0,1,1]
	v_cvt_f32_i32_e32 v161, v3
	v_mov_b32_e32 v3, 0
	v_mov_b32_e32 v170, 0
	v_pk_fma_f32 v[130:131], v[160:161], v[168:169], v[130:131] neg_lo:[0,0,1] neg_hi:[0,0,1]
	v_pk_fma_f32 v[16:17], v[128:129], v[130:131], v[16:17] op_sel_hi:[0,1,1]
	ds_read_b128 v[160:163], v123 offset:6144
	ds_read_b128 v[164:167], v123 offset:6160
	ds_read2_b32 v[130:131], v121 offset0:192 offset1:224
	v_mov_b32_e32 v168, 0
	v_mov_b32_e32 v169, 0
	s_waitcnt lgkmcnt(2)
	v_dot4c_i32_i8_e32 v3, v134, v160
	v_dot4c_i32_i8_e32 v7, v136, v160
	;; [unrolled: 1-line block ×4, first 2 shown]
	s_waitcnt lgkmcnt(1)
	v_dot4c_i32_i8_e32 v3, v135, v164
	v_dot4c_i32_i8_e32 v7, v138, v164
	;; [unrolled: 1-line block ×28, first 2 shown]
	ds_read_b128 v[160:163], v123 offset:7168
	ds_read_b128 v[164:167], v123 offset:7184
	v_add_u32_e32 v121, 4, v121
	s_waitcnt lgkmcnt(1)
	v_dot4c_i32_i8_e32 v170, v134, v160
	s_waitcnt lgkmcnt(0)
	v_dot4c_i32_i8_e32 v170, v135, v164
	v_dot4c_i32_i8_e32 v170, v137, v161
	;; [unrolled: 1-line block ×4, first 2 shown]
	v_cvt_f32_i32_e32 v140, v3
	v_mov_b32_e32 v3, 0
	v_dot4c_i32_i8_e32 v3, v136, v160
	v_dot4c_i32_i8_e32 v3, v138, v164
	;; [unrolled: 1-line block ×8, first 2 shown]
	v_cvt_f32_f16_e32 v135, v131
	v_cvt_f32_f16_e32 v134, v130
	v_cvt_f32_f16_sdwa v131, v131 dst_sel:DWORD dst_unused:UNUSED_PAD src0_sel:WORD_1
	v_cvt_f32_i32_e32 v137, v3
	v_mov_b32_e32 v3, 0
	v_dot4c_i32_i8_e32 v3, v146, v160
	v_dot4c_i32_i8_e32 v3, v147, v164
	v_cvt_f32_f16_sdwa v130, v130 dst_sel:DWORD dst_unused:UNUSED_PAD src0_sel:WORD_1
	v_dot4c_i32_i8_e32 v3, v152, v161
	v_cvt_f32_i32_e32 v136, v7
	v_dot4c_i32_i8_e32 v3, v153, v165
	v_dot4c_i32_i8_e32 v3, v156, v162
	;; [unrolled: 1-line block ×3, first 2 shown]
	v_pk_mul_f32 v[130:131], v[130:131], s[4:5] op_sel_hi:[1,0]
	v_dot4c_i32_i8_e32 v3, v158, v163
	v_pk_fma_f32 v[136:137], v[136:137], v[134:135], v[130:131] neg_lo:[0,0,1] neg_hi:[0,0,1]
	v_dot4c_i32_i8_e32 v3, v159, v167
	v_pk_fma_f32 v[12:13], v[124:125], v[136:137], v[12:13] op_sel_hi:[0,1,1]
	v_dot4c_i32_i8_e32 v170, v141, v166
	v_dot4c_i32_i8_e32 v170, v142, v163
	v_cvt_f32_i32_e32 v137, v3
	v_mov_b32_e32 v3, 0
	v_dot4c_i32_i8_e32 v3, v154, v160
	v_dot4c_i32_i8_e32 v3, v155, v164
	;; [unrolled: 1-line block ×9, first 2 shown]
	v_cvt_f32_i32_e32 v136, v168
	v_cvt_f32_i32_e32 v0, v169
	;; [unrolled: 1-line block ×4, first 2 shown]
	v_pk_fma_f32 v[136:137], v[136:137], v[134:135], v[130:131] neg_lo:[0,0,1] neg_hi:[0,0,1]
	v_pk_fma_f32 v[10:11], v[126:127], v[136:137], v[10:11] op_sel_hi:[0,1,1]
	v_pk_fma_f32 v[140:141], v[140:141], v[134:135], v[130:131] neg_lo:[0,0,1] neg_hi:[0,0,1]
	v_pk_fma_f32 v[0:1], v[0:1], v[134:135], v[130:131] neg_lo:[0,0,1] neg_hi:[0,0,1]
	v_pk_fma_f32 v[14:15], v[122:123], v[140:141], v[14:15] op_sel_hi:[0,1,1]
	v_pk_fma_f32 v[8:9], v[128:129], v[0:1], v[8:9] op_sel_hi:[0,1,1]
	v_add_u32_e32 v129, 4, v129
	v_add_u32_e32 v127, 4, v127
	v_add_u32_e32 v125, 16, v125
	v_add_u32_e32 v123, 32, v123
	s_cbranch_scc1 .LBB118_7
; %bb.8:                                ;   in Loop: Header=BB118_6 Depth=1
	s_or_b32 s1, s0, 4
	s_cmp_ge_i32 s1, s5
	s_barrier
	s_cbranch_scc1 .LBB118_5
; %bb.9:                                ;   in Loop: Header=BB118_6 Depth=1
	v_add_u32_e32 v121, s0, v83
	v_add_u32_e32 v0, v121, v45
	v_add_u32_e32 v2, v121, v49
	v_add_u32_e32 v4, v121, v53
	v_add_u32_e32 v6, v121, v57
	v_add_u32_e32 v122, v121, v63
	v_mad_i64_i32 v[0:1], s[16:17], v0, 36, v[118:119]
	v_mad_i64_i32 v[2:3], s[16:17], v2, 36, v[118:119]
	;; [unrolled: 1-line block ×5, first 2 shown]
	v_add_u32_e32 v124, v121, v67
	v_add_u32_e32 v126, v121, v71
	;; [unrolled: 1-line block ×3, first 2 shown]
	v_mad_i64_i32 v[124:125], s[16:17], v124, 36, v[118:119]
	v_mad_i64_i32 v[126:127], s[16:17], v126, 36, v[118:119]
	v_mad_i64_i32 v[128:129], s[16:17], v121, 36, v[118:119]
	global_load_dword v130, v[0:1], off offset:4
	s_nop 0
	global_load_dword v2, v[2:3], off offset:4
	s_nop 0
	;; [unrolled: 2-line block ×3, first 2 shown]
	global_load_dword v4, v[6:7], off offset:4
	global_load_dword v5, v[122:123], off offset:4
                                        ; kill: killed $vgpr122_vgpr123
                                        ; kill: killed $vgpr6_vgpr7
	s_nop 0
	global_load_dword v6, v[124:125], off offset:4
	global_load_dword v7, v[126:127], off offset:4
	;; [unrolled: 1-line block ×3, first 2 shown]
	v_add_u32_e32 v0, 4, v117
	v_mad_u64_u32 v[0:1], s[16:17], v0, 36, s[2:3]
	global_load_dword v0, v[0:1], off
	s_mov_b32 s1, 12
	v_mov_b32_e32 v117, v97
	v_mov_b32_e32 v121, v95
	;; [unrolled: 1-line block ×7, first 2 shown]
	s_waitcnt vmcnt(8)
	ds_write_b32 v47, v130
	s_waitcnt vmcnt(7)
	ds_write_b32 v51, v2
	s_waitcnt vmcnt(6)
	ds_write_b32 v55, v3
	s_waitcnt vmcnt(5)
	ds_write_b32 v59, v4
	s_waitcnt vmcnt(4)
	ds_write_b32 v65, v5
	s_waitcnt vmcnt(3)
	ds_write_b32 v69, v6
	s_waitcnt vmcnt(2)
	ds_write_b32 v73, v7
	s_waitcnt vmcnt(1)
	ds_write_b32 v77, v122
	s_waitcnt vmcnt(0)
	ds_write_b32 v41, v0
	s_waitcnt lgkmcnt(0)
	s_barrier
.LBB118_10:                             ;   Parent Loop BB118_6 Depth=1
                                        ; =>  This Inner Loop Header: Depth=2
	ds_read_b128 v[0:3], v121
	ds_read_b128 v[4:7], v121 offset:16
	ds_read2_b32 v[130:131], v117 offset1:32
	ds_read_b32 v122, v125
	ds_read2_b32 v[134:135], v123 offset1:1
	ds_read2_b32 v[142:143], v123 offset0:2 offset1:3
	v_add_u32_e32 v126, 0x1080, v123
	v_add_u32_e32 v128, 0x2100, v123
	v_mov_b32_e32 v170, 0
	s_waitcnt lgkmcnt(1)
	v_lshrrev_b32_e32 v124, 4, v134
	v_and_b32_e32 v133, 0xf0f0f0f, v134
	v_and_b32_e32 v134, 0xf0f0f0f, v124
	v_lshrrev_b32_e32 v124, 4, v135
	v_and_b32_e32 v138, 0xf0f0f0f, v124
	s_waitcnt lgkmcnt(0)
	v_lshrrev_b32_e32 v124, 4, v142
	v_and_b32_e32 v140, 0xf0f0f0f, v124
	v_lshrrev_b32_e32 v124, 4, v143
	v_and_b32_e32 v141, 0xf0f0f0f, v143
	v_and_b32_e32 v143, 0xf0f0f0f, v124
	ds_read_b32 v124, v127
	ds_read2_b32 v[144:145], v126 offset1:1
	v_and_b32_e32 v136, 0xf0f0f0f, v135
	v_and_b32_e32 v139, 0xf0f0f0f, v142
	v_mov_b32_e32 v172, 0
	v_mov_b32_e32 v173, 0
	s_waitcnt lgkmcnt(0)
	v_lshrrev_b32_e32 v126, 4, v144
	v_and_b32_e32 v137, 0xf0f0f0f, v126
	v_lshrrev_b32_e32 v126, 4, v145
	v_and_b32_e32 v135, 0xf0f0f0f, v144
	v_and_b32_e32 v144, 0xf0f0f0f, v126
	v_add_u32_e32 v126, 0x1088, v123
	ds_read2_b32 v[150:151], v126 offset1:1
	v_and_b32_e32 v142, 0xf0f0f0f, v145
	v_dot4c_i32_i8_e32 v170, v133, v0
	v_dot4c_i32_i8_e32 v172, v135, v0
	;; [unrolled: 1-line block ×3, first 2 shown]
	s_waitcnt lgkmcnt(0)
	v_lshrrev_b32_e32 v126, 4, v150
	v_and_b32_e32 v148, 0xf0f0f0f, v126
	v_lshrrev_b32_e32 v126, 4, v151
	v_and_b32_e32 v147, 0xf0f0f0f, v150
	v_and_b32_e32 v150, 0xf0f0f0f, v126
	ds_read_b32 v126, v129
	ds_read2_b32 v[152:153], v128 offset1:1
	v_and_b32_e32 v149, 0xf0f0f0f, v151
	v_dot4c_i32_i8_e32 v172, v137, v4
	v_dot4c_i32_i8_e32 v170, v136, v1
	;; [unrolled: 1-line block ×3, first 2 shown]
	s_waitcnt lgkmcnt(0)
	v_lshrrev_b32_e32 v128, 4, v152
	v_and_b32_e32 v146, 0xf0f0f0f, v128
	v_lshrrev_b32_e32 v128, 4, v153
	v_and_b32_e32 v145, 0xf0f0f0f, v152
	v_and_b32_e32 v152, 0xf0f0f0f, v128
	v_add_u32_e32 v128, 0x2108, v123
	ds_read2_b32 v[158:159], v128 offset1:1
	v_and_b32_e32 v151, 0xf0f0f0f, v153
	v_add_u32_e32 v153, 0x3180, v123
	v_dot4c_i32_i8_e32 v173, v145, v0
	v_dot4c_i32_i8_e32 v173, v146, v4
	s_waitcnt lgkmcnt(0)
	v_lshrrev_b32_e32 v128, 4, v158
	v_and_b32_e32 v156, 0xf0f0f0f, v128
	v_lshrrev_b32_e32 v128, 4, v159
	v_and_b32_e32 v155, 0xf0f0f0f, v158
	v_and_b32_e32 v158, 0xf0f0f0f, v128
	ds_read_b32 v128, v132
	ds_read2_b32 v[160:161], v153 offset1:1
	v_and_b32_e32 v157, 0xf0f0f0f, v159
	v_mov_b32_e32 v159, 0
	v_dot4c_i32_i8_e32 v173, v151, v1
	v_dot4c_i32_i8_e32 v170, v138, v5
	s_waitcnt lgkmcnt(0)
	v_and_b32_e32 v153, 0xf0f0f0f, v160
	v_lshrrev_b32_e32 v154, 4, v160
	v_and_b32_e32 v154, 0xf0f0f0f, v154
	v_dot4c_i32_i8_e32 v159, v153, v0
	v_dot4c_i32_i8_e32 v159, v154, v4
	v_and_b32_e32 v0, 0xf0f0f0f, v161
	v_dot4c_i32_i8_e32 v159, v0, v1
	v_add_u32_e32 v1, 0x3188, v123
	v_lshrrev_b32_e32 v4, 4, v161
	ds_read2_b32 v[160:161], v1 offset1:1
	v_and_b32_e32 v4, 0xf0f0f0f, v4
	v_dot4c_i32_i8_e32 v172, v144, v5
	v_dot4c_i32_i8_e32 v173, v152, v5
	;; [unrolled: 1-line block ×3, first 2 shown]
	s_waitcnt lgkmcnt(0)
	v_and_b32_e32 v1, 0xf0f0f0f, v160
	v_lshrrev_b32_e32 v5, 4, v160
	v_dot4c_i32_i8_e32 v170, v139, v2
	v_dot4c_i32_i8_e32 v172, v147, v2
	;; [unrolled: 1-line block ×3, first 2 shown]
	v_and_b32_e32 v5, 0xf0f0f0f, v5
	v_dot4c_i32_i8_e32 v159, v1, v2
	v_dot4c_i32_i8_e32 v170, v140, v6
	;; [unrolled: 1-line block ×5, first 2 shown]
	v_and_b32_e32 v2, 0xf0f0f0f, v161
	v_lshrrev_b32_e32 v6, 4, v161
	ds_read_b128 v[160:163], v121 offset:1024
	ds_read_b128 v[164:167], v121 offset:1040
	v_dot4c_i32_i8_e32 v170, v141, v3
	v_dot4c_i32_i8_e32 v172, v149, v3
	;; [unrolled: 1-line block ×4, first 2 shown]
	v_mov_b32_e32 v3, 0
	s_waitcnt lgkmcnt(1)
	v_dot4c_i32_i8_e32 v3, v133, v160
	s_waitcnt lgkmcnt(0)
	v_dot4c_i32_i8_e32 v3, v134, v164
	v_dot4c_i32_i8_e32 v3, v136, v161
	;; [unrolled: 1-line block ×8, first 2 shown]
	v_cvt_f32_f16_e32 v169, v131
	v_cvt_f32_f16_e32 v168, v130
	v_cvt_f32_i32_e32 v171, v3
	v_mov_b32_e32 v3, 0
	v_dot4c_i32_i8_e32 v3, v135, v160
	v_dot4c_i32_i8_e32 v3, v137, v164
	v_cvt_f32_f16_sdwa v131, v131 dst_sel:DWORD dst_unused:UNUSED_PAD src0_sel:WORD_1
	v_cvt_f32_f16_sdwa v130, v130 dst_sel:DWORD dst_unused:UNUSED_PAD src0_sel:WORD_1
	v_dot4c_i32_i8_e32 v3, v142, v161
	v_cvt_f32_i32_e32 v170, v170
	v_dot4c_i32_i8_e32 v3, v144, v165
	v_dot4c_i32_i8_e32 v3, v147, v162
	;; [unrolled: 1-line block ×3, first 2 shown]
	v_pk_mul_f32 v[130:131], v[130:131], s[4:5] op_sel_hi:[1,0]
	v_dot4c_i32_i8_e32 v3, v149, v163
	v_pk_fma_f32 v[170:171], v[168:169], v[170:171], v[130:131] neg_lo:[0,0,1] neg_hi:[0,0,1]
	v_dot4c_i32_i8_e32 v3, v150, v167
	v_pk_fma_f32 v[90:91], v[122:123], v[170:171], v[90:91] op_sel_hi:[0,1,1]
	v_dot4c_i32_i8_e32 v172, v150, v7
	v_and_b32_e32 v6, 0xf0f0f0f, v6
	v_cvt_f32_i32_e32 v171, v3
	v_mov_b32_e32 v3, 0
	v_dot4c_i32_i8_e32 v3, v145, v160
	v_dot4c_i32_i8_e32 v3, v146, v164
	;; [unrolled: 1-line block ×3, first 2 shown]
	v_cvt_f32_i32_e32 v170, v172
	v_dot4c_i32_i8_e32 v3, v152, v165
	v_dot4c_i32_i8_e32 v3, v155, v162
	;; [unrolled: 1-line block ×4, first 2 shown]
	v_pk_fma_f32 v[170:171], v[168:169], v[170:171], v[130:131] neg_lo:[0,0,1] neg_hi:[0,0,1]
	v_dot4c_i32_i8_e32 v3, v158, v167
	v_pk_fma_f32 v[78:79], v[124:125], v[170:171], v[78:79] op_sel_hi:[0,1,1]
	v_dot4c_i32_i8_e32 v173, v158, v7
	v_dot4c_i32_i8_e32 v159, v6, v7
	v_cvt_f32_i32_e32 v171, v3
	v_mov_b32_e32 v3, 0
	v_dot4c_i32_i8_e32 v3, v153, v160
	v_dot4c_i32_i8_e32 v3, v154, v164
	;; [unrolled: 1-line block ×8, first 2 shown]
	v_cvt_f32_i32_e32 v170, v173
	v_cvt_f32_i32_e32 v160, v159
	v_mov_b32_e32 v7, 0
	v_cvt_f32_i32_e32 v161, v3
	v_pk_fma_f32 v[170:171], v[168:169], v[170:171], v[130:131] neg_lo:[0,0,1] neg_hi:[0,0,1]
	v_mov_b32_e32 v3, 0
	v_mov_b32_e32 v159, 0
	v_pk_fma_f32 v[130:131], v[168:169], v[160:161], v[130:131] neg_lo:[0,0,1] neg_hi:[0,0,1]
	v_pk_fma_f32 v[42:43], v[128:129], v[130:131], v[42:43] op_sel_hi:[0,1,1]
	ds_read_b128 v[160:163], v121 offset:2048
	ds_read_b128 v[164:167], v121 offset:2064
	ds_read2_b32 v[130:131], v117 offset0:64 offset1:96
	v_mov_b32_e32 v172, 0
	v_pk_fma_f32 v[60:61], v[126:127], v[170:171], v[60:61] op_sel_hi:[0,1,1]
	s_waitcnt lgkmcnt(2)
	v_dot4c_i32_i8_e32 v3, v133, v160
	v_dot4c_i32_i8_e32 v7, v135, v160
	;; [unrolled: 1-line block ×4, first 2 shown]
	s_waitcnt lgkmcnt(1)
	v_dot4c_i32_i8_e32 v3, v134, v164
	v_dot4c_i32_i8_e32 v7, v137, v164
	;; [unrolled: 1-line block ×28, first 2 shown]
	ds_read_b128 v[160:163], v121 offset:3072
	ds_read_b128 v[164:167], v121 offset:3088
	v_mov_b32_e32 v170, 0
	s_waitcnt lgkmcnt(2)
	v_cvt_f32_f16_e32 v169, v131
	v_cvt_f32_f16_e32 v168, v130
	s_waitcnt lgkmcnt(1)
	v_dot4c_i32_i8_e32 v170, v133, v160
	s_waitcnt lgkmcnt(0)
	v_dot4c_i32_i8_e32 v170, v134, v164
	v_dot4c_i32_i8_e32 v170, v136, v161
	;; [unrolled: 1-line block ×7, first 2 shown]
	v_cvt_f32_f16_sdwa v131, v131 dst_sel:DWORD dst_unused:UNUSED_PAD src0_sel:WORD_1
	v_cvt_f32_f16_sdwa v130, v130 dst_sel:DWORD dst_unused:UNUSED_PAD src0_sel:WORD_1
	s_add_i32 s1, s1, 4
	v_cvt_f32_i32_e32 v171, v170
	v_cvt_f32_i32_e32 v170, v3
	v_mov_b32_e32 v3, 0
	v_dot4c_i32_i8_e32 v3, v135, v160
	v_dot4c_i32_i8_e32 v3, v137, v164
	;; [unrolled: 1-line block ×6, first 2 shown]
	v_pk_mul_f32 v[130:131], v[130:131], s[4:5] op_sel_hi:[1,0]
	v_dot4c_i32_i8_e32 v3, v149, v163
	v_pk_fma_f32 v[170:171], v[170:171], v[168:169], v[130:131] neg_lo:[0,0,1] neg_hi:[0,0,1]
	v_dot4c_i32_i8_e32 v3, v150, v167
	v_pk_fma_f32 v[30:31], v[122:123], v[170:171], v[30:31] op_sel_hi:[0,1,1]
	v_cvt_f32_i32_e32 v170, v7
	v_mov_b32_e32 v7, 0
	v_cvt_f32_i32_e32 v171, v3
	v_mov_b32_e32 v3, 0
	v_dot4c_i32_i8_e32 v3, v145, v160
	v_dot4c_i32_i8_e32 v3, v146, v164
	;; [unrolled: 1-line block ×7, first 2 shown]
	v_pk_fma_f32 v[170:171], v[170:171], v[168:169], v[130:131] neg_lo:[0,0,1] neg_hi:[0,0,1]
	v_dot4c_i32_i8_e32 v3, v158, v167
	v_pk_fma_f32 v[28:29], v[124:125], v[170:171], v[28:29] op_sel_hi:[0,1,1]
	v_cvt_f32_i32_e32 v170, v159
	v_mov_b32_e32 v159, 0
	v_cvt_f32_i32_e32 v171, v3
	v_mov_b32_e32 v3, 0
	v_dot4c_i32_i8_e32 v3, v153, v160
	v_dot4c_i32_i8_e32 v3, v154, v164
	v_dot4c_i32_i8_e32 v3, v0, v161
	v_dot4c_i32_i8_e32 v3, v4, v165
	v_dot4c_i32_i8_e32 v3, v1, v162
	v_dot4c_i32_i8_e32 v3, v5, v166
	v_dot4c_i32_i8_e32 v3, v2, v163
	v_dot4c_i32_i8_e32 v3, v6, v167
	v_cvt_f32_i32_e32 v160, v172
	v_pk_fma_f32 v[170:171], v[170:171], v[168:169], v[130:131] neg_lo:[0,0,1] neg_hi:[0,0,1]
	v_mov_b32_e32 v172, 0
	v_cvt_f32_i32_e32 v161, v3
	v_mov_b32_e32 v3, 0
	v_pk_fma_f32 v[26:27], v[126:127], v[170:171], v[26:27] op_sel_hi:[0,1,1]
	v_mov_b32_e32 v170, 0
	v_pk_fma_f32 v[130:131], v[160:161], v[168:169], v[130:131] neg_lo:[0,0,1] neg_hi:[0,0,1]
	v_pk_fma_f32 v[24:25], v[128:129], v[130:131], v[24:25] op_sel_hi:[0,1,1]
	ds_read_b128 v[160:163], v121 offset:4096
	ds_read_b128 v[164:167], v121 offset:4112
	ds_read2_b32 v[130:131], v117 offset0:128 offset1:160
	v_add_u32_e32 v132, 4, v132
	s_cmp_lt_u32 s1, 28
	s_waitcnt lgkmcnt(2)
	v_dot4c_i32_i8_e32 v3, v133, v160
	v_dot4c_i32_i8_e32 v7, v135, v160
	v_dot4c_i32_i8_e32 v159, v145, v160
	v_dot4c_i32_i8_e32 v172, v153, v160
	s_waitcnt lgkmcnt(1)
	v_dot4c_i32_i8_e32 v3, v134, v164
	v_dot4c_i32_i8_e32 v7, v137, v164
	;; [unrolled: 1-line block ×28, first 2 shown]
	ds_read_b128 v[160:163], v121 offset:5120
	ds_read_b128 v[164:167], v121 offset:5136
	s_waitcnt lgkmcnt(2)
	v_cvt_f32_f16_e32 v169, v131
	v_cvt_f32_f16_e32 v168, v130
	v_cvt_f32_f16_sdwa v131, v131 dst_sel:DWORD dst_unused:UNUSED_PAD src0_sel:WORD_1
	s_waitcnt lgkmcnt(1)
	v_dot4c_i32_i8_e32 v170, v133, v160
	s_waitcnt lgkmcnt(0)
	v_dot4c_i32_i8_e32 v170, v134, v164
	v_dot4c_i32_i8_e32 v170, v136, v161
	;; [unrolled: 1-line block ×7, first 2 shown]
	v_cvt_f32_f16_sdwa v130, v130 dst_sel:DWORD dst_unused:UNUSED_PAD src0_sel:WORD_1
	v_pk_mul_f32 v[130:131], v[130:131], s[4:5] op_sel_hi:[1,0]
	s_nop 0
	v_cvt_f32_i32_e32 v171, v170
	v_cvt_f32_i32_e32 v170, v3
	v_mov_b32_e32 v3, 0
	v_dot4c_i32_i8_e32 v3, v135, v160
	v_dot4c_i32_i8_e32 v3, v137, v164
	;; [unrolled: 1-line block ×7, first 2 shown]
	v_pk_fma_f32 v[170:171], v[170:171], v[168:169], v[130:131] neg_lo:[0,0,1] neg_hi:[0,0,1]
	v_dot4c_i32_i8_e32 v3, v150, v167
	v_pk_fma_f32 v[22:23], v[122:123], v[170:171], v[22:23] op_sel_hi:[0,1,1]
	v_cvt_f32_i32_e32 v170, v7
	v_mov_b32_e32 v7, 0
	v_cvt_f32_i32_e32 v171, v3
	v_mov_b32_e32 v3, 0
	v_dot4c_i32_i8_e32 v3, v145, v160
	v_dot4c_i32_i8_e32 v3, v146, v164
	;; [unrolled: 1-line block ×7, first 2 shown]
	v_pk_fma_f32 v[170:171], v[170:171], v[168:169], v[130:131] neg_lo:[0,0,1] neg_hi:[0,0,1]
	v_dot4c_i32_i8_e32 v3, v158, v167
	v_pk_fma_f32 v[20:21], v[124:125], v[170:171], v[20:21] op_sel_hi:[0,1,1]
	v_cvt_f32_i32_e32 v170, v159
	v_mov_b32_e32 v159, 0
	v_cvt_f32_i32_e32 v171, v3
	v_mov_b32_e32 v3, 0
	v_dot4c_i32_i8_e32 v3, v153, v160
	v_dot4c_i32_i8_e32 v3, v154, v164
	v_dot4c_i32_i8_e32 v3, v0, v161
	v_dot4c_i32_i8_e32 v3, v4, v165
	v_dot4c_i32_i8_e32 v3, v1, v162
	v_dot4c_i32_i8_e32 v3, v5, v166
	v_dot4c_i32_i8_e32 v3, v2, v163
	v_dot4c_i32_i8_e32 v3, v6, v167
	v_cvt_f32_i32_e32 v160, v172
	v_pk_fma_f32 v[170:171], v[170:171], v[168:169], v[130:131] neg_lo:[0,0,1] neg_hi:[0,0,1]
	v_pk_fma_f32 v[18:19], v[126:127], v[170:171], v[18:19] op_sel_hi:[0,1,1]
	v_cvt_f32_i32_e32 v161, v3
	v_mov_b32_e32 v3, 0
	v_pk_fma_f32 v[130:131], v[160:161], v[168:169], v[130:131] neg_lo:[0,0,1] neg_hi:[0,0,1]
	v_pk_fma_f32 v[16:17], v[128:129], v[130:131], v[16:17] op_sel_hi:[0,1,1]
	ds_read_b128 v[160:163], v121 offset:6144
	ds_read_b128 v[164:167], v121 offset:6160
	ds_read2_b32 v[130:131], v117 offset0:192 offset1:224
	v_mov_b32_e32 v168, 0
	v_mov_b32_e32 v169, 0
	s_waitcnt lgkmcnt(2)
	v_dot4c_i32_i8_e32 v3, v133, v160
	v_dot4c_i32_i8_e32 v7, v135, v160
	;; [unrolled: 1-line block ×4, first 2 shown]
	s_waitcnt lgkmcnt(1)
	v_dot4c_i32_i8_e32 v3, v134, v164
	v_dot4c_i32_i8_e32 v7, v137, v164
	;; [unrolled: 1-line block ×28, first 2 shown]
	ds_read_b128 v[160:163], v121 offset:7168
	ds_read_b128 v[164:167], v121 offset:7184
	v_add_u32_e32 v121, 32, v121
	v_add_u32_e32 v117, 4, v117
	s_waitcnt lgkmcnt(1)
	v_dot4c_i32_i8_e32 v169, v133, v160
	s_waitcnt lgkmcnt(0)
	v_dot4c_i32_i8_e32 v169, v134, v164
	v_dot4c_i32_i8_e32 v169, v136, v161
	;; [unrolled: 1-line block ×5, first 2 shown]
	v_cvt_f32_i32_e32 v140, v3
	v_mov_b32_e32 v3, 0
	v_dot4c_i32_i8_e32 v3, v135, v160
	v_dot4c_i32_i8_e32 v3, v137, v164
	;; [unrolled: 1-line block ×8, first 2 shown]
	v_cvt_f32_f16_e32 v139, v131
	v_cvt_f32_f16_e32 v138, v130
	v_cvt_f32_f16_sdwa v131, v131 dst_sel:DWORD dst_unused:UNUSED_PAD src0_sel:WORD_1
	v_cvt_f32_i32_e32 v135, v3
	v_mov_b32_e32 v3, 0
	v_dot4c_i32_i8_e32 v3, v145, v160
	v_dot4c_i32_i8_e32 v3, v146, v164
	v_cvt_f32_f16_sdwa v130, v130 dst_sel:DWORD dst_unused:UNUSED_PAD src0_sel:WORD_1
	v_dot4c_i32_i8_e32 v3, v151, v161
	v_cvt_f32_i32_e32 v134, v7
	v_dot4c_i32_i8_e32 v3, v152, v165
	v_dot4c_i32_i8_e32 v3, v155, v162
	;; [unrolled: 1-line block ×3, first 2 shown]
	v_pk_mul_f32 v[130:131], v[130:131], s[4:5] op_sel_hi:[1,0]
	v_dot4c_i32_i8_e32 v3, v157, v163
	v_pk_fma_f32 v[134:135], v[134:135], v[138:139], v[130:131] neg_lo:[0,0,1] neg_hi:[0,0,1]
	v_dot4c_i32_i8_e32 v3, v158, v167
	v_pk_fma_f32 v[12:13], v[124:125], v[134:135], v[12:13] op_sel_hi:[0,1,1]
	v_dot4c_i32_i8_e32 v169, v141, v163
	v_dot4c_i32_i8_e32 v169, v143, v167
	v_cvt_f32_i32_e32 v135, v3
	v_mov_b32_e32 v3, 0
	v_dot4c_i32_i8_e32 v3, v153, v160
	v_dot4c_i32_i8_e32 v3, v154, v164
	;; [unrolled: 1-line block ×8, first 2 shown]
	v_cvt_f32_i32_e32 v141, v169
	v_cvt_f32_i32_e32 v134, v159
	;; [unrolled: 1-line block ×4, first 2 shown]
	v_pk_fma_f32 v[140:141], v[140:141], v[138:139], v[130:131] neg_lo:[0,0,1] neg_hi:[0,0,1]
	v_pk_fma_f32 v[134:135], v[134:135], v[138:139], v[130:131] neg_lo:[0,0,1] neg_hi:[0,0,1]
	v_pk_fma_f32 v[14:15], v[122:123], v[140:141], v[14:15] op_sel_hi:[0,1,1]
	v_pk_fma_f32 v[0:1], v[0:1], v[138:139], v[130:131] neg_lo:[0,0,1] neg_hi:[0,0,1]
	v_pk_fma_f32 v[10:11], v[126:127], v[134:135], v[10:11] op_sel_hi:[0,1,1]
	v_pk_fma_f32 v[8:9], v[128:129], v[0:1], v[8:9] op_sel_hi:[0,1,1]
	v_add_u32_e32 v129, 4, v129
	v_add_u32_e32 v127, 4, v127
	v_add_u32_e32 v125, 4, v125
	v_add_u32_e32 v123, 16, v123
	s_cbranch_scc1 .LBB118_10
; %bb.11:                               ;   in Loop: Header=BB118_6 Depth=1
	s_barrier
	s_branch .LBB118_5
.LBB118_12:
	v_mov_b32_e32 v1, v35
.LBB118_13:
	v_cmp_gt_u32_e32 vcc, s10, v37
	s_and_saveexec_b64 s[0:1], vcc
	s_cbranch_execz .LBB118_64
; %bb.14:
	v_add_u32_e32 v0, s6, v33
	v_mul_lo_u32 v5, v37, s14
	v_cmp_gt_u32_e32 vcc, s14, v0
	s_and_saveexec_b64 s[2:3], vcc
	s_cbranch_execz .LBB118_16
; %bb.15:
	v_add_u32_e32 v2, v0, v5
	v_mov_b32_e32 v3, 0
	v_lshlrev_b64 v[2:3], 2, v[2:3]
	s_waitcnt lgkmcnt(0)
	v_mov_b32_e32 v4, s13
	v_add_co_u32_e64 v2, s[0:1], s12, v2
	v_addc_co_u32_e64 v3, s[0:1], v4, v3, s[0:1]
	global_store_dword v[2:3], v90, off
.LBB118_16:
	s_or_b64 exec, exec, s[2:3]
	v_add_u32_e32 v2, 32, v0
	v_cmp_gt_u32_e64 s[0:1], s14, v2
	s_and_saveexec_b64 s[4:5], s[0:1]
	s_cbranch_execz .LBB118_18
; %bb.17:
	v_add_u32_e32 v6, v2, v5
	v_mov_b32_e32 v7, 0
	v_lshlrev_b64 v[6:7], 2, v[6:7]
	s_waitcnt lgkmcnt(0)
	v_mov_b32_e32 v3, s13
	v_add_co_u32_e64 v6, s[2:3], s12, v6
	v_addc_co_u32_e64 v7, s[2:3], v3, v7, s[2:3]
	global_store_dword v[6:7], v78, off
.LBB118_18:
	s_or_b64 exec, exec, s[4:5]
	v_add_u32_e32 v3, 64, v0
	v_cmp_gt_u32_e64 s[2:3], s14, v3
	s_and_saveexec_b64 s[6:7], s[2:3]
	s_cbranch_execz .LBB118_20
; %bb.19:
	v_add_u32_e32 v6, v3, v5
	v_mov_b32_e32 v7, 0
	v_lshlrev_b64 v[6:7], 2, v[6:7]
	s_waitcnt lgkmcnt(0)
	v_mov_b32_e32 v4, s13
	v_add_co_u32_e64 v6, s[4:5], s12, v6
	v_addc_co_u32_e64 v7, s[4:5], v4, v7, s[4:5]
	global_store_dword v[6:7], v60, off
.LBB118_20:
	s_or_b64 exec, exec, s[6:7]
	v_add_u32_e32 v4, 0x60, v0
	v_cmp_gt_u32_e64 s[4:5], s14, v4
	s_and_saveexec_b64 s[8:9], s[4:5]
	s_cbranch_execz .LBB118_22
; %bb.21:
	v_add_u32_e32 v6, v4, v5
	v_mov_b32_e32 v7, 0
	v_lshlrev_b64 v[6:7], 2, v[6:7]
	s_waitcnt lgkmcnt(0)
	v_mov_b32_e32 v5, s13
	v_add_co_u32_e64 v6, s[6:7], s12, v6
	v_addc_co_u32_e64 v7, s[6:7], v5, v7, s[6:7]
	global_store_dword v[6:7], v42, off
.LBB118_22:
	s_or_b64 exec, exec, s[8:9]
	v_add3_u32 v5, v1, s15, 8
	v_cmp_gt_u32_e64 s[6:7], s10, v5
	s_and_b64 exec, exec, s[6:7]
	s_cbranch_execz .LBB118_64
; %bb.23:
	v_mul_lo_u32 v5, v5, s14
	s_and_saveexec_b64 s[8:9], vcc
	s_cbranch_execnz .LBB118_65
; %bb.24:
	s_or_b64 exec, exec, s[8:9]
	s_and_saveexec_b64 s[8:9], s[0:1]
	s_cbranch_execnz .LBB118_66
.LBB118_25:
	s_or_b64 exec, exec, s[8:9]
	s_and_saveexec_b64 s[8:9], s[2:3]
	s_cbranch_execnz .LBB118_67
.LBB118_26:
	s_or_b64 exec, exec, s[8:9]
	s_and_saveexec_b64 s[8:9], s[4:5]
	s_cbranch_execz .LBB118_28
.LBB118_27:
	v_add_u32_e32 v6, v5, v4
	v_mov_b32_e32 v7, 0
	v_lshlrev_b64 v[6:7], 2, v[6:7]
	s_waitcnt lgkmcnt(0)
	v_mov_b32_e32 v5, s13
	v_add_co_u32_e64 v6, s[6:7], s12, v6
	v_addc_co_u32_e64 v7, s[6:7], v5, v7, s[6:7]
	global_store_dword v[6:7], v43, off
.LBB118_28:
	s_or_b64 exec, exec, s[8:9]
	v_add3_u32 v5, v1, s15, 16
	v_cmp_gt_u32_e64 s[6:7], s10, v5
	s_and_b64 exec, exec, s[6:7]
	s_cbranch_execz .LBB118_64
; %bb.29:
	v_mul_lo_u32 v5, v5, s14
	s_and_saveexec_b64 s[8:9], vcc
	s_cbranch_execnz .LBB118_68
; %bb.30:
	s_or_b64 exec, exec, s[8:9]
	s_and_saveexec_b64 s[8:9], s[0:1]
	s_cbranch_execnz .LBB118_69
.LBB118_31:
	s_or_b64 exec, exec, s[8:9]
	s_and_saveexec_b64 s[8:9], s[2:3]
	s_cbranch_execnz .LBB118_70
.LBB118_32:
	s_or_b64 exec, exec, s[8:9]
	s_and_saveexec_b64 s[8:9], s[4:5]
	s_cbranch_execz .LBB118_34
.LBB118_33:
	v_add_u32_e32 v6, v5, v4
	v_mov_b32_e32 v7, 0
	v_lshlrev_b64 v[6:7], 2, v[6:7]
	s_waitcnt lgkmcnt(0)
	v_mov_b32_e32 v5, s13
	v_add_co_u32_e64 v6, s[6:7], s12, v6
	v_addc_co_u32_e64 v7, s[6:7], v5, v7, s[6:7]
	global_store_dword v[6:7], v24, off
.LBB118_34:
	s_or_b64 exec, exec, s[8:9]
	v_add3_u32 v5, v1, s15, 24
	v_cmp_gt_u32_e64 s[6:7], s10, v5
	s_and_b64 exec, exec, s[6:7]
	s_cbranch_execz .LBB118_64
; %bb.35:
	v_mul_lo_u32 v5, v5, s14
	s_and_saveexec_b64 s[8:9], vcc
	s_cbranch_execnz .LBB118_71
; %bb.36:
	s_or_b64 exec, exec, s[8:9]
	s_and_saveexec_b64 s[8:9], s[0:1]
	s_cbranch_execnz .LBB118_72
.LBB118_37:
	s_or_b64 exec, exec, s[8:9]
	s_and_saveexec_b64 s[8:9], s[2:3]
	s_cbranch_execnz .LBB118_73
.LBB118_38:
	s_or_b64 exec, exec, s[8:9]
	s_and_saveexec_b64 s[8:9], s[4:5]
	s_cbranch_execz .LBB118_40
.LBB118_39:
	v_add_u32_e32 v6, v5, v4
	v_mov_b32_e32 v7, 0
	v_lshlrev_b64 v[6:7], 2, v[6:7]
	s_waitcnt lgkmcnt(0)
	v_mov_b32_e32 v5, s13
	v_add_co_u32_e64 v6, s[6:7], s12, v6
	v_addc_co_u32_e64 v7, s[6:7], v5, v7, s[6:7]
	global_store_dword v[6:7], v25, off
.LBB118_40:
	s_or_b64 exec, exec, s[8:9]
	v_add3_u32 v5, v1, s15, 32
	v_cmp_gt_u32_e64 s[6:7], s10, v5
	s_and_b64 exec, exec, s[6:7]
	s_cbranch_execz .LBB118_64
; %bb.41:
	v_mul_lo_u32 v5, v5, s14
	s_and_saveexec_b64 s[8:9], vcc
	s_cbranch_execnz .LBB118_74
; %bb.42:
	s_or_b64 exec, exec, s[8:9]
	s_and_saveexec_b64 s[8:9], s[0:1]
	s_cbranch_execnz .LBB118_75
.LBB118_43:
	s_or_b64 exec, exec, s[8:9]
	s_and_saveexec_b64 s[8:9], s[2:3]
	s_cbranch_execnz .LBB118_76
.LBB118_44:
	s_or_b64 exec, exec, s[8:9]
	s_and_saveexec_b64 s[8:9], s[4:5]
	s_cbranch_execz .LBB118_46
.LBB118_45:
	v_add_u32_e32 v6, v5, v4
	v_mov_b32_e32 v7, 0
	v_lshlrev_b64 v[6:7], 2, v[6:7]
	s_waitcnt lgkmcnt(0)
	v_mov_b32_e32 v5, s13
	v_add_co_u32_e64 v6, s[6:7], s12, v6
	v_addc_co_u32_e64 v7, s[6:7], v5, v7, s[6:7]
	global_store_dword v[6:7], v16, off
.LBB118_46:
	s_or_b64 exec, exec, s[8:9]
	v_add3_u32 v5, v1, s15, 40
	v_cmp_gt_u32_e64 s[6:7], s10, v5
	s_and_b64 exec, exec, s[6:7]
	s_cbranch_execz .LBB118_64
; %bb.47:
	v_mul_lo_u32 v5, v5, s14
	s_and_saveexec_b64 s[8:9], vcc
	s_cbranch_execnz .LBB118_77
; %bb.48:
	s_or_b64 exec, exec, s[8:9]
	s_and_saveexec_b64 s[8:9], s[0:1]
	s_cbranch_execnz .LBB118_78
.LBB118_49:
	s_or_b64 exec, exec, s[8:9]
	s_and_saveexec_b64 s[8:9], s[2:3]
	s_cbranch_execnz .LBB118_79
.LBB118_50:
	s_or_b64 exec, exec, s[8:9]
	s_and_saveexec_b64 s[8:9], s[4:5]
	s_cbranch_execz .LBB118_52
.LBB118_51:
	v_add_u32_e32 v6, v5, v4
	v_mov_b32_e32 v7, 0
	v_lshlrev_b64 v[6:7], 2, v[6:7]
	s_waitcnt lgkmcnt(0)
	v_mov_b32_e32 v5, s13
	v_add_co_u32_e64 v6, s[6:7], s12, v6
	v_addc_co_u32_e64 v7, s[6:7], v5, v7, s[6:7]
	global_store_dword v[6:7], v17, off
.LBB118_52:
	s_or_b64 exec, exec, s[8:9]
	v_add3_u32 v5, v1, s15, 48
	v_cmp_gt_u32_e64 s[6:7], s10, v5
	s_and_b64 exec, exec, s[6:7]
	s_cbranch_execz .LBB118_64
; %bb.53:
	v_mul_lo_u32 v5, v5, s14
	s_and_saveexec_b64 s[8:9], vcc
	s_cbranch_execnz .LBB118_80
; %bb.54:
	s_or_b64 exec, exec, s[8:9]
	s_and_saveexec_b64 s[8:9], s[0:1]
	s_cbranch_execnz .LBB118_81
.LBB118_55:
	s_or_b64 exec, exec, s[8:9]
	s_and_saveexec_b64 s[8:9], s[2:3]
	s_cbranch_execnz .LBB118_82
.LBB118_56:
	s_or_b64 exec, exec, s[8:9]
	s_and_saveexec_b64 s[8:9], s[4:5]
	s_cbranch_execz .LBB118_58
.LBB118_57:
	v_add_u32_e32 v6, v5, v4
	v_mov_b32_e32 v7, 0
	v_lshlrev_b64 v[6:7], 2, v[6:7]
	s_waitcnt lgkmcnt(0)
	v_mov_b32_e32 v5, s13
	v_add_co_u32_e64 v6, s[6:7], s12, v6
	v_addc_co_u32_e64 v7, s[6:7], v5, v7, s[6:7]
	global_store_dword v[6:7], v8, off
.LBB118_58:
	s_or_b64 exec, exec, s[8:9]
	v_add3_u32 v1, v1, s15, 56
	v_cmp_gt_u32_e64 s[6:7], s10, v1
	s_and_b64 exec, exec, s[6:7]
	s_cbranch_execz .LBB118_64
; %bb.59:
	v_mul_lo_u32 v1, v1, s14
	s_and_saveexec_b64 s[6:7], vcc
	s_cbranch_execnz .LBB118_83
; %bb.60:
	s_or_b64 exec, exec, s[6:7]
	s_and_saveexec_b64 s[6:7], s[0:1]
	s_cbranch_execnz .LBB118_84
.LBB118_61:
	s_or_b64 exec, exec, s[6:7]
	s_and_saveexec_b64 s[0:1], s[2:3]
	s_cbranch_execnz .LBB118_85
.LBB118_62:
	s_or_b64 exec, exec, s[0:1]
	s_and_b64 exec, exec, s[4:5]
	s_cbranch_execz .LBB118_64
.LBB118_63:
	v_add_u32_e32 v0, v1, v4
	v_mov_b32_e32 v1, 0
	v_lshlrev_b64 v[0:1], 2, v[0:1]
	s_waitcnt lgkmcnt(0)
	v_mov_b32_e32 v2, s13
	v_add_co_u32_e32 v0, vcc, s12, v0
	v_addc_co_u32_e32 v1, vcc, v2, v1, vcc
	global_store_dword v[0:1], v9, off
.LBB118_64:
	s_endpgm
.LBB118_65:
	v_add_u32_e32 v6, v5, v0
	v_mov_b32_e32 v7, 0
	v_lshlrev_b64 v[6:7], 2, v[6:7]
	s_waitcnt lgkmcnt(0)
	v_mov_b32_e32 v32, s13
	v_add_co_u32_e64 v6, s[6:7], s12, v6
	v_addc_co_u32_e64 v7, s[6:7], v32, v7, s[6:7]
	global_store_dword v[6:7], v91, off
	s_or_b64 exec, exec, s[8:9]
	s_and_saveexec_b64 s[8:9], s[0:1]
	s_cbranch_execz .LBB118_25
.LBB118_66:
	v_add_u32_e32 v6, v5, v2
	v_mov_b32_e32 v7, 0
	v_lshlrev_b64 v[6:7], 2, v[6:7]
	s_waitcnt lgkmcnt(0)
	v_mov_b32_e32 v32, s13
	v_add_co_u32_e64 v6, s[6:7], s12, v6
	v_addc_co_u32_e64 v7, s[6:7], v32, v7, s[6:7]
	global_store_dword v[6:7], v79, off
	s_or_b64 exec, exec, s[8:9]
	s_and_saveexec_b64 s[8:9], s[2:3]
	s_cbranch_execz .LBB118_26
.LBB118_67:
	v_add_u32_e32 v6, v5, v3
	v_mov_b32_e32 v7, 0
	v_lshlrev_b64 v[6:7], 2, v[6:7]
	s_waitcnt lgkmcnt(0)
	v_mov_b32_e32 v32, s13
	v_add_co_u32_e64 v6, s[6:7], s12, v6
	v_addc_co_u32_e64 v7, s[6:7], v32, v7, s[6:7]
	global_store_dword v[6:7], v61, off
	s_or_b64 exec, exec, s[8:9]
	s_and_saveexec_b64 s[8:9], s[4:5]
	s_cbranch_execnz .LBB118_27
	s_branch .LBB118_28
.LBB118_68:
	v_add_u32_e32 v6, v5, v0
	v_mov_b32_e32 v7, 0
	v_lshlrev_b64 v[6:7], 2, v[6:7]
	s_waitcnt lgkmcnt(0)
	v_mov_b32_e32 v32, s13
	v_add_co_u32_e64 v6, s[6:7], s12, v6
	v_addc_co_u32_e64 v7, s[6:7], v32, v7, s[6:7]
	global_store_dword v[6:7], v30, off
	s_or_b64 exec, exec, s[8:9]
	s_and_saveexec_b64 s[8:9], s[0:1]
	s_cbranch_execz .LBB118_31
.LBB118_69:
	v_add_u32_e32 v6, v5, v2
	v_mov_b32_e32 v7, 0
	v_lshlrev_b64 v[6:7], 2, v[6:7]
	s_waitcnt lgkmcnt(0)
	v_mov_b32_e32 v30, s13
	v_add_co_u32_e64 v6, s[6:7], s12, v6
	v_addc_co_u32_e64 v7, s[6:7], v30, v7, s[6:7]
	global_store_dword v[6:7], v28, off
	s_or_b64 exec, exec, s[8:9]
	s_and_saveexec_b64 s[8:9], s[2:3]
	s_cbranch_execz .LBB118_32
.LBB118_70:
	v_add_u32_e32 v6, v5, v3
	v_mov_b32_e32 v7, 0
	v_lshlrev_b64 v[6:7], 2, v[6:7]
	s_waitcnt lgkmcnt(0)
	v_mov_b32_e32 v28, s13
	v_add_co_u32_e64 v6, s[6:7], s12, v6
	v_addc_co_u32_e64 v7, s[6:7], v28, v7, s[6:7]
	global_store_dword v[6:7], v26, off
	s_or_b64 exec, exec, s[8:9]
	s_and_saveexec_b64 s[8:9], s[4:5]
	s_cbranch_execnz .LBB118_33
	s_branch .LBB118_34
.LBB118_71:
	v_add_u32_e32 v6, v5, v0
	v_mov_b32_e32 v7, 0
	v_lshlrev_b64 v[6:7], 2, v[6:7]
	s_waitcnt lgkmcnt(0)
	v_mov_b32_e32 v24, s13
	v_add_co_u32_e64 v6, s[6:7], s12, v6
	v_addc_co_u32_e64 v7, s[6:7], v24, v7, s[6:7]
	global_store_dword v[6:7], v31, off
	s_or_b64 exec, exec, s[8:9]
	s_and_saveexec_b64 s[8:9], s[0:1]
	s_cbranch_execz .LBB118_37
.LBB118_72:
	v_add_u32_e32 v6, v5, v2
	v_mov_b32_e32 v7, 0
	v_lshlrev_b64 v[6:7], 2, v[6:7]
	s_waitcnt lgkmcnt(0)
	v_mov_b32_e32 v24, s13
	v_add_co_u32_e64 v6, s[6:7], s12, v6
	v_addc_co_u32_e64 v7, s[6:7], v24, v7, s[6:7]
	global_store_dword v[6:7], v29, off
	s_or_b64 exec, exec, s[8:9]
	s_and_saveexec_b64 s[8:9], s[2:3]
	s_cbranch_execz .LBB118_38
.LBB118_73:
	v_add_u32_e32 v6, v5, v3
	v_mov_b32_e32 v7, 0
	v_lshlrev_b64 v[6:7], 2, v[6:7]
	s_waitcnt lgkmcnt(0)
	v_mov_b32_e32 v24, s13
	v_add_co_u32_e64 v6, s[6:7], s12, v6
	v_addc_co_u32_e64 v7, s[6:7], v24, v7, s[6:7]
	global_store_dword v[6:7], v27, off
	s_or_b64 exec, exec, s[8:9]
	s_and_saveexec_b64 s[8:9], s[4:5]
	s_cbranch_execnz .LBB118_39
	s_branch .LBB118_40
.LBB118_74:
	v_add_u32_e32 v6, v5, v0
	v_mov_b32_e32 v7, 0
	v_lshlrev_b64 v[6:7], 2, v[6:7]
	s_waitcnt lgkmcnt(0)
	v_mov_b32_e32 v24, s13
	v_add_co_u32_e64 v6, s[6:7], s12, v6
	v_addc_co_u32_e64 v7, s[6:7], v24, v7, s[6:7]
	global_store_dword v[6:7], v22, off
	s_or_b64 exec, exec, s[8:9]
	s_and_saveexec_b64 s[8:9], s[0:1]
	s_cbranch_execz .LBB118_43
.LBB118_75:
	v_add_u32_e32 v6, v5, v2
	v_mov_b32_e32 v7, 0
	v_lshlrev_b64 v[6:7], 2, v[6:7]
	s_waitcnt lgkmcnt(0)
	v_mov_b32_e32 v22, s13
	v_add_co_u32_e64 v6, s[6:7], s12, v6
	v_addc_co_u32_e64 v7, s[6:7], v22, v7, s[6:7]
	global_store_dword v[6:7], v20, off
	s_or_b64 exec, exec, s[8:9]
	s_and_saveexec_b64 s[8:9], s[2:3]
	s_cbranch_execz .LBB118_44
.LBB118_76:
	v_add_u32_e32 v6, v5, v3
	v_mov_b32_e32 v7, 0
	v_lshlrev_b64 v[6:7], 2, v[6:7]
	s_waitcnt lgkmcnt(0)
	v_mov_b32_e32 v20, s13
	v_add_co_u32_e64 v6, s[6:7], s12, v6
	v_addc_co_u32_e64 v7, s[6:7], v20, v7, s[6:7]
	global_store_dword v[6:7], v18, off
	s_or_b64 exec, exec, s[8:9]
	s_and_saveexec_b64 s[8:9], s[4:5]
	s_cbranch_execnz .LBB118_45
	s_branch .LBB118_46
.LBB118_77:
	v_add_u32_e32 v6, v5, v0
	v_mov_b32_e32 v7, 0
	v_lshlrev_b64 v[6:7], 2, v[6:7]
	s_waitcnt lgkmcnt(0)
	v_mov_b32_e32 v16, s13
	v_add_co_u32_e64 v6, s[6:7], s12, v6
	v_addc_co_u32_e64 v7, s[6:7], v16, v7, s[6:7]
	global_store_dword v[6:7], v23, off
	s_or_b64 exec, exec, s[8:9]
	s_and_saveexec_b64 s[8:9], s[0:1]
	s_cbranch_execz .LBB118_49
.LBB118_78:
	v_add_u32_e32 v6, v5, v2
	v_mov_b32_e32 v7, 0
	v_lshlrev_b64 v[6:7], 2, v[6:7]
	s_waitcnt lgkmcnt(0)
	v_mov_b32_e32 v16, s13
	v_add_co_u32_e64 v6, s[6:7], s12, v6
	v_addc_co_u32_e64 v7, s[6:7], v16, v7, s[6:7]
	global_store_dword v[6:7], v21, off
	s_or_b64 exec, exec, s[8:9]
	s_and_saveexec_b64 s[8:9], s[2:3]
	s_cbranch_execz .LBB118_50
.LBB118_79:
	v_add_u32_e32 v6, v5, v3
	v_mov_b32_e32 v7, 0
	v_lshlrev_b64 v[6:7], 2, v[6:7]
	s_waitcnt lgkmcnt(0)
	v_mov_b32_e32 v16, s13
	v_add_co_u32_e64 v6, s[6:7], s12, v6
	v_addc_co_u32_e64 v7, s[6:7], v16, v7, s[6:7]
	global_store_dword v[6:7], v19, off
	s_or_b64 exec, exec, s[8:9]
	s_and_saveexec_b64 s[8:9], s[4:5]
	s_cbranch_execnz .LBB118_51
	s_branch .LBB118_52
.LBB118_80:
	v_add_u32_e32 v6, v5, v0
	v_mov_b32_e32 v7, 0
	v_lshlrev_b64 v[6:7], 2, v[6:7]
	s_waitcnt lgkmcnt(0)
	v_mov_b32_e32 v16, s13
	v_add_co_u32_e64 v6, s[6:7], s12, v6
	v_addc_co_u32_e64 v7, s[6:7], v16, v7, s[6:7]
	global_store_dword v[6:7], v14, off
	s_or_b64 exec, exec, s[8:9]
	s_and_saveexec_b64 s[8:9], s[0:1]
	s_cbranch_execz .LBB118_55
.LBB118_81:
	v_add_u32_e32 v6, v5, v2
	v_mov_b32_e32 v7, 0
	v_lshlrev_b64 v[6:7], 2, v[6:7]
	s_waitcnt lgkmcnt(0)
	v_mov_b32_e32 v14, s13
	v_add_co_u32_e64 v6, s[6:7], s12, v6
	v_addc_co_u32_e64 v7, s[6:7], v14, v7, s[6:7]
	global_store_dword v[6:7], v12, off
	s_or_b64 exec, exec, s[8:9]
	s_and_saveexec_b64 s[8:9], s[2:3]
	s_cbranch_execz .LBB118_56
.LBB118_82:
	v_add_u32_e32 v6, v5, v3
	v_mov_b32_e32 v7, 0
	v_lshlrev_b64 v[6:7], 2, v[6:7]
	s_waitcnt lgkmcnt(0)
	v_mov_b32_e32 v12, s13
	v_add_co_u32_e64 v6, s[6:7], s12, v6
	v_addc_co_u32_e64 v7, s[6:7], v12, v7, s[6:7]
	global_store_dword v[6:7], v10, off
	s_or_b64 exec, exec, s[8:9]
	s_and_saveexec_b64 s[8:9], s[4:5]
	s_cbranch_execnz .LBB118_57
	s_branch .LBB118_58
.LBB118_83:
	v_add_u32_e32 v6, v1, v0
	v_mov_b32_e32 v7, 0
	v_lshlrev_b64 v[6:7], 2, v[6:7]
	s_waitcnt lgkmcnt(0)
	v_mov_b32_e32 v0, s13
	v_add_co_u32_e32 v6, vcc, s12, v6
	v_addc_co_u32_e32 v7, vcc, v0, v7, vcc
	global_store_dword v[6:7], v15, off
	s_or_b64 exec, exec, s[6:7]
	s_and_saveexec_b64 s[6:7], s[0:1]
	s_cbranch_execz .LBB118_61
.LBB118_84:
	v_add_u32_e32 v6, v1, v2
	v_mov_b32_e32 v7, 0
	v_lshlrev_b64 v[6:7], 2, v[6:7]
	s_waitcnt lgkmcnt(0)
	v_mov_b32_e32 v0, s13
	v_add_co_u32_e32 v6, vcc, s12, v6
	v_addc_co_u32_e32 v7, vcc, v0, v7, vcc
	global_store_dword v[6:7], v13, off
	s_or_b64 exec, exec, s[6:7]
	s_and_saveexec_b64 s[0:1], s[2:3]
	s_cbranch_execz .LBB118_62
.LBB118_85:
	v_add_u32_e32 v2, v1, v3
	v_mov_b32_e32 v3, 0
	v_lshlrev_b64 v[2:3], 2, v[2:3]
	s_waitcnt lgkmcnt(0)
	v_mov_b32_e32 v0, s13
	v_add_co_u32_e32 v2, vcc, s12, v2
	v_addc_co_u32_e32 v3, vcc, v0, v3, vcc
	global_store_dword v[2:3], v11, off
	s_or_b64 exec, exec, s[0:1]
	s_and_b64 exec, exec, s[4:5]
	s_cbranch_execnz .LBB118_63
	s_branch .LBB118_64
	.section	.rodata,"a",@progbits
	.p2align	6, 0x0
	.amdhsa_kernel _ZL12mul_mat_q4_0IfLb1EEvPKvS1_PT_iiiii
		.amdhsa_group_segment_fixed_size 30336
		.amdhsa_private_segment_fixed_size 0
		.amdhsa_kernarg_size 44
		.amdhsa_user_sgpr_count 6
		.amdhsa_user_sgpr_private_segment_buffer 1
		.amdhsa_user_sgpr_dispatch_ptr 0
		.amdhsa_user_sgpr_queue_ptr 0
		.amdhsa_user_sgpr_kernarg_segment_ptr 1
		.amdhsa_user_sgpr_dispatch_id 0
		.amdhsa_user_sgpr_flat_scratch_init 0
		.amdhsa_user_sgpr_kernarg_preload_length 0
		.amdhsa_user_sgpr_kernarg_preload_offset 0
		.amdhsa_user_sgpr_private_segment_size 0
		.amdhsa_uses_dynamic_stack 0
		.amdhsa_system_sgpr_private_segment_wavefront_offset 0
		.amdhsa_system_sgpr_workgroup_id_x 1
		.amdhsa_system_sgpr_workgroup_id_y 1
		.amdhsa_system_sgpr_workgroup_id_z 0
		.amdhsa_system_sgpr_workgroup_info 0
		.amdhsa_system_vgpr_workitem_id 1
		.amdhsa_next_free_vgpr 175
		.amdhsa_next_free_sgpr 20
		.amdhsa_accum_offset 176
		.amdhsa_reserve_vcc 1
		.amdhsa_reserve_flat_scratch 0
		.amdhsa_float_round_mode_32 0
		.amdhsa_float_round_mode_16_64 0
		.amdhsa_float_denorm_mode_32 3
		.amdhsa_float_denorm_mode_16_64 3
		.amdhsa_dx10_clamp 1
		.amdhsa_ieee_mode 1
		.amdhsa_fp16_overflow 0
		.amdhsa_tg_split 0
		.amdhsa_exception_fp_ieee_invalid_op 0
		.amdhsa_exception_fp_denorm_src 0
		.amdhsa_exception_fp_ieee_div_zero 0
		.amdhsa_exception_fp_ieee_overflow 0
		.amdhsa_exception_fp_ieee_underflow 0
		.amdhsa_exception_fp_ieee_inexact 0
		.amdhsa_exception_int_div_zero 0
	.end_amdhsa_kernel
	.section	.text._ZL12mul_mat_q4_0IfLb1EEvPKvS1_PT_iiiii,"axG",@progbits,_ZL12mul_mat_q4_0IfLb1EEvPKvS1_PT_iiiii,comdat
.Lfunc_end118:
	.size	_ZL12mul_mat_q4_0IfLb1EEvPKvS1_PT_iiiii, .Lfunc_end118-_ZL12mul_mat_q4_0IfLb1EEvPKvS1_PT_iiiii
                                        ; -- End function
	.section	.AMDGPU.csdata,"",@progbits
; Kernel info:
; codeLenInByte = 10384
; NumSgprs: 24
; NumVgprs: 175
; NumAgprs: 0
; TotalNumVgprs: 175
; ScratchSize: 0
; MemoryBound: 0
; FloatMode: 240
; IeeeMode: 1
; LDSByteSize: 30336 bytes/workgroup (compile time only)
; SGPRBlocks: 2
; VGPRBlocks: 21
; NumSGPRsForWavesPerEU: 24
; NumVGPRsForWavesPerEU: 175
; AccumOffset: 176
; Occupancy: 2
; WaveLimiterHint : 0
; COMPUTE_PGM_RSRC2:SCRATCH_EN: 0
; COMPUTE_PGM_RSRC2:USER_SGPR: 6
; COMPUTE_PGM_RSRC2:TRAP_HANDLER: 0
; COMPUTE_PGM_RSRC2:TGID_X_EN: 1
; COMPUTE_PGM_RSRC2:TGID_Y_EN: 1
; COMPUTE_PGM_RSRC2:TGID_Z_EN: 0
; COMPUTE_PGM_RSRC2:TIDIG_COMP_CNT: 1
; COMPUTE_PGM_RSRC3_GFX90A:ACCUM_OFFSET: 43
; COMPUTE_PGM_RSRC3_GFX90A:TG_SPLIT: 0
	.section	.text._ZL12mul_mat_q4_1IfLb0EEvPKvS1_PT_iiiii,"axG",@progbits,_ZL12mul_mat_q4_1IfLb0EEvPKvS1_PT_iiiii,comdat
	.globl	_ZL12mul_mat_q4_1IfLb0EEvPKvS1_PT_iiiii ; -- Begin function _ZL12mul_mat_q4_1IfLb0EEvPKvS1_PT_iiiii
	.p2align	8
	.type	_ZL12mul_mat_q4_1IfLb0EEvPKvS1_PT_iiiii,@function
_ZL12mul_mat_q4_1IfLb0EEvPKvS1_PT_iiiii: ; @_ZL12mul_mat_q4_1IfLb0EEvPKvS1_PT_iiiii
; %bb.0:
	s_load_dword s14, s[4:5], 0x18
	s_load_dwordx4 s[8:11], s[4:5], 0x20
	s_waitcnt lgkmcnt(0)
	s_lshl_b32 s11, s7, 6
	v_bfe_u32 v60, v0, 10, 10
	s_cmp_gt_i32 s14, 31
	s_cbranch_scc1 .LBB119_2
; %bb.1:
	v_bfe_u32 v1, v0, 10, 10
	v_and_b32_e32 v53, 0x3ff, v0
	v_add_u32_e32 v65, s11, v1
	s_mov_b64 s[0:1], 0
	s_mov_b32 s2, 0
	s_branch .LBB119_3
.LBB119_2:
	s_mov_b64 s[0:1], -1
                                        ; implicit-def: $sgpr2
                                        ; implicit-def: $vgpr1
                                        ; implicit-def: $vgpr53
                                        ; implicit-def: $vgpr65
.LBB119_3:
	s_load_dwordx2 s[12:13], s[4:5], 0x10
	s_lshl_b32 s6, s6, 7
	s_andn2_b64 vcc, exec, s[0:1]
	v_mov_b32_e32 v9, s2
	v_mov_b32_e32 v17, s2
	;; [unrolled: 1-line block ×32, first 2 shown]
	s_cbranch_vccnz .LBB119_13
; %bb.4:
	s_load_dwordx4 s[0:3], s[4:5], 0x0
	s_ashr_i32 s4, s14, 31
	s_lshr_b32 s4, s4, 27
	s_ashr_i32 s5, s9, 31
	s_add_i32 s7, s14, s4
	s_lshr_b32 s5, s5, 27
	s_ashr_i32 s4, s7, 5
	s_add_i32 s5, s9, s5
	s_ashr_i32 s9, s5, 5
	s_mul_i32 s5, s4, s6
	s_mul_hi_i32 s14, s5, 20
	s_mul_i32 s5, s5, 20
	s_waitcnt lgkmcnt(0)
	s_add_u32 s0, s0, s5
	s_addc_u32 s1, s1, s14
	v_mul_lo_u32 v12, s4, v60
	s_lshl_b32 s14, s4, 3
	v_add_u32_e32 v14, s14, v12
	v_add_u32_e32 v16, s14, v14
	v_add_u32_e32 v18, s14, v16
	v_add_u32_e32 v20, s14, v18
	v_add_u32_e32 v22, s14, v20
	v_add_u32_e32 v24, s14, v22
	v_add_u32_e32 v26, s14, v24
	v_add_u32_e32 v28, s14, v26
	v_add_u32_e32 v30, s14, v28
	v_add_u32_e32 v32, s14, v30
	v_add_u32_e32 v34, s14, v32
	v_and_b32_e32 v53, 0x3ff, v0
	v_add_u32_e32 v36, s14, v34
	v_add_u32_e32 v38, s14, v36
	v_lshrrev_b32_e32 v87, 3, v53
	v_add_u32_e32 v40, s14, v38
	v_and_b32_e32 v44, 7, v53
	v_lshl_add_u32 v0, v60, 2, v87
	v_add_u32_e32 v42, s14, v40
	v_and_b32_e32 v1, 0x7fc, v0
	v_lshlrev_b32_e32 v3, 2, v44
	s_movk_i32 s14, 0x6200
	v_add3_u32 v4, v1, v3, s14
	v_add_u32_e32 v1, 32, v0
	v_lshlrev_b32_e32 v2, 2, v53
	s_movk_i32 s16, 0x84
	v_mul_lo_u32 v46, s4, v0
	v_lshlrev_b32_e32 v5, 5, v0
	v_and_b32_e32 v6, 0xffc, v1
	v_lshlrev_b32_e32 v7, 5, v1
	v_add_u32_e32 v1, 64, v0
	v_add_u32_e32 v0, 0x60, v0
	v_lshrrev_b32_e32 v8, 2, v53
	v_and_b32_e32 v10, 12, v2
	v_mad_u32_u24 v68, v60, s16, v2
	s_andn2_b32 s7, s7, 31
	v_and_b32_e32 v9, 0xffc, v1
	v_lshlrev_b32_e32 v11, 5, v1
	v_and_b32_e32 v1, 0xffc, v0
	v_and_b32_e32 v2, 28, v2
	v_add_u32_e32 v48, s7, v46
	v_add3_u32 v6, v6, v3, s14
	v_add3_u32 v9, v9, v3, s14
	;; [unrolled: 1-line block ×3, first 2 shown]
	v_mov_b32_e32 v3, s3
	v_add_co_u32_e32 v54, vcc, s2, v2
	v_lshl_add_u32 v2, v60, 3, v8
	v_add_u32_e32 v50, s7, v48
	v_addc_co_u32_e32 v55, vcc, 0, v3, vcc
	v_and_b32_e32 v3, 63, v2
	v_add_u32_e32 v52, s7, v50
	s_add_i32 s7, s8, -1
	v_or_b32_e32 v19, s11, v3
	v_and_b32_e32 v2, 3, v53
	v_min_i32_e32 v19, s7, v19
	v_mad_u64_u32 v[56:57], s[14:15], v19, s9, v[2:3]
	v_lshlrev_b32_e32 v2, 2, v2
	v_add_u32_e32 v65, s11, v60
	v_lshl_or_b32 v2, v3, 4, v2
	v_lshlrev_b32_e32 v15, 5, v0
	v_cvt_f64_i32_e32 v[0:1], s7
	v_add_u32_e32 v88, 0x7280, v2
	v_cvt_f64_u32_e32 v[2:3], v65
	v_min_f64 v[2:3], v[2:3], v[0:1]
	v_cvt_i32_f64_e32 v2, v[2:3]
	v_mul_lo_u32 v89, s9, v2
	v_add_u32_e32 v2, 8, v65
	v_cvt_f64_u32_e32 v[2:3], v2
	v_min_f64 v[2:3], v[2:3], v[0:1]
	v_cvt_i32_f64_e32 v2, v[2:3]
	v_mul_lo_u32 v91, s9, v2
	;; [unrolled: 5-line block ×7, first 2 shown]
	v_add_u32_e32 v2, 56, v65
	v_cvt_f64_u32_e32 v[2:3], v2
	v_min_f64 v[0:1], v[2:3], v[0:1]
	v_and_b32_e32 v17, 31, v53
	v_lshlrev_b32_e32 v19, 7, v60
	v_cvt_i32_f64_e32 v0, v[0:1]
	v_lshl_or_b32 v17, v17, 2, v19
	v_mul_lo_u32 v103, s9, v0
	v_add_u32_e32 v0, 32, v53
	v_add_u32_e32 v1, 64, v53
	;; [unrolled: 1-line block ×11, first 2 shown]
	v_lshlrev_b32_e32 v3, 5, v53
	v_lshrrev_b32_e32 v106, 3, v0
	v_and_b32_e32 v2, 0x1fc, v2
	v_and_b32_e32 v1, 0x1fc, v1
	;; [unrolled: 1-line block ×4, first 2 shown]
	v_add_u32_e32 v2, v3, v2
	v_add_u32_e32 v1, v3, v1
	;; [unrolled: 1-line block ×4, first 2 shown]
	v_mov_b32_e32 v17, 0x7280
	s_mov_b32 s5, 0
	v_mov_b32_e32 v62, 0
	v_add_u32_e32 v70, 0x420, v68
	v_add_u32_e32 v71, 0x840, v68
	;; [unrolled: 1-line block ×15, first 2 shown]
	v_mul_u32_u24_e32 v105, 0x84, v53
	v_add_u32_e32 v107, 0x6e00, v2
	v_add_u32_e32 v108, 0x6a00, v1
	v_add_u32_e32 v109, 0x6600, v0
	v_add_u32_e32 v110, 0x6200, v3
	v_add_u32_e32 v111, 0x4200, v19
	v_lshl_add_u32 v112, v60, 4, v17
	v_add_u32_e32 v113, 0x6e10, v2
	v_add_u32_e32 v114, 0x6a10, v1
	;; [unrolled: 1-line block ×4, first 2 shown]
	v_mad_u32_u24 v117, v53, s16, 64
	v_add_u32_e32 v118, v4, v5
	v_add_u32_e32 v119, v6, v7
	v_add_u32_e32 v120, v9, v11
	v_add_u32_e32 v121, v13, v15
	v_mov_b32_e32 v67, 0
	v_mov_b32_e32 v61, 0
	;; [unrolled: 1-line block ×31, first 2 shown]
	s_branch .LBB119_6
.LBB119_5:                              ;   in Loop: Header=BB119_6 Depth=1
	s_add_i32 s5, s5, 8
	s_cmp_ge_i32 s5, s4
	s_cbranch_scc1 .LBB119_12
.LBB119_6:                              ; =>This Loop Header: Depth=1
                                        ;     Child Loop BB119_7 Depth 2
                                        ;     Child Loop BB119_10 Depth 2
	s_mul_i32 s9, s5, 20
	s_mul_hi_u32 s7, s5, 20
	s_add_u32 s14, s0, s9
	s_addc_u32 s15, s1, s7
	v_mad_u64_u32 v[0:1], s[16:17], v8, 20, s[14:15]
	v_add_co_u32_e32 v0, vcc, v0, v10
	v_addc_co_u32_e32 v1, vcc, 0, v1, vcc
	v_add_co_u32_e32 v0, vcc, 4, v0
	v_addc_co_u32_e32 v1, vcc, 0, v1, vcc
	v_mad_u64_u32 v[2:3], s[16:17], v12, 20, v[0:1]
	v_mad_u64_u32 v[4:5], s[16:17], v14, 20, v[0:1]
	;; [unrolled: 1-line block ×8, first 2 shown]
	global_load_dword v130, v[2:3], off
	global_load_dword v131, v[4:5], off
	;; [unrolled: 1-line block ×6, first 2 shown]
                                        ; kill: killed $vgpr124_vgpr125
                                        ; kill: killed $vgpr122_vgpr123
	global_load_dword v136, v[126:127], off
	global_load_dword v137, v[128:129], off
	v_mad_u64_u32 v[2:3], s[16:17], v28, 20, v[0:1]
	v_mad_u64_u32 v[4:5], s[16:17], v30, 20, v[0:1]
	;; [unrolled: 1-line block ×8, first 2 shown]
	global_load_dword v138, v[2:3], off
	global_load_dword v139, v[4:5], off
	;; [unrolled: 1-line block ×4, first 2 shown]
	s_nop 0
	global_load_dword v123, v[122:123], off
	s_nop 0
	global_load_dword v142, v[124:125], off
	global_load_dword v143, v[126:127], off
	;; [unrolled: 1-line block ×3, first 2 shown]
	v_mad_u64_u32 v[0:1], s[14:15], v44, 20, s[14:15]
	v_mad_u64_u32 v[2:3], s[14:15], v46, 20, v[0:1]
	;; [unrolled: 1-line block ×5, first 2 shown]
	v_add_u32_e32 v128, s5, v87
	global_load_dword v145, v[2:3], off
	global_load_dword v146, v[4:5], off
	;; [unrolled: 1-line block ×4, first 2 shown]
	v_add_u32_e32 v0, v128, v89
	v_add_u32_e32 v2, v128, v91
	;; [unrolled: 1-line block ×5, first 2 shown]
	v_mad_i64_i32 v[0:1], s[14:15], v0, 36, v[54:55]
	v_mad_i64_i32 v[2:3], s[14:15], v2, 36, v[54:55]
	;; [unrolled: 1-line block ×5, first 2 shown]
	v_add_u32_e32 v124, v128, v99
	v_add_u32_e32 v126, v128, v101
	;; [unrolled: 1-line block ×3, first 2 shown]
	v_mad_i64_i32 v[124:125], s[14:15], v124, 36, v[54:55]
	v_mad_i64_i32 v[126:127], s[14:15], v126, 36, v[54:55]
	;; [unrolled: 1-line block ×3, first 2 shown]
	global_load_dword v149, v[0:1], off offset:4
	s_nop 0
	global_load_dword v2, v[2:3], off offset:4
	s_nop 0
	;; [unrolled: 2-line block ×3, first 2 shown]
	global_load_dword v4, v[6:7], off offset:4
	global_load_dword v5, v[58:59], off offset:4
	s_nop 0
	global_load_dword v6, v[124:125], off offset:4
	global_load_dword v7, v[126:127], off offset:4
	;; [unrolled: 1-line block ×3, first 2 shown]
	v_add_u32_e32 v122, s5, v56
	v_mad_u64_u32 v[0:1], s[14:15], v122, 36, s[2:3]
	global_load_dword v0, v[0:1], off
	s_mov_b32 s7, -4
	v_mov_b32_e32 v124, v111
	v_mov_b32_e32 v125, v105
	;; [unrolled: 1-line block ×4, first 2 shown]
	s_waitcnt vmcnt(28)
	ds_write_b32 v68, v130
	s_waitcnt vmcnt(27)
	ds_write_b32 v70, v131
	;; [unrolled: 2-line block ×29, first 2 shown]
	v_mov_b32_e32 v123, v112
	v_mov_b32_e32 v128, v108
	;; [unrolled: 1-line block ×3, first 2 shown]
	s_waitcnt lgkmcnt(0)
	s_barrier
.LBB119_7:                              ;   Parent Loop BB119_6 Depth=1
                                        ; =>  This Inner Loop Header: Depth=2
	ds_read_b128 v[0:3], v124
	ds_read_b128 v[4:7], v124 offset:16
	ds_read2_b32 v[58:59], v123 offset1:32
	ds_read_b32 v130, v126
	ds_read2_b32 v[134:135], v125 offset1:1
	ds_read2_b32 v[138:139], v125 offset0:2 offset1:3
	v_mov_b32_e32 v140, 0
	v_add_u32_e32 v144, 0x1088, v125
	v_mov_b32_e32 v146, 0
	s_waitcnt lgkmcnt(1)
	v_and_b32_e32 v131, 0xf0f0f0f, v134
	v_lshrrev_b32_e32 v132, 4, v134
	v_and_b32_e32 v132, 0xf0f0f0f, v132
	v_dot4c_i32_i8_e32 v140, v131, v0
	v_dot4c_i32_i8_e32 v140, v132, v4
	v_and_b32_e32 v133, 0xf0f0f0f, v135
	v_lshrrev_b32_e32 v134, 4, v135
	v_and_b32_e32 v134, 0xf0f0f0f, v134
	v_dot4c_i32_i8_e32 v140, v133, v1
	v_dot4c_i32_i8_e32 v140, v134, v5
	s_waitcnt lgkmcnt(0)
	v_and_b32_e32 v135, 0xf0f0f0f, v138
	v_lshrrev_b32_e32 v136, 4, v138
	v_and_b32_e32 v136, 0xf0f0f0f, v136
	v_dot4c_i32_i8_e32 v140, v135, v2
	v_dot4c_i32_i8_e32 v140, v136, v6
	v_and_b32_e32 v137, 0xf0f0f0f, v139
	v_lshrrev_b32_e32 v138, 4, v139
	v_and_b32_e32 v138, 0xf0f0f0f, v138
	v_dot4c_i32_i8_e32 v140, v137, v3
	v_dot4c_i32_i8_e32 v140, v138, v7
	v_pk_mul_f16 v139, v58, v130
	v_mov_b32_e32 v158, 0
	v_mov_b32_e32 v162, 0
	v_cvt_f32_i32_e32 v140, v140
	s_add_i32 s7, s7, 4
	v_add_u32_e32 v126, 4, v126
	s_cmp_lt_u32 s7, 12
	v_fma_mix_f32 v139, v139, v140, v139 op_sel:[0,0,1] op_sel_hi:[1,0,1]
	v_add_f32_e32 v62, v62, v139
	v_add_u32_e32 v140, 0x1080, v125
	ds_read_b32 v139, v127
	ds_read2_b32 v[142:143], v140 offset1:1
	ds_read2_b32 v[148:149], v144 offset1:1
	v_add_u32_e32 v127, 4, v127
	s_waitcnt lgkmcnt(1)
	v_and_b32_e32 v140, 0xf0f0f0f, v142
	v_lshrrev_b32_e32 v141, 4, v142
	v_and_b32_e32 v141, 0xf0f0f0f, v141
	v_dot4c_i32_i8_e32 v146, v140, v0
	v_dot4c_i32_i8_e32 v146, v141, v4
	v_and_b32_e32 v142, 0xf0f0f0f, v143
	v_lshrrev_b32_e32 v143, 4, v143
	v_and_b32_e32 v143, 0xf0f0f0f, v143
	v_dot4c_i32_i8_e32 v146, v142, v1
	v_dot4c_i32_i8_e32 v146, v143, v5
	s_waitcnt lgkmcnt(0)
	v_and_b32_e32 v144, 0xf0f0f0f, v148
	v_lshrrev_b32_e32 v145, 4, v148
	v_and_b32_e32 v145, 0xf0f0f0f, v145
	v_dot4c_i32_i8_e32 v146, v144, v2
	v_dot4c_i32_i8_e32 v146, v145, v6
	v_and_b32_e32 v147, 0xf0f0f0f, v149
	v_lshrrev_b32_e32 v148, 4, v149
	v_and_b32_e32 v148, 0xf0f0f0f, v148
	v_dot4c_i32_i8_e32 v146, v147, v3
	v_dot4c_i32_i8_e32 v146, v148, v7
	v_pk_mul_f16 v149, v58, v139
	s_nop 1
	v_cvt_f32_i32_e32 v146, v146
	v_fma_mix_f32 v146, v149, v146, v149 op_sel:[0,0,1] op_sel_hi:[1,0,1]
	v_add_f32_e32 v85, v85, v146
	v_add_u32_e32 v149, 0x2100, v125
	ds_read_b32 v146, v128
	ds_read2_b32 v[152:153], v149 offset1:1
	v_add_u32_e32 v128, 4, v128
	s_waitcnt lgkmcnt(0)
	v_and_b32_e32 v149, 0xf0f0f0f, v152
	v_lshrrev_b32_e32 v150, 4, v152
	v_and_b32_e32 v151, 0xf0f0f0f, v153
	v_lshrrev_b32_e32 v152, 4, v153
	v_add_u32_e32 v153, 0x2108, v125
	ds_read2_b32 v[154:155], v153 offset1:1
	v_and_b32_e32 v150, 0xf0f0f0f, v150
	v_dot4c_i32_i8_e32 v158, v149, v0
	v_dot4c_i32_i8_e32 v158, v150, v4
	v_and_b32_e32 v152, 0xf0f0f0f, v152
	v_dot4c_i32_i8_e32 v158, v151, v1
	v_dot4c_i32_i8_e32 v158, v152, v5
	s_waitcnt lgkmcnt(0)
	v_and_b32_e32 v153, 0xf0f0f0f, v154
	v_lshrrev_b32_e32 v154, 4, v154
	v_and_b32_e32 v154, 0xf0f0f0f, v154
	v_dot4c_i32_i8_e32 v158, v153, v2
	v_dot4c_i32_i8_e32 v158, v154, v6
	v_and_b32_e32 v156, 0xf0f0f0f, v155
	v_lshrrev_b32_e32 v155, 4, v155
	v_and_b32_e32 v157, 0xf0f0f0f, v155
	v_dot4c_i32_i8_e32 v158, v156, v3
	v_dot4c_i32_i8_e32 v158, v157, v7
	v_pk_mul_f16 v155, v58, v146
	s_nop 1
	v_cvt_f32_i32_e32 v158, v158
	v_fma_mix_f32 v155, v155, v158, v155 op_sel:[0,0,1] op_sel_hi:[1,0,1]
	v_add_f32_e32 v77, v77, v155
	v_add_u32_e32 v158, 0x3180, v125
	ds_read_b32 v155, v129
	ds_read2_b32 v[160:161], v158 offset1:1
	v_add_u32_e32 v129, 4, v129
	s_waitcnt lgkmcnt(0)
	v_and_b32_e32 v158, 0xf0f0f0f, v160
	v_lshrrev_b32_e32 v159, 4, v160
	v_and_b32_e32 v159, 0xf0f0f0f, v159
	v_dot4c_i32_i8_e32 v162, v158, v0
	v_lshrrev_b32_e32 v0, 4, v161
	v_dot4c_i32_i8_e32 v162, v159, v4
	v_and_b32_e32 v4, 0xf0f0f0f, v161
	v_and_b32_e32 v160, 0xf0f0f0f, v0
	v_add_u32_e32 v0, 0x3188, v125
	v_dot4c_i32_i8_e32 v162, v4, v1
	ds_read2_b32 v[0:1], v0 offset1:1
	v_dot4c_i32_i8_e32 v162, v160, v5
	v_add_u32_e32 v125, 16, v125
	s_waitcnt lgkmcnt(0)
	v_and_b32_e32 v5, 0xf0f0f0f, v0
	v_lshrrev_b32_e32 v0, 4, v0
	v_and_b32_e32 v161, 0xf0f0f0f, v0
	v_dot4c_i32_i8_e32 v162, v5, v2
	v_dot4c_i32_i8_e32 v162, v161, v6
	v_and_b32_e32 v2, 0xf0f0f0f, v1
	v_lshrrev_b32_e32 v0, 4, v1
	v_and_b32_e32 v6, 0xf0f0f0f, v0
	v_dot4c_i32_i8_e32 v162, v2, v3
	v_dot4c_i32_i8_e32 v162, v6, v7
	v_pk_mul_f16 v0, v58, v155
	v_mov_b32_e32 v3, 0
	s_nop 0
	v_cvt_f32_i32_e32 v1, v162
	ds_read_b128 v[162:165], v124 offset:1024
	ds_read_b128 v[166:169], v124 offset:1040
	v_fma_mix_f32 v0, v0, v1, v0 op_sel:[0,0,1] op_sel_hi:[1,0,1]
	v_add_f32_e32 v69, v69, v0
	v_mov_b32_e32 v0, 0
	s_waitcnt lgkmcnt(1)
	v_dot4c_i32_i8_e32 v0, v131, v162
	s_waitcnt lgkmcnt(0)
	v_dot4c_i32_i8_e32 v0, v132, v166
	v_dot4c_i32_i8_e32 v0, v133, v163
	v_dot4c_i32_i8_e32 v0, v134, v167
	v_dot4c_i32_i8_e32 v0, v135, v164
	v_dot4c_i32_i8_e32 v0, v136, v168
	v_dot4c_i32_i8_e32 v0, v137, v165
	v_dot4c_i32_i8_e32 v0, v138, v169
	v_pk_mul_f16 v1, v130, v59
	s_nop 1
	v_cvt_f32_i32_e32 v0, v0
	v_fma_mix_f32 v0, v0, v1, v1 op_sel:[0,0,1] op_sel_hi:[0,1,1]
	v_add_f32_e32 v67, v67, v0
	v_mov_b32_e32 v0, 0
	v_dot4c_i32_i8_e32 v0, v140, v162
	v_dot4c_i32_i8_e32 v0, v141, v166
	v_dot4c_i32_i8_e32 v0, v142, v163
	v_dot4c_i32_i8_e32 v0, v143, v167
	v_dot4c_i32_i8_e32 v0, v144, v164
	v_dot4c_i32_i8_e32 v0, v145, v168
	v_dot4c_i32_i8_e32 v0, v147, v165
	v_dot4c_i32_i8_e32 v0, v148, v169
	v_pk_mul_f16 v1, v139, v59
	s_nop 1
	v_cvt_f32_i32_e32 v0, v0
	v_fma_mix_f32 v0, v0, v1, v1 op_sel:[0,0,1] op_sel_hi:[0,1,1]
	v_add_f32_e32 v66, v66, v0
	v_mov_b32_e32 v0, 0
	v_dot4c_i32_i8_e32 v0, v149, v162
	;; [unrolled: 14-line block ×3, first 2 shown]
	v_dot4c_i32_i8_e32 v0, v159, v166
	v_dot4c_i32_i8_e32 v0, v4, v163
	;; [unrolled: 1-line block ×7, first 2 shown]
	v_pk_mul_f16 v1, v155, v59
	s_nop 1
	v_cvt_f32_i32_e32 v0, v0
	v_fma_mix_f32 v0, v0, v1, v1 op_sel:[0,0,1] op_sel_hi:[0,1,1]
	v_add_f32_e32 v63, v63, v0
	ds_read_b128 v[162:165], v124 offset:2048
	ds_read_b128 v[166:169], v124 offset:2064
	ds_read2_b32 v[0:1], v123 offset0:64 offset1:96
	s_waitcnt lgkmcnt(2)
	v_dot4c_i32_i8_e32 v3, v131, v162
	s_waitcnt lgkmcnt(1)
	v_dot4c_i32_i8_e32 v3, v132, v166
	v_dot4c_i32_i8_e32 v3, v133, v163
	v_dot4c_i32_i8_e32 v3, v134, v167
	v_dot4c_i32_i8_e32 v3, v135, v164
	v_dot4c_i32_i8_e32 v3, v136, v168
	v_dot4c_i32_i8_e32 v3, v137, v165
	v_dot4c_i32_i8_e32 v3, v138, v169
	s_waitcnt lgkmcnt(0)
	v_pk_mul_f16 v7, v130, v0
	s_nop 0
	v_cvt_f32_i32_e32 v3, v3
	v_fma_mix_f32 v3, v3, v7, v7 op_sel:[0,0,1] op_sel_hi:[0,1,1]
	v_add_f32_e32 v61, v61, v3
	v_mov_b32_e32 v3, 0
	v_dot4c_i32_i8_e32 v3, v140, v162
	v_dot4c_i32_i8_e32 v3, v141, v166
	v_dot4c_i32_i8_e32 v3, v142, v163
	v_dot4c_i32_i8_e32 v3, v143, v167
	v_dot4c_i32_i8_e32 v3, v144, v164
	v_dot4c_i32_i8_e32 v3, v145, v168
	v_dot4c_i32_i8_e32 v3, v147, v165
	v_dot4c_i32_i8_e32 v3, v148, v169
	v_pk_mul_f16 v7, v139, v0
	s_nop 1
	v_cvt_f32_i32_e32 v3, v3
	v_fma_mix_f32 v3, v3, v7, v7 op_sel:[0,0,1] op_sel_hi:[0,1,1]
	v_add_f32_e32 v57, v57, v3
	v_mov_b32_e32 v3, 0
	v_dot4c_i32_i8_e32 v3, v149, v162
	v_dot4c_i32_i8_e32 v3, v150, v166
	;; [unrolled: 1-line block ×8, first 2 shown]
	v_pk_mul_f16 v7, v146, v0
	v_pk_mul_f16 v0, v155, v0
	s_nop 0
	v_cvt_f32_i32_e32 v3, v3
	v_fma_mix_f32 v3, v3, v7, v7 op_sel:[0,0,1] op_sel_hi:[0,1,1]
	v_add_f32_e32 v51, v51, v3
	v_mov_b32_e32 v3, 0
	v_dot4c_i32_i8_e32 v3, v158, v162
	v_dot4c_i32_i8_e32 v3, v159, v166
	;; [unrolled: 1-line block ×8, first 2 shown]
	ds_read_b128 v[162:165], v124 offset:3072
	ds_read_b128 v[166:169], v124 offset:3088
	s_nop 0
	v_cvt_f32_i32_e32 v3, v3
	v_fma_mix_f32 v0, v3, v0, v0 op_sel:[0,0,1] op_sel_hi:[0,1,1]
	v_add_f32_e32 v49, v49, v0
	v_mov_b32_e32 v0, 0
	s_waitcnt lgkmcnt(1)
	v_dot4c_i32_i8_e32 v0, v131, v162
	s_waitcnt lgkmcnt(0)
	v_dot4c_i32_i8_e32 v0, v132, v166
	v_dot4c_i32_i8_e32 v0, v133, v163
	;; [unrolled: 1-line block ×7, first 2 shown]
	v_pk_mul_f16 v3, v130, v1
	s_nop 1
	v_cvt_f32_i32_e32 v0, v0
	v_fma_mix_f32 v0, v0, v3, v3 op_sel:[0,0,1] op_sel_hi:[0,1,1]
	v_add_f32_e32 v47, v47, v0
	v_mov_b32_e32 v0, 0
	v_dot4c_i32_i8_e32 v0, v140, v162
	v_dot4c_i32_i8_e32 v0, v141, v166
	;; [unrolled: 1-line block ×8, first 2 shown]
	v_pk_mul_f16 v3, v139, v1
	s_nop 1
	v_cvt_f32_i32_e32 v0, v0
	v_fma_mix_f32 v0, v0, v3, v3 op_sel:[0,0,1] op_sel_hi:[0,1,1]
	v_add_f32_e32 v45, v45, v0
	v_mov_b32_e32 v0, 0
	v_dot4c_i32_i8_e32 v0, v149, v162
	v_dot4c_i32_i8_e32 v0, v150, v166
	;; [unrolled: 1-line block ×8, first 2 shown]
	v_pk_mul_f16 v3, v146, v1
	v_pk_mul_f16 v1, v155, v1
	s_nop 0
	v_cvt_f32_i32_e32 v0, v0
	v_fma_mix_f32 v0, v0, v3, v3 op_sel:[0,0,1] op_sel_hi:[0,1,1]
	v_add_f32_e32 v43, v43, v0
	v_mov_b32_e32 v0, 0
	v_dot4c_i32_i8_e32 v0, v158, v162
	v_dot4c_i32_i8_e32 v0, v159, v166
	;; [unrolled: 1-line block ×8, first 2 shown]
	v_mov_b32_e32 v3, 0
	s_nop 1
	v_cvt_f32_i32_e32 v0, v0
	v_fma_mix_f32 v0, v0, v1, v1 op_sel:[0,0,1] op_sel_hi:[0,1,1]
	v_add_f32_e32 v41, v41, v0
	ds_read_b128 v[162:165], v124 offset:4096
	ds_read_b128 v[166:169], v124 offset:4112
	ds_read2_b32 v[0:1], v123 offset0:128 offset1:160
	s_waitcnt lgkmcnt(2)
	v_dot4c_i32_i8_e32 v3, v131, v162
	s_waitcnt lgkmcnt(1)
	v_dot4c_i32_i8_e32 v3, v132, v166
	v_dot4c_i32_i8_e32 v3, v133, v163
	;; [unrolled: 1-line block ×7, first 2 shown]
	s_waitcnt lgkmcnt(0)
	v_pk_mul_f16 v7, v130, v0
	s_nop 0
	v_cvt_f32_i32_e32 v3, v3
	v_fma_mix_f32 v3, v3, v7, v7 op_sel:[0,0,1] op_sel_hi:[0,1,1]
	v_add_f32_e32 v39, v39, v3
	v_mov_b32_e32 v3, 0
	v_dot4c_i32_i8_e32 v3, v140, v162
	v_dot4c_i32_i8_e32 v3, v141, v166
	;; [unrolled: 1-line block ×8, first 2 shown]
	v_pk_mul_f16 v7, v139, v0
	s_nop 1
	v_cvt_f32_i32_e32 v3, v3
	v_fma_mix_f32 v3, v3, v7, v7 op_sel:[0,0,1] op_sel_hi:[0,1,1]
	v_add_f32_e32 v37, v37, v3
	v_mov_b32_e32 v3, 0
	v_dot4c_i32_i8_e32 v3, v149, v162
	v_dot4c_i32_i8_e32 v3, v150, v166
	;; [unrolled: 1-line block ×8, first 2 shown]
	v_pk_mul_f16 v7, v146, v0
	v_pk_mul_f16 v0, v155, v0
	s_nop 0
	v_cvt_f32_i32_e32 v3, v3
	v_fma_mix_f32 v3, v3, v7, v7 op_sel:[0,0,1] op_sel_hi:[0,1,1]
	v_add_f32_e32 v35, v35, v3
	v_mov_b32_e32 v3, 0
	v_dot4c_i32_i8_e32 v3, v158, v162
	v_dot4c_i32_i8_e32 v3, v159, v166
	;; [unrolled: 1-line block ×8, first 2 shown]
	ds_read_b128 v[162:165], v124 offset:5120
	ds_read_b128 v[166:169], v124 offset:5136
	s_nop 0
	v_cvt_f32_i32_e32 v3, v3
	v_fma_mix_f32 v0, v3, v0, v0 op_sel:[0,0,1] op_sel_hi:[0,1,1]
	v_add_f32_e32 v33, v33, v0
	v_mov_b32_e32 v0, 0
	s_waitcnt lgkmcnt(1)
	v_dot4c_i32_i8_e32 v0, v131, v162
	s_waitcnt lgkmcnt(0)
	v_dot4c_i32_i8_e32 v0, v132, v166
	v_dot4c_i32_i8_e32 v0, v133, v163
	;; [unrolled: 1-line block ×7, first 2 shown]
	v_pk_mul_f16 v3, v130, v1
	s_nop 1
	v_cvt_f32_i32_e32 v0, v0
	v_fma_mix_f32 v0, v0, v3, v3 op_sel:[0,0,1] op_sel_hi:[0,1,1]
	v_add_f32_e32 v31, v31, v0
	v_mov_b32_e32 v0, 0
	v_dot4c_i32_i8_e32 v0, v140, v162
	v_dot4c_i32_i8_e32 v0, v141, v166
	v_dot4c_i32_i8_e32 v0, v142, v163
	v_dot4c_i32_i8_e32 v0, v143, v167
	v_dot4c_i32_i8_e32 v0, v144, v164
	v_dot4c_i32_i8_e32 v0, v145, v168
	v_dot4c_i32_i8_e32 v0, v147, v165
	v_dot4c_i32_i8_e32 v0, v148, v169
	v_pk_mul_f16 v3, v139, v1
	s_nop 1
	v_cvt_f32_i32_e32 v0, v0
	v_fma_mix_f32 v0, v0, v3, v3 op_sel:[0,0,1] op_sel_hi:[0,1,1]
	v_add_f32_e32 v29, v29, v0
	v_mov_b32_e32 v0, 0
	v_dot4c_i32_i8_e32 v0, v149, v162
	v_dot4c_i32_i8_e32 v0, v150, v166
	v_dot4c_i32_i8_e32 v0, v151, v163
	v_dot4c_i32_i8_e32 v0, v152, v167
	v_dot4c_i32_i8_e32 v0, v153, v164
	v_dot4c_i32_i8_e32 v0, v154, v168
	v_dot4c_i32_i8_e32 v0, v156, v165
	v_dot4c_i32_i8_e32 v0, v157, v169
	v_pk_mul_f16 v3, v146, v1
	v_pk_mul_f16 v1, v155, v1
	s_nop 0
	v_cvt_f32_i32_e32 v0, v0
	v_fma_mix_f32 v0, v0, v3, v3 op_sel:[0,0,1] op_sel_hi:[0,1,1]
	v_add_f32_e32 v27, v27, v0
	v_mov_b32_e32 v0, 0
	v_dot4c_i32_i8_e32 v0, v158, v162
	v_dot4c_i32_i8_e32 v0, v159, v166
	;; [unrolled: 1-line block ×8, first 2 shown]
	v_mov_b32_e32 v3, 0
	s_nop 1
	v_cvt_f32_i32_e32 v0, v0
	v_fma_mix_f32 v0, v0, v1, v1 op_sel:[0,0,1] op_sel_hi:[0,1,1]
	v_add_f32_e32 v25, v25, v0
	ds_read_b128 v[162:165], v124 offset:6144
	ds_read_b128 v[166:169], v124 offset:6160
	ds_read2_b32 v[0:1], v123 offset0:192 offset1:224
	v_add_u32_e32 v123, 4, v123
	s_waitcnt lgkmcnt(2)
	v_dot4c_i32_i8_e32 v3, v131, v162
	s_waitcnt lgkmcnt(1)
	v_dot4c_i32_i8_e32 v3, v132, v166
	v_dot4c_i32_i8_e32 v3, v133, v163
	;; [unrolled: 1-line block ×7, first 2 shown]
	s_waitcnt lgkmcnt(0)
	v_pk_mul_f16 v7, v130, v0
	s_nop 0
	v_cvt_f32_i32_e32 v3, v3
	v_fma_mix_f32 v3, v3, v7, v7 op_sel:[0,0,1] op_sel_hi:[0,1,1]
	v_add_f32_e32 v23, v23, v3
	v_mov_b32_e32 v3, 0
	v_dot4c_i32_i8_e32 v3, v140, v162
	v_dot4c_i32_i8_e32 v3, v141, v166
	;; [unrolled: 1-line block ×8, first 2 shown]
	v_pk_mul_f16 v7, v139, v0
	s_nop 1
	v_cvt_f32_i32_e32 v3, v3
	v_fma_mix_f32 v3, v3, v7, v7 op_sel:[0,0,1] op_sel_hi:[0,1,1]
	v_add_f32_e32 v21, v21, v3
	v_mov_b32_e32 v3, 0
	v_dot4c_i32_i8_e32 v3, v149, v162
	v_dot4c_i32_i8_e32 v3, v150, v166
	;; [unrolled: 1-line block ×8, first 2 shown]
	v_pk_mul_f16 v7, v146, v0
	v_pk_mul_f16 v0, v155, v0
	s_nop 0
	v_cvt_f32_i32_e32 v3, v3
	v_fma_mix_f32 v3, v3, v7, v7 op_sel:[0,0,1] op_sel_hi:[0,1,1]
	v_add_f32_e32 v19, v19, v3
	v_mov_b32_e32 v3, 0
	v_dot4c_i32_i8_e32 v3, v158, v162
	v_dot4c_i32_i8_e32 v3, v159, v166
	;; [unrolled: 1-line block ×8, first 2 shown]
	ds_read_b128 v[162:165], v124 offset:7168
	ds_read_b128 v[166:169], v124 offset:7184
	v_add_u32_e32 v124, 32, v124
	v_cvt_f32_i32_e32 v3, v3
	v_fma_mix_f32 v0, v3, v0, v0 op_sel:[0,0,1] op_sel_hi:[0,1,1]
	v_add_f32_e32 v17, v17, v0
	v_mov_b32_e32 v0, 0
	s_waitcnt lgkmcnt(1)
	v_dot4c_i32_i8_e32 v0, v131, v162
	s_waitcnt lgkmcnt(0)
	v_dot4c_i32_i8_e32 v0, v132, v166
	v_dot4c_i32_i8_e32 v0, v133, v163
	;; [unrolled: 1-line block ×7, first 2 shown]
	v_pk_mul_f16 v3, v130, v1
	s_nop 1
	v_cvt_f32_i32_e32 v0, v0
	v_fma_mix_f32 v0, v0, v3, v3 op_sel:[0,0,1] op_sel_hi:[0,1,1]
	v_add_f32_e32 v15, v15, v0
	v_mov_b32_e32 v0, 0
	v_dot4c_i32_i8_e32 v0, v140, v162
	v_dot4c_i32_i8_e32 v0, v141, v166
	;; [unrolled: 1-line block ×8, first 2 shown]
	v_pk_mul_f16 v3, v139, v1
	s_nop 1
	v_cvt_f32_i32_e32 v0, v0
	v_fma_mix_f32 v0, v0, v3, v3 op_sel:[0,0,1] op_sel_hi:[0,1,1]
	v_add_f32_e32 v13, v13, v0
	v_mov_b32_e32 v0, 0
	v_dot4c_i32_i8_e32 v0, v149, v162
	v_dot4c_i32_i8_e32 v0, v150, v166
	;; [unrolled: 1-line block ×8, first 2 shown]
	v_pk_mul_f16 v3, v146, v1
	v_pk_mul_f16 v1, v155, v1
	s_nop 0
	v_cvt_f32_i32_e32 v0, v0
	v_fma_mix_f32 v0, v0, v3, v3 op_sel:[0,0,1] op_sel_hi:[0,1,1]
	v_add_f32_e32 v11, v11, v0
	v_mov_b32_e32 v0, 0
	v_dot4c_i32_i8_e32 v0, v158, v162
	v_dot4c_i32_i8_e32 v0, v159, v166
	;; [unrolled: 1-line block ×8, first 2 shown]
	s_nop 2
	v_cvt_f32_i32_e32 v0, v0
	v_fma_mix_f32 v0, v0, v1, v1 op_sel:[0,0,1] op_sel_hi:[0,1,1]
	v_add_f32_e32 v9, v9, v0
	s_cbranch_scc1 .LBB119_7
; %bb.8:                                ;   in Loop: Header=BB119_6 Depth=1
	s_or_b32 s7, s5, 4
	s_cmp_ge_i32 s7, s4
	s_barrier
	s_cbranch_scc1 .LBB119_5
; %bb.9:                                ;   in Loop: Header=BB119_6 Depth=1
	v_add_u32_e32 v123, s5, v106
	v_add_u32_e32 v0, v123, v89
	;; [unrolled: 1-line block ×6, first 2 shown]
	v_mad_i64_i32 v[0:1], s[14:15], v0, 36, v[54:55]
	v_mad_i64_i32 v[2:3], s[14:15], v2, 36, v[54:55]
	;; [unrolled: 1-line block ×5, first 2 shown]
	v_add_u32_e32 v124, v123, v99
	v_add_u32_e32 v126, v123, v101
	;; [unrolled: 1-line block ×3, first 2 shown]
	v_mad_i64_i32 v[124:125], s[14:15], v124, 36, v[54:55]
	v_mad_i64_i32 v[126:127], s[14:15], v126, 36, v[54:55]
	;; [unrolled: 1-line block ×3, first 2 shown]
	global_load_dword v130, v[0:1], off offset:4
	s_nop 0
	global_load_dword v2, v[2:3], off offset:4
	s_nop 0
	;; [unrolled: 2-line block ×3, first 2 shown]
	global_load_dword v4, v[6:7], off offset:4
	global_load_dword v5, v[58:59], off offset:4
                                        ; kill: killed $vgpr6_vgpr7
                                        ; kill: killed $vgpr58_vgpr59
	s_nop 0
	global_load_dword v6, v[124:125], off offset:4
	global_load_dword v7, v[126:127], off offset:4
	global_load_dword v58, v[128:129], off offset:4
	v_add_u32_e32 v0, 4, v122
	v_mad_u64_u32 v[0:1], s[14:15], v0, 36, s[2:3]
	global_load_dword v0, v[0:1], off
	s_mov_b32 s7, 12
	v_mov_b32_e32 v122, v112
	v_mov_b32_e32 v123, v111
	;; [unrolled: 1-line block ×7, first 2 shown]
	s_waitcnt vmcnt(8)
	ds_write_b32 v90, v130
	s_waitcnt vmcnt(7)
	ds_write_b32 v92, v2
	;; [unrolled: 2-line block ×9, first 2 shown]
	s_waitcnt lgkmcnt(0)
	s_barrier
.LBB119_10:                             ;   Parent Loop BB119_6 Depth=1
                                        ; =>  This Inner Loop Header: Depth=2
	ds_read_b128 v[0:3], v123
	ds_read_b128 v[4:7], v123 offset:16
	ds_read2_b32 v[58:59], v122 offset1:32
	ds_read_b32 v129, v125
	ds_read2_b32 v[132:133], v124 offset1:1
	ds_read2_b32 v[136:137], v124 offset0:2 offset1:3
	v_mov_b32_e32 v138, 0
	v_mov_b32_e32 v148, 0
	s_waitcnt lgkmcnt(2)
	v_pk_mul_f16 v139, v58, v129
	s_waitcnt lgkmcnt(1)
	v_and_b32_e32 v130, 0xf0f0f0f, v132
	v_lshrrev_b32_e32 v131, 4, v132
	v_and_b32_e32 v131, 0xf0f0f0f, v131
	v_dot4c_i32_i8_e32 v138, v130, v0
	v_dot4c_i32_i8_e32 v138, v131, v4
	v_and_b32_e32 v132, 0xf0f0f0f, v133
	v_lshrrev_b32_e32 v133, 4, v133
	v_and_b32_e32 v133, 0xf0f0f0f, v133
	v_dot4c_i32_i8_e32 v138, v132, v1
	v_dot4c_i32_i8_e32 v138, v133, v5
	s_waitcnt lgkmcnt(0)
	v_and_b32_e32 v134, 0xf0f0f0f, v136
	v_lshrrev_b32_e32 v135, 4, v136
	v_and_b32_e32 v135, 0xf0f0f0f, v135
	v_dot4c_i32_i8_e32 v138, v134, v2
	v_dot4c_i32_i8_e32 v138, v135, v6
	v_and_b32_e32 v136, 0xf0f0f0f, v137
	v_lshrrev_b32_e32 v137, 4, v137
	v_and_b32_e32 v137, 0xf0f0f0f, v137
	v_dot4c_i32_i8_e32 v138, v136, v3
	v_dot4c_i32_i8_e32 v138, v137, v7
	v_add_u32_e32 v152, 0x2108, v124
	v_mov_b32_e32 v154, 0
	v_mov_b32_e32 v161, 0
	v_cvt_f32_i32_e32 v138, v138
	s_add_i32 s7, s7, 4
	v_add_u32_e32 v125, 4, v125
	s_cmp_lt_u32 s7, 28
	v_fma_mix_f32 v138, v139, v138, v139 op_sel:[0,0,1] op_sel_hi:[1,0,1]
	v_add_f32_e32 v62, v62, v138
	v_add_u32_e32 v139, 0x1080, v124
	ds_read_b32 v138, v126
	ds_read2_b32 v[142:143], v139 offset1:1
	v_add_u32_e32 v126, 4, v126
	s_waitcnt lgkmcnt(0)
	v_and_b32_e32 v139, 0xf0f0f0f, v142
	v_lshrrev_b32_e32 v140, 4, v142
	v_and_b32_e32 v141, 0xf0f0f0f, v143
	v_lshrrev_b32_e32 v142, 4, v143
	v_add_u32_e32 v143, 0x1088, v124
	ds_read2_b32 v[144:145], v143 offset1:1
	v_and_b32_e32 v140, 0xf0f0f0f, v140
	v_dot4c_i32_i8_e32 v148, v139, v0
	v_dot4c_i32_i8_e32 v148, v140, v4
	v_and_b32_e32 v142, 0xf0f0f0f, v142
	v_dot4c_i32_i8_e32 v148, v141, v1
	v_dot4c_i32_i8_e32 v148, v142, v5
	s_waitcnt lgkmcnt(0)
	v_and_b32_e32 v143, 0xf0f0f0f, v144
	v_lshrrev_b32_e32 v144, 4, v144
	v_and_b32_e32 v144, 0xf0f0f0f, v144
	v_dot4c_i32_i8_e32 v148, v143, v2
	v_dot4c_i32_i8_e32 v148, v144, v6
	v_and_b32_e32 v146, 0xf0f0f0f, v145
	v_lshrrev_b32_e32 v145, 4, v145
	v_and_b32_e32 v147, 0xf0f0f0f, v145
	v_dot4c_i32_i8_e32 v148, v146, v3
	v_dot4c_i32_i8_e32 v148, v147, v7
	v_pk_mul_f16 v145, v58, v138
	s_nop 1
	v_cvt_f32_i32_e32 v148, v148
	v_fma_mix_f32 v145, v145, v148, v145 op_sel:[0,0,1] op_sel_hi:[1,0,1]
	v_add_f32_e32 v85, v85, v145
	v_add_u32_e32 v148, 0x2100, v124
	ds_read_b32 v145, v127
	ds_read2_b32 v[150:151], v148 offset1:1
	ds_read2_b32 v[156:157], v152 offset1:1
	v_add_u32_e32 v127, 4, v127
	s_waitcnt lgkmcnt(1)
	v_and_b32_e32 v148, 0xf0f0f0f, v150
	v_lshrrev_b32_e32 v149, 4, v150
	v_and_b32_e32 v149, 0xf0f0f0f, v149
	v_dot4c_i32_i8_e32 v154, v148, v0
	v_dot4c_i32_i8_e32 v154, v149, v4
	v_and_b32_e32 v150, 0xf0f0f0f, v151
	v_lshrrev_b32_e32 v151, 4, v151
	v_and_b32_e32 v151, 0xf0f0f0f, v151
	v_dot4c_i32_i8_e32 v154, v150, v1
	v_dot4c_i32_i8_e32 v154, v151, v5
	s_waitcnt lgkmcnt(0)
	v_and_b32_e32 v152, 0xf0f0f0f, v156
	v_lshrrev_b32_e32 v153, 4, v156
	v_and_b32_e32 v153, 0xf0f0f0f, v153
	v_dot4c_i32_i8_e32 v154, v152, v2
	v_dot4c_i32_i8_e32 v154, v153, v6
	v_and_b32_e32 v155, 0xf0f0f0f, v157
	v_lshrrev_b32_e32 v156, 4, v157
	v_and_b32_e32 v156, 0xf0f0f0f, v156
	v_dot4c_i32_i8_e32 v154, v155, v3
	v_dot4c_i32_i8_e32 v154, v156, v7
	v_pk_mul_f16 v157, v58, v145
	s_nop 1
	v_cvt_f32_i32_e32 v154, v154
	v_fma_mix_f32 v154, v157, v154, v157 op_sel:[0,0,1] op_sel_hi:[1,0,1]
	v_add_f32_e32 v77, v77, v154
	v_add_u32_e32 v157, 0x3180, v124
	ds_read_b32 v154, v128
	ds_read2_b32 v[158:159], v157 offset1:1
	v_add_u32_e32 v128, 4, v128
	s_waitcnt lgkmcnt(0)
	v_and_b32_e32 v157, 0xf0f0f0f, v158
	v_lshrrev_b32_e32 v158, 4, v158
	v_and_b32_e32 v158, 0xf0f0f0f, v158
	v_dot4c_i32_i8_e32 v161, v157, v0
	v_lshrrev_b32_e32 v0, 4, v159
	v_dot4c_i32_i8_e32 v161, v158, v4
	v_and_b32_e32 v4, 0xf0f0f0f, v159
	v_and_b32_e32 v159, 0xf0f0f0f, v0
	v_add_u32_e32 v0, 0x3188, v124
	v_dot4c_i32_i8_e32 v161, v4, v1
	ds_read2_b32 v[0:1], v0 offset1:1
	v_dot4c_i32_i8_e32 v161, v159, v5
	ds_read_b128 v[162:165], v123 offset:1024
	ds_read_b128 v[166:169], v123 offset:1040
	v_add_u32_e32 v124, 16, v124
	s_waitcnt lgkmcnt(2)
	v_and_b32_e32 v5, 0xf0f0f0f, v0
	v_lshrrev_b32_e32 v0, 4, v0
	v_and_b32_e32 v160, 0xf0f0f0f, v0
	v_dot4c_i32_i8_e32 v161, v5, v2
	v_dot4c_i32_i8_e32 v161, v160, v6
	v_and_b32_e32 v2, 0xf0f0f0f, v1
	v_lshrrev_b32_e32 v0, 4, v1
	v_and_b32_e32 v6, 0xf0f0f0f, v0
	v_dot4c_i32_i8_e32 v161, v2, v3
	v_dot4c_i32_i8_e32 v161, v6, v7
	v_pk_mul_f16 v0, v58, v154
	v_mov_b32_e32 v3, 0
	s_nop 0
	v_cvt_f32_i32_e32 v1, v161
	v_fma_mix_f32 v0, v0, v1, v0 op_sel:[0,0,1] op_sel_hi:[1,0,1]
	v_add_f32_e32 v69, v69, v0
	v_mov_b32_e32 v0, 0
	s_waitcnt lgkmcnt(1)
	v_dot4c_i32_i8_e32 v0, v130, v162
	s_waitcnt lgkmcnt(0)
	v_dot4c_i32_i8_e32 v0, v131, v166
	v_dot4c_i32_i8_e32 v0, v132, v163
	v_dot4c_i32_i8_e32 v0, v133, v167
	v_dot4c_i32_i8_e32 v0, v134, v164
	v_dot4c_i32_i8_e32 v0, v135, v168
	v_dot4c_i32_i8_e32 v0, v136, v165
	v_dot4c_i32_i8_e32 v0, v137, v169
	v_pk_mul_f16 v1, v129, v59
	s_nop 1
	v_cvt_f32_i32_e32 v0, v0
	v_fma_mix_f32 v0, v0, v1, v1 op_sel:[0,0,1] op_sel_hi:[0,1,1]
	v_add_f32_e32 v67, v67, v0
	v_mov_b32_e32 v0, 0
	v_dot4c_i32_i8_e32 v0, v139, v162
	v_dot4c_i32_i8_e32 v0, v140, v166
	v_dot4c_i32_i8_e32 v0, v141, v163
	v_dot4c_i32_i8_e32 v0, v142, v167
	v_dot4c_i32_i8_e32 v0, v143, v164
	v_dot4c_i32_i8_e32 v0, v144, v168
	v_dot4c_i32_i8_e32 v0, v146, v165
	v_dot4c_i32_i8_e32 v0, v147, v169
	v_pk_mul_f16 v1, v138, v59
	s_nop 1
	v_cvt_f32_i32_e32 v0, v0
	v_fma_mix_f32 v0, v0, v1, v1 op_sel:[0,0,1] op_sel_hi:[0,1,1]
	v_add_f32_e32 v66, v66, v0
	v_mov_b32_e32 v0, 0
	v_dot4c_i32_i8_e32 v0, v148, v162
	;; [unrolled: 14-line block ×3, first 2 shown]
	v_dot4c_i32_i8_e32 v0, v158, v166
	v_dot4c_i32_i8_e32 v0, v4, v163
	;; [unrolled: 1-line block ×7, first 2 shown]
	v_pk_mul_f16 v1, v154, v59
	s_nop 1
	v_cvt_f32_i32_e32 v0, v0
	v_fma_mix_f32 v0, v0, v1, v1 op_sel:[0,0,1] op_sel_hi:[0,1,1]
	v_add_f32_e32 v63, v63, v0
	ds_read_b128 v[162:165], v123 offset:2048
	ds_read_b128 v[166:169], v123 offset:2064
	ds_read2_b32 v[0:1], v122 offset0:64 offset1:96
	s_waitcnt lgkmcnt(2)
	v_dot4c_i32_i8_e32 v3, v130, v162
	s_waitcnt lgkmcnt(1)
	v_dot4c_i32_i8_e32 v3, v131, v166
	v_dot4c_i32_i8_e32 v3, v132, v163
	;; [unrolled: 1-line block ×7, first 2 shown]
	s_waitcnt lgkmcnt(0)
	v_pk_mul_f16 v7, v129, v0
	s_nop 0
	v_cvt_f32_i32_e32 v3, v3
	v_fma_mix_f32 v3, v3, v7, v7 op_sel:[0,0,1] op_sel_hi:[0,1,1]
	v_add_f32_e32 v61, v61, v3
	v_mov_b32_e32 v3, 0
	v_dot4c_i32_i8_e32 v3, v139, v162
	v_dot4c_i32_i8_e32 v3, v140, v166
	;; [unrolled: 1-line block ×8, first 2 shown]
	v_pk_mul_f16 v7, v138, v0
	s_nop 1
	v_cvt_f32_i32_e32 v3, v3
	v_fma_mix_f32 v3, v3, v7, v7 op_sel:[0,0,1] op_sel_hi:[0,1,1]
	v_add_f32_e32 v57, v57, v3
	v_mov_b32_e32 v3, 0
	v_dot4c_i32_i8_e32 v3, v148, v162
	v_dot4c_i32_i8_e32 v3, v149, v166
	;; [unrolled: 1-line block ×8, first 2 shown]
	v_pk_mul_f16 v7, v145, v0
	v_pk_mul_f16 v0, v154, v0
	s_nop 0
	v_cvt_f32_i32_e32 v3, v3
	v_fma_mix_f32 v3, v3, v7, v7 op_sel:[0,0,1] op_sel_hi:[0,1,1]
	v_add_f32_e32 v51, v51, v3
	v_mov_b32_e32 v3, 0
	v_dot4c_i32_i8_e32 v3, v157, v162
	v_dot4c_i32_i8_e32 v3, v158, v166
	;; [unrolled: 1-line block ×8, first 2 shown]
	ds_read_b128 v[162:165], v123 offset:3072
	ds_read_b128 v[166:169], v123 offset:3088
	s_nop 0
	v_cvt_f32_i32_e32 v3, v3
	v_fma_mix_f32 v0, v3, v0, v0 op_sel:[0,0,1] op_sel_hi:[0,1,1]
	v_add_f32_e32 v49, v49, v0
	v_mov_b32_e32 v0, 0
	s_waitcnt lgkmcnt(1)
	v_dot4c_i32_i8_e32 v0, v130, v162
	s_waitcnt lgkmcnt(0)
	v_dot4c_i32_i8_e32 v0, v131, v166
	v_dot4c_i32_i8_e32 v0, v132, v163
	;; [unrolled: 1-line block ×7, first 2 shown]
	v_pk_mul_f16 v3, v129, v1
	s_nop 1
	v_cvt_f32_i32_e32 v0, v0
	v_fma_mix_f32 v0, v0, v3, v3 op_sel:[0,0,1] op_sel_hi:[0,1,1]
	v_add_f32_e32 v47, v47, v0
	v_mov_b32_e32 v0, 0
	v_dot4c_i32_i8_e32 v0, v139, v162
	v_dot4c_i32_i8_e32 v0, v140, v166
	;; [unrolled: 1-line block ×8, first 2 shown]
	v_pk_mul_f16 v3, v138, v1
	s_nop 1
	v_cvt_f32_i32_e32 v0, v0
	v_fma_mix_f32 v0, v0, v3, v3 op_sel:[0,0,1] op_sel_hi:[0,1,1]
	v_add_f32_e32 v45, v45, v0
	v_mov_b32_e32 v0, 0
	v_dot4c_i32_i8_e32 v0, v148, v162
	v_dot4c_i32_i8_e32 v0, v149, v166
	;; [unrolled: 1-line block ×8, first 2 shown]
	v_pk_mul_f16 v3, v145, v1
	v_pk_mul_f16 v1, v154, v1
	s_nop 0
	v_cvt_f32_i32_e32 v0, v0
	v_fma_mix_f32 v0, v0, v3, v3 op_sel:[0,0,1] op_sel_hi:[0,1,1]
	v_add_f32_e32 v43, v43, v0
	v_mov_b32_e32 v0, 0
	v_dot4c_i32_i8_e32 v0, v157, v162
	v_dot4c_i32_i8_e32 v0, v158, v166
	;; [unrolled: 1-line block ×8, first 2 shown]
	v_mov_b32_e32 v3, 0
	s_nop 1
	v_cvt_f32_i32_e32 v0, v0
	v_fma_mix_f32 v0, v0, v1, v1 op_sel:[0,0,1] op_sel_hi:[0,1,1]
	v_add_f32_e32 v41, v41, v0
	ds_read_b128 v[162:165], v123 offset:4096
	ds_read_b128 v[166:169], v123 offset:4112
	ds_read2_b32 v[0:1], v122 offset0:128 offset1:160
	s_waitcnt lgkmcnt(2)
	v_dot4c_i32_i8_e32 v3, v130, v162
	s_waitcnt lgkmcnt(1)
	v_dot4c_i32_i8_e32 v3, v131, v166
	v_dot4c_i32_i8_e32 v3, v132, v163
	;; [unrolled: 1-line block ×7, first 2 shown]
	s_waitcnt lgkmcnt(0)
	v_pk_mul_f16 v7, v129, v0
	s_nop 0
	v_cvt_f32_i32_e32 v3, v3
	v_fma_mix_f32 v3, v3, v7, v7 op_sel:[0,0,1] op_sel_hi:[0,1,1]
	v_add_f32_e32 v39, v39, v3
	v_mov_b32_e32 v3, 0
	v_dot4c_i32_i8_e32 v3, v139, v162
	v_dot4c_i32_i8_e32 v3, v140, v166
	;; [unrolled: 1-line block ×8, first 2 shown]
	v_pk_mul_f16 v7, v138, v0
	s_nop 1
	v_cvt_f32_i32_e32 v3, v3
	v_fma_mix_f32 v3, v3, v7, v7 op_sel:[0,0,1] op_sel_hi:[0,1,1]
	v_add_f32_e32 v37, v37, v3
	v_mov_b32_e32 v3, 0
	v_dot4c_i32_i8_e32 v3, v148, v162
	v_dot4c_i32_i8_e32 v3, v149, v166
	;; [unrolled: 1-line block ×8, first 2 shown]
	v_pk_mul_f16 v7, v145, v0
	v_pk_mul_f16 v0, v154, v0
	s_nop 0
	v_cvt_f32_i32_e32 v3, v3
	v_fma_mix_f32 v3, v3, v7, v7 op_sel:[0,0,1] op_sel_hi:[0,1,1]
	v_add_f32_e32 v35, v35, v3
	v_mov_b32_e32 v3, 0
	v_dot4c_i32_i8_e32 v3, v157, v162
	v_dot4c_i32_i8_e32 v3, v158, v166
	;; [unrolled: 1-line block ×8, first 2 shown]
	ds_read_b128 v[162:165], v123 offset:5120
	ds_read_b128 v[166:169], v123 offset:5136
	s_nop 0
	v_cvt_f32_i32_e32 v3, v3
	v_fma_mix_f32 v0, v3, v0, v0 op_sel:[0,0,1] op_sel_hi:[0,1,1]
	v_add_f32_e32 v33, v33, v0
	v_mov_b32_e32 v0, 0
	s_waitcnt lgkmcnt(1)
	v_dot4c_i32_i8_e32 v0, v130, v162
	s_waitcnt lgkmcnt(0)
	v_dot4c_i32_i8_e32 v0, v131, v166
	v_dot4c_i32_i8_e32 v0, v132, v163
	;; [unrolled: 1-line block ×7, first 2 shown]
	v_pk_mul_f16 v3, v129, v1
	s_nop 1
	v_cvt_f32_i32_e32 v0, v0
	v_fma_mix_f32 v0, v0, v3, v3 op_sel:[0,0,1] op_sel_hi:[0,1,1]
	v_add_f32_e32 v31, v31, v0
	v_mov_b32_e32 v0, 0
	v_dot4c_i32_i8_e32 v0, v139, v162
	v_dot4c_i32_i8_e32 v0, v140, v166
	;; [unrolled: 1-line block ×8, first 2 shown]
	v_pk_mul_f16 v3, v138, v1
	s_nop 1
	v_cvt_f32_i32_e32 v0, v0
	v_fma_mix_f32 v0, v0, v3, v3 op_sel:[0,0,1] op_sel_hi:[0,1,1]
	v_add_f32_e32 v29, v29, v0
	v_mov_b32_e32 v0, 0
	v_dot4c_i32_i8_e32 v0, v148, v162
	v_dot4c_i32_i8_e32 v0, v149, v166
	;; [unrolled: 1-line block ×8, first 2 shown]
	v_pk_mul_f16 v3, v145, v1
	v_pk_mul_f16 v1, v154, v1
	s_nop 0
	v_cvt_f32_i32_e32 v0, v0
	v_fma_mix_f32 v0, v0, v3, v3 op_sel:[0,0,1] op_sel_hi:[0,1,1]
	v_add_f32_e32 v27, v27, v0
	v_mov_b32_e32 v0, 0
	v_dot4c_i32_i8_e32 v0, v157, v162
	v_dot4c_i32_i8_e32 v0, v158, v166
	;; [unrolled: 1-line block ×8, first 2 shown]
	v_mov_b32_e32 v3, 0
	s_nop 1
	v_cvt_f32_i32_e32 v0, v0
	v_fma_mix_f32 v0, v0, v1, v1 op_sel:[0,0,1] op_sel_hi:[0,1,1]
	v_add_f32_e32 v25, v25, v0
	ds_read_b128 v[162:165], v123 offset:6144
	ds_read_b128 v[166:169], v123 offset:6160
	ds_read2_b32 v[0:1], v122 offset0:192 offset1:224
	v_add_u32_e32 v122, 4, v122
	s_waitcnt lgkmcnt(2)
	v_dot4c_i32_i8_e32 v3, v130, v162
	s_waitcnt lgkmcnt(1)
	v_dot4c_i32_i8_e32 v3, v131, v166
	v_dot4c_i32_i8_e32 v3, v132, v163
	;; [unrolled: 1-line block ×7, first 2 shown]
	s_waitcnt lgkmcnt(0)
	v_pk_mul_f16 v7, v129, v0
	s_nop 0
	v_cvt_f32_i32_e32 v3, v3
	v_fma_mix_f32 v3, v3, v7, v7 op_sel:[0,0,1] op_sel_hi:[0,1,1]
	v_add_f32_e32 v23, v23, v3
	v_mov_b32_e32 v3, 0
	v_dot4c_i32_i8_e32 v3, v139, v162
	v_dot4c_i32_i8_e32 v3, v140, v166
	;; [unrolled: 1-line block ×8, first 2 shown]
	v_pk_mul_f16 v7, v138, v0
	s_nop 1
	v_cvt_f32_i32_e32 v3, v3
	v_fma_mix_f32 v3, v3, v7, v7 op_sel:[0,0,1] op_sel_hi:[0,1,1]
	v_add_f32_e32 v21, v21, v3
	v_mov_b32_e32 v3, 0
	v_dot4c_i32_i8_e32 v3, v148, v162
	v_dot4c_i32_i8_e32 v3, v149, v166
	;; [unrolled: 1-line block ×8, first 2 shown]
	v_pk_mul_f16 v7, v145, v0
	v_pk_mul_f16 v0, v154, v0
	s_nop 0
	v_cvt_f32_i32_e32 v3, v3
	v_fma_mix_f32 v3, v3, v7, v7 op_sel:[0,0,1] op_sel_hi:[0,1,1]
	v_add_f32_e32 v19, v19, v3
	v_mov_b32_e32 v3, 0
	v_dot4c_i32_i8_e32 v3, v157, v162
	v_dot4c_i32_i8_e32 v3, v158, v166
	;; [unrolled: 1-line block ×8, first 2 shown]
	ds_read_b128 v[162:165], v123 offset:7168
	ds_read_b128 v[166:169], v123 offset:7184
	v_add_u32_e32 v123, 32, v123
	v_cvt_f32_i32_e32 v3, v3
	v_fma_mix_f32 v0, v3, v0, v0 op_sel:[0,0,1] op_sel_hi:[0,1,1]
	v_add_f32_e32 v17, v17, v0
	v_mov_b32_e32 v0, 0
	s_waitcnt lgkmcnt(1)
	v_dot4c_i32_i8_e32 v0, v130, v162
	s_waitcnt lgkmcnt(0)
	v_dot4c_i32_i8_e32 v0, v131, v166
	v_dot4c_i32_i8_e32 v0, v132, v163
	;; [unrolled: 1-line block ×7, first 2 shown]
	v_pk_mul_f16 v3, v129, v1
	s_nop 1
	v_cvt_f32_i32_e32 v0, v0
	v_fma_mix_f32 v0, v0, v3, v3 op_sel:[0,0,1] op_sel_hi:[0,1,1]
	v_add_f32_e32 v15, v15, v0
	v_mov_b32_e32 v0, 0
	v_dot4c_i32_i8_e32 v0, v139, v162
	v_dot4c_i32_i8_e32 v0, v140, v166
	;; [unrolled: 1-line block ×8, first 2 shown]
	v_pk_mul_f16 v3, v138, v1
	s_nop 1
	v_cvt_f32_i32_e32 v0, v0
	v_fma_mix_f32 v0, v0, v3, v3 op_sel:[0,0,1] op_sel_hi:[0,1,1]
	v_add_f32_e32 v13, v13, v0
	v_mov_b32_e32 v0, 0
	v_dot4c_i32_i8_e32 v0, v148, v162
	v_dot4c_i32_i8_e32 v0, v149, v166
	v_dot4c_i32_i8_e32 v0, v150, v163
	v_dot4c_i32_i8_e32 v0, v151, v167
	v_dot4c_i32_i8_e32 v0, v152, v164
	v_dot4c_i32_i8_e32 v0, v153, v168
	v_dot4c_i32_i8_e32 v0, v155, v165
	v_dot4c_i32_i8_e32 v0, v156, v169
	v_pk_mul_f16 v3, v145, v1
	v_pk_mul_f16 v1, v154, v1
	s_nop 0
	v_cvt_f32_i32_e32 v0, v0
	v_fma_mix_f32 v0, v0, v3, v3 op_sel:[0,0,1] op_sel_hi:[0,1,1]
	v_add_f32_e32 v11, v11, v0
	v_mov_b32_e32 v0, 0
	v_dot4c_i32_i8_e32 v0, v157, v162
	v_dot4c_i32_i8_e32 v0, v158, v166
	;; [unrolled: 1-line block ×8, first 2 shown]
	s_nop 2
	v_cvt_f32_i32_e32 v0, v0
	v_fma_mix_f32 v0, v0, v1, v1 op_sel:[0,0,1] op_sel_hi:[0,1,1]
	v_add_f32_e32 v9, v9, v0
	s_cbranch_scc1 .LBB119_10
; %bb.11:                               ;   in Loop: Header=BB119_6 Depth=1
	s_barrier
	s_branch .LBB119_5
.LBB119_12:
	v_mov_b32_e32 v1, v60
.LBB119_13:
	v_cmp_gt_u32_e32 vcc, s8, v65
	s_and_saveexec_b64 s[0:1], vcc
	s_cbranch_execz .LBB119_64
; %bb.14:
	v_add_u32_e32 v0, s6, v53
	v_mul_lo_u32 v5, v65, s10
	v_cmp_gt_u32_e32 vcc, s10, v0
	s_and_saveexec_b64 s[2:3], vcc
	s_cbranch_execz .LBB119_16
; %bb.15:
	v_add_u32_e32 v2, v0, v5
	v_mov_b32_e32 v3, 0
	v_lshlrev_b64 v[2:3], 2, v[2:3]
	s_waitcnt lgkmcnt(0)
	v_mov_b32_e32 v4, s13
	v_add_co_u32_e64 v2, s[0:1], s12, v2
	v_addc_co_u32_e64 v3, s[0:1], v4, v3, s[0:1]
	global_store_dword v[2:3], v62, off
.LBB119_16:
	s_or_b64 exec, exec, s[2:3]
	v_add_u32_e32 v2, 32, v0
	v_cmp_gt_u32_e64 s[0:1], s10, v2
	s_and_saveexec_b64 s[4:5], s[0:1]
	s_cbranch_execz .LBB119_18
; %bb.17:
	v_add_u32_e32 v6, v2, v5
	v_mov_b32_e32 v7, 0
	v_lshlrev_b64 v[6:7], 2, v[6:7]
	s_waitcnt lgkmcnt(0)
	v_mov_b32_e32 v3, s13
	v_add_co_u32_e64 v6, s[2:3], s12, v6
	v_addc_co_u32_e64 v7, s[2:3], v3, v7, s[2:3]
	global_store_dword v[6:7], v85, off
.LBB119_18:
	s_or_b64 exec, exec, s[4:5]
	v_add_u32_e32 v3, 64, v0
	v_cmp_gt_u32_e64 s[2:3], s10, v3
	s_and_saveexec_b64 s[6:7], s[2:3]
	;; [unrolled: 15-line block ×3, first 2 shown]
	s_cbranch_execz .LBB119_22
; %bb.21:
	v_add_u32_e32 v6, v4, v5
	v_mov_b32_e32 v7, 0
	v_lshlrev_b64 v[6:7], 2, v[6:7]
	s_waitcnt lgkmcnt(0)
	v_mov_b32_e32 v5, s13
	v_add_co_u32_e64 v6, s[6:7], s12, v6
	v_addc_co_u32_e64 v7, s[6:7], v5, v7, s[6:7]
	global_store_dword v[6:7], v69, off
.LBB119_22:
	s_or_b64 exec, exec, s[14:15]
	v_add3_u32 v5, v1, s11, 8
	v_cmp_gt_u32_e64 s[6:7], s8, v5
	s_and_b64 exec, exec, s[6:7]
	s_cbranch_execz .LBB119_64
; %bb.23:
	v_mul_lo_u32 v5, v5, s10
	s_and_saveexec_b64 s[14:15], vcc
	s_cbranch_execnz .LBB119_65
; %bb.24:
	s_or_b64 exec, exec, s[14:15]
	s_and_saveexec_b64 s[14:15], s[0:1]
	s_cbranch_execnz .LBB119_66
.LBB119_25:
	s_or_b64 exec, exec, s[14:15]
	s_and_saveexec_b64 s[14:15], s[2:3]
	s_cbranch_execnz .LBB119_67
.LBB119_26:
	s_or_b64 exec, exec, s[14:15]
	s_and_saveexec_b64 s[14:15], s[4:5]
	s_cbranch_execz .LBB119_28
.LBB119_27:
	v_add_u32_e32 v6, v5, v4
	v_mov_b32_e32 v7, 0
	v_lshlrev_b64 v[6:7], 2, v[6:7]
	s_waitcnt lgkmcnt(0)
	v_mov_b32_e32 v5, s13
	v_add_co_u32_e64 v6, s[6:7], s12, v6
	v_addc_co_u32_e64 v7, s[6:7], v5, v7, s[6:7]
	global_store_dword v[6:7], v63, off
.LBB119_28:
	s_or_b64 exec, exec, s[14:15]
	v_add3_u32 v5, v1, s11, 16
	v_cmp_gt_u32_e64 s[6:7], s8, v5
	s_and_b64 exec, exec, s[6:7]
	s_cbranch_execz .LBB119_64
; %bb.29:
	v_mul_lo_u32 v5, v5, s10
	s_and_saveexec_b64 s[14:15], vcc
	s_cbranch_execnz .LBB119_68
; %bb.30:
	s_or_b64 exec, exec, s[14:15]
	s_and_saveexec_b64 s[14:15], s[0:1]
	s_cbranch_execnz .LBB119_69
.LBB119_31:
	s_or_b64 exec, exec, s[14:15]
	s_and_saveexec_b64 s[14:15], s[2:3]
	s_cbranch_execnz .LBB119_70
.LBB119_32:
	s_or_b64 exec, exec, s[14:15]
	s_and_saveexec_b64 s[14:15], s[4:5]
	s_cbranch_execz .LBB119_34
.LBB119_33:
	v_add_u32_e32 v6, v5, v4
	v_mov_b32_e32 v7, 0
	v_lshlrev_b64 v[6:7], 2, v[6:7]
	s_waitcnt lgkmcnt(0)
	v_mov_b32_e32 v5, s13
	v_add_co_u32_e64 v6, s[6:7], s12, v6
	v_addc_co_u32_e64 v7, s[6:7], v5, v7, s[6:7]
	global_store_dword v[6:7], v49, off
.LBB119_34:
	s_or_b64 exec, exec, s[14:15]
	v_add3_u32 v5, v1, s11, 24
	v_cmp_gt_u32_e64 s[6:7], s8, v5
	s_and_b64 exec, exec, s[6:7]
	s_cbranch_execz .LBB119_64
; %bb.35:
	v_mul_lo_u32 v5, v5, s10
	s_and_saveexec_b64 s[14:15], vcc
	s_cbranch_execnz .LBB119_71
; %bb.36:
	s_or_b64 exec, exec, s[14:15]
	s_and_saveexec_b64 s[14:15], s[0:1]
	s_cbranch_execnz .LBB119_72
.LBB119_37:
	s_or_b64 exec, exec, s[14:15]
	s_and_saveexec_b64 s[14:15], s[2:3]
	s_cbranch_execnz .LBB119_73
.LBB119_38:
	s_or_b64 exec, exec, s[14:15]
	s_and_saveexec_b64 s[14:15], s[4:5]
	s_cbranch_execz .LBB119_40
.LBB119_39:
	v_add_u32_e32 v6, v5, v4
	v_mov_b32_e32 v7, 0
	v_lshlrev_b64 v[6:7], 2, v[6:7]
	s_waitcnt lgkmcnt(0)
	v_mov_b32_e32 v5, s13
	v_add_co_u32_e64 v6, s[6:7], s12, v6
	v_addc_co_u32_e64 v7, s[6:7], v5, v7, s[6:7]
	global_store_dword v[6:7], v41, off
.LBB119_40:
	s_or_b64 exec, exec, s[14:15]
	v_add3_u32 v5, v1, s11, 32
	v_cmp_gt_u32_e64 s[6:7], s8, v5
	s_and_b64 exec, exec, s[6:7]
	s_cbranch_execz .LBB119_64
; %bb.41:
	v_mul_lo_u32 v5, v5, s10
	s_and_saveexec_b64 s[14:15], vcc
	s_cbranch_execnz .LBB119_74
; %bb.42:
	s_or_b64 exec, exec, s[14:15]
	s_and_saveexec_b64 s[14:15], s[0:1]
	s_cbranch_execnz .LBB119_75
.LBB119_43:
	s_or_b64 exec, exec, s[14:15]
	s_and_saveexec_b64 s[14:15], s[2:3]
	s_cbranch_execnz .LBB119_76
.LBB119_44:
	s_or_b64 exec, exec, s[14:15]
	s_and_saveexec_b64 s[14:15], s[4:5]
	s_cbranch_execz .LBB119_46
.LBB119_45:
	v_add_u32_e32 v6, v5, v4
	v_mov_b32_e32 v7, 0
	v_lshlrev_b64 v[6:7], 2, v[6:7]
	s_waitcnt lgkmcnt(0)
	v_mov_b32_e32 v5, s13
	v_add_co_u32_e64 v6, s[6:7], s12, v6
	v_addc_co_u32_e64 v7, s[6:7], v5, v7, s[6:7]
	global_store_dword v[6:7], v33, off
.LBB119_46:
	s_or_b64 exec, exec, s[14:15]
	v_add3_u32 v5, v1, s11, 40
	v_cmp_gt_u32_e64 s[6:7], s8, v5
	s_and_b64 exec, exec, s[6:7]
	s_cbranch_execz .LBB119_64
; %bb.47:
	v_mul_lo_u32 v5, v5, s10
	s_and_saveexec_b64 s[14:15], vcc
	s_cbranch_execnz .LBB119_77
; %bb.48:
	s_or_b64 exec, exec, s[14:15]
	s_and_saveexec_b64 s[14:15], s[0:1]
	s_cbranch_execnz .LBB119_78
.LBB119_49:
	s_or_b64 exec, exec, s[14:15]
	s_and_saveexec_b64 s[14:15], s[2:3]
	s_cbranch_execnz .LBB119_79
.LBB119_50:
	s_or_b64 exec, exec, s[14:15]
	s_and_saveexec_b64 s[14:15], s[4:5]
	s_cbranch_execz .LBB119_52
.LBB119_51:
	v_add_u32_e32 v6, v5, v4
	v_mov_b32_e32 v7, 0
	v_lshlrev_b64 v[6:7], 2, v[6:7]
	s_waitcnt lgkmcnt(0)
	v_mov_b32_e32 v5, s13
	v_add_co_u32_e64 v6, s[6:7], s12, v6
	v_addc_co_u32_e64 v7, s[6:7], v5, v7, s[6:7]
	global_store_dword v[6:7], v25, off
.LBB119_52:
	s_or_b64 exec, exec, s[14:15]
	v_add3_u32 v5, v1, s11, 48
	v_cmp_gt_u32_e64 s[6:7], s8, v5
	s_and_b64 exec, exec, s[6:7]
	s_cbranch_execz .LBB119_64
; %bb.53:
	v_mul_lo_u32 v5, v5, s10
	s_and_saveexec_b64 s[14:15], vcc
	s_cbranch_execnz .LBB119_80
; %bb.54:
	s_or_b64 exec, exec, s[14:15]
	s_and_saveexec_b64 s[14:15], s[0:1]
	s_cbranch_execnz .LBB119_81
.LBB119_55:
	s_or_b64 exec, exec, s[14:15]
	s_and_saveexec_b64 s[14:15], s[2:3]
	s_cbranch_execnz .LBB119_82
.LBB119_56:
	s_or_b64 exec, exec, s[14:15]
	s_and_saveexec_b64 s[14:15], s[4:5]
	s_cbranch_execz .LBB119_58
.LBB119_57:
	v_add_u32_e32 v6, v5, v4
	v_mov_b32_e32 v7, 0
	v_lshlrev_b64 v[6:7], 2, v[6:7]
	s_waitcnt lgkmcnt(0)
	v_mov_b32_e32 v5, s13
	v_add_co_u32_e64 v6, s[6:7], s12, v6
	v_addc_co_u32_e64 v7, s[6:7], v5, v7, s[6:7]
	global_store_dword v[6:7], v17, off
.LBB119_58:
	s_or_b64 exec, exec, s[14:15]
	v_add3_u32 v1, v1, s11, 56
	v_cmp_gt_u32_e64 s[6:7], s8, v1
	s_and_b64 exec, exec, s[6:7]
	s_cbranch_execz .LBB119_64
; %bb.59:
	v_mul_lo_u32 v1, v1, s10
	s_and_saveexec_b64 s[6:7], vcc
	s_cbranch_execnz .LBB119_83
; %bb.60:
	s_or_b64 exec, exec, s[6:7]
	s_and_saveexec_b64 s[6:7], s[0:1]
	s_cbranch_execnz .LBB119_84
.LBB119_61:
	s_or_b64 exec, exec, s[6:7]
	s_and_saveexec_b64 s[0:1], s[2:3]
	s_cbranch_execnz .LBB119_85
.LBB119_62:
	s_or_b64 exec, exec, s[0:1]
	s_and_b64 exec, exec, s[4:5]
	s_cbranch_execz .LBB119_64
.LBB119_63:
	v_add_u32_e32 v0, v1, v4
	v_mov_b32_e32 v1, 0
	v_lshlrev_b64 v[0:1], 2, v[0:1]
	s_waitcnt lgkmcnt(0)
	v_mov_b32_e32 v2, s13
	v_add_co_u32_e32 v0, vcc, s12, v0
	v_addc_co_u32_e32 v1, vcc, v2, v1, vcc
	global_store_dword v[0:1], v9, off
.LBB119_64:
	s_endpgm
.LBB119_65:
	v_add_u32_e32 v6, v5, v0
	v_mov_b32_e32 v7, 0
	v_lshlrev_b64 v[6:7], 2, v[6:7]
	s_waitcnt lgkmcnt(0)
	v_mov_b32_e32 v8, s13
	v_add_co_u32_e64 v6, s[6:7], s12, v6
	v_addc_co_u32_e64 v7, s[6:7], v8, v7, s[6:7]
	global_store_dword v[6:7], v67, off
	s_or_b64 exec, exec, s[14:15]
	s_and_saveexec_b64 s[14:15], s[0:1]
	s_cbranch_execz .LBB119_25
.LBB119_66:
	v_add_u32_e32 v6, v5, v2
	v_mov_b32_e32 v7, 0
	v_lshlrev_b64 v[6:7], 2, v[6:7]
	s_waitcnt lgkmcnt(0)
	v_mov_b32_e32 v8, s13
	v_add_co_u32_e64 v6, s[6:7], s12, v6
	v_addc_co_u32_e64 v7, s[6:7], v8, v7, s[6:7]
	global_store_dword v[6:7], v66, off
	s_or_b64 exec, exec, s[14:15]
	s_and_saveexec_b64 s[14:15], s[2:3]
	s_cbranch_execz .LBB119_26
.LBB119_67:
	v_add_u32_e32 v6, v5, v3
	v_mov_b32_e32 v7, 0
	v_lshlrev_b64 v[6:7], 2, v[6:7]
	s_waitcnt lgkmcnt(0)
	v_mov_b32_e32 v8, s13
	v_add_co_u32_e64 v6, s[6:7], s12, v6
	v_addc_co_u32_e64 v7, s[6:7], v8, v7, s[6:7]
	global_store_dword v[6:7], v64, off
	s_or_b64 exec, exec, s[14:15]
	s_and_saveexec_b64 s[14:15], s[4:5]
	s_cbranch_execnz .LBB119_27
	s_branch .LBB119_28
.LBB119_68:
	v_add_u32_e32 v6, v5, v0
	v_mov_b32_e32 v7, 0
	v_lshlrev_b64 v[6:7], 2, v[6:7]
	s_waitcnt lgkmcnt(0)
	v_mov_b32_e32 v8, s13
	v_add_co_u32_e64 v6, s[6:7], s12, v6
	v_addc_co_u32_e64 v7, s[6:7], v8, v7, s[6:7]
	global_store_dword v[6:7], v61, off
	s_or_b64 exec, exec, s[14:15]
	s_and_saveexec_b64 s[14:15], s[0:1]
	s_cbranch_execz .LBB119_31
.LBB119_69:
	v_add_u32_e32 v6, v5, v2
	v_mov_b32_e32 v7, 0
	v_lshlrev_b64 v[6:7], 2, v[6:7]
	s_waitcnt lgkmcnt(0)
	v_mov_b32_e32 v8, s13
	v_add_co_u32_e64 v6, s[6:7], s12, v6
	v_addc_co_u32_e64 v7, s[6:7], v8, v7, s[6:7]
	global_store_dword v[6:7], v57, off
	s_or_b64 exec, exec, s[14:15]
	s_and_saveexec_b64 s[14:15], s[2:3]
	s_cbranch_execz .LBB119_32
.LBB119_70:
	v_add_u32_e32 v6, v5, v3
	v_mov_b32_e32 v7, 0
	v_lshlrev_b64 v[6:7], 2, v[6:7]
	s_waitcnt lgkmcnt(0)
	v_mov_b32_e32 v8, s13
	v_add_co_u32_e64 v6, s[6:7], s12, v6
	v_addc_co_u32_e64 v7, s[6:7], v8, v7, s[6:7]
	global_store_dword v[6:7], v51, off
	s_or_b64 exec, exec, s[14:15]
	s_and_saveexec_b64 s[14:15], s[4:5]
	s_cbranch_execnz .LBB119_33
	s_branch .LBB119_34
.LBB119_71:
	v_add_u32_e32 v6, v5, v0
	v_mov_b32_e32 v7, 0
	v_lshlrev_b64 v[6:7], 2, v[6:7]
	s_waitcnt lgkmcnt(0)
	v_mov_b32_e32 v8, s13
	v_add_co_u32_e64 v6, s[6:7], s12, v6
	v_addc_co_u32_e64 v7, s[6:7], v8, v7, s[6:7]
	global_store_dword v[6:7], v47, off
	s_or_b64 exec, exec, s[14:15]
	s_and_saveexec_b64 s[14:15], s[0:1]
	s_cbranch_execz .LBB119_37
.LBB119_72:
	v_add_u32_e32 v6, v5, v2
	v_mov_b32_e32 v7, 0
	v_lshlrev_b64 v[6:7], 2, v[6:7]
	s_waitcnt lgkmcnt(0)
	v_mov_b32_e32 v8, s13
	v_add_co_u32_e64 v6, s[6:7], s12, v6
	v_addc_co_u32_e64 v7, s[6:7], v8, v7, s[6:7]
	global_store_dword v[6:7], v45, off
	s_or_b64 exec, exec, s[14:15]
	s_and_saveexec_b64 s[14:15], s[2:3]
	s_cbranch_execz .LBB119_38
.LBB119_73:
	v_add_u32_e32 v6, v5, v3
	v_mov_b32_e32 v7, 0
	v_lshlrev_b64 v[6:7], 2, v[6:7]
	s_waitcnt lgkmcnt(0)
	v_mov_b32_e32 v8, s13
	v_add_co_u32_e64 v6, s[6:7], s12, v6
	v_addc_co_u32_e64 v7, s[6:7], v8, v7, s[6:7]
	global_store_dword v[6:7], v43, off
	s_or_b64 exec, exec, s[14:15]
	s_and_saveexec_b64 s[14:15], s[4:5]
	s_cbranch_execnz .LBB119_39
	s_branch .LBB119_40
.LBB119_74:
	v_add_u32_e32 v6, v5, v0
	v_mov_b32_e32 v7, 0
	v_lshlrev_b64 v[6:7], 2, v[6:7]
	s_waitcnt lgkmcnt(0)
	v_mov_b32_e32 v8, s13
	v_add_co_u32_e64 v6, s[6:7], s12, v6
	v_addc_co_u32_e64 v7, s[6:7], v8, v7, s[6:7]
	global_store_dword v[6:7], v39, off
	s_or_b64 exec, exec, s[14:15]
	s_and_saveexec_b64 s[14:15], s[0:1]
	s_cbranch_execz .LBB119_43
.LBB119_75:
	v_add_u32_e32 v6, v5, v2
	v_mov_b32_e32 v7, 0
	v_lshlrev_b64 v[6:7], 2, v[6:7]
	s_waitcnt lgkmcnt(0)
	v_mov_b32_e32 v8, s13
	v_add_co_u32_e64 v6, s[6:7], s12, v6
	v_addc_co_u32_e64 v7, s[6:7], v8, v7, s[6:7]
	global_store_dword v[6:7], v37, off
	s_or_b64 exec, exec, s[14:15]
	s_and_saveexec_b64 s[14:15], s[2:3]
	s_cbranch_execz .LBB119_44
.LBB119_76:
	v_add_u32_e32 v6, v5, v3
	v_mov_b32_e32 v7, 0
	v_lshlrev_b64 v[6:7], 2, v[6:7]
	s_waitcnt lgkmcnt(0)
	v_mov_b32_e32 v8, s13
	v_add_co_u32_e64 v6, s[6:7], s12, v6
	v_addc_co_u32_e64 v7, s[6:7], v8, v7, s[6:7]
	global_store_dword v[6:7], v35, off
	s_or_b64 exec, exec, s[14:15]
	s_and_saveexec_b64 s[14:15], s[4:5]
	s_cbranch_execnz .LBB119_45
	s_branch .LBB119_46
.LBB119_77:
	v_add_u32_e32 v6, v5, v0
	v_mov_b32_e32 v7, 0
	v_lshlrev_b64 v[6:7], 2, v[6:7]
	s_waitcnt lgkmcnt(0)
	v_mov_b32_e32 v8, s13
	v_add_co_u32_e64 v6, s[6:7], s12, v6
	v_addc_co_u32_e64 v7, s[6:7], v8, v7, s[6:7]
	global_store_dword v[6:7], v31, off
	s_or_b64 exec, exec, s[14:15]
	s_and_saveexec_b64 s[14:15], s[0:1]
	s_cbranch_execz .LBB119_49
.LBB119_78:
	v_add_u32_e32 v6, v5, v2
	v_mov_b32_e32 v7, 0
	v_lshlrev_b64 v[6:7], 2, v[6:7]
	s_waitcnt lgkmcnt(0)
	v_mov_b32_e32 v8, s13
	v_add_co_u32_e64 v6, s[6:7], s12, v6
	v_addc_co_u32_e64 v7, s[6:7], v8, v7, s[6:7]
	global_store_dword v[6:7], v29, off
	s_or_b64 exec, exec, s[14:15]
	s_and_saveexec_b64 s[14:15], s[2:3]
	s_cbranch_execz .LBB119_50
.LBB119_79:
	v_add_u32_e32 v6, v5, v3
	v_mov_b32_e32 v7, 0
	v_lshlrev_b64 v[6:7], 2, v[6:7]
	s_waitcnt lgkmcnt(0)
	v_mov_b32_e32 v8, s13
	v_add_co_u32_e64 v6, s[6:7], s12, v6
	v_addc_co_u32_e64 v7, s[6:7], v8, v7, s[6:7]
	global_store_dword v[6:7], v27, off
	s_or_b64 exec, exec, s[14:15]
	s_and_saveexec_b64 s[14:15], s[4:5]
	s_cbranch_execnz .LBB119_51
	s_branch .LBB119_52
.LBB119_80:
	v_add_u32_e32 v6, v5, v0
	v_mov_b32_e32 v7, 0
	v_lshlrev_b64 v[6:7], 2, v[6:7]
	s_waitcnt lgkmcnt(0)
	v_mov_b32_e32 v8, s13
	v_add_co_u32_e64 v6, s[6:7], s12, v6
	v_addc_co_u32_e64 v7, s[6:7], v8, v7, s[6:7]
	global_store_dword v[6:7], v23, off
	s_or_b64 exec, exec, s[14:15]
	s_and_saveexec_b64 s[14:15], s[0:1]
	s_cbranch_execz .LBB119_55
.LBB119_81:
	v_add_u32_e32 v6, v5, v2
	v_mov_b32_e32 v7, 0
	v_lshlrev_b64 v[6:7], 2, v[6:7]
	s_waitcnt lgkmcnt(0)
	v_mov_b32_e32 v8, s13
	v_add_co_u32_e64 v6, s[6:7], s12, v6
	v_addc_co_u32_e64 v7, s[6:7], v8, v7, s[6:7]
	global_store_dword v[6:7], v21, off
	s_or_b64 exec, exec, s[14:15]
	s_and_saveexec_b64 s[14:15], s[2:3]
	s_cbranch_execz .LBB119_56
.LBB119_82:
	v_add_u32_e32 v6, v5, v3
	v_mov_b32_e32 v7, 0
	v_lshlrev_b64 v[6:7], 2, v[6:7]
	s_waitcnt lgkmcnt(0)
	v_mov_b32_e32 v8, s13
	v_add_co_u32_e64 v6, s[6:7], s12, v6
	v_addc_co_u32_e64 v7, s[6:7], v8, v7, s[6:7]
	global_store_dword v[6:7], v19, off
	s_or_b64 exec, exec, s[14:15]
	s_and_saveexec_b64 s[14:15], s[4:5]
	s_cbranch_execnz .LBB119_57
	s_branch .LBB119_58
.LBB119_83:
	v_add_u32_e32 v6, v1, v0
	v_mov_b32_e32 v7, 0
	v_lshlrev_b64 v[6:7], 2, v[6:7]
	s_waitcnt lgkmcnt(0)
	v_mov_b32_e32 v0, s13
	v_add_co_u32_e32 v6, vcc, s12, v6
	v_addc_co_u32_e32 v7, vcc, v0, v7, vcc
	global_store_dword v[6:7], v15, off
	s_or_b64 exec, exec, s[6:7]
	s_and_saveexec_b64 s[6:7], s[0:1]
	s_cbranch_execz .LBB119_61
.LBB119_84:
	v_add_u32_e32 v6, v1, v2
	v_mov_b32_e32 v7, 0
	v_lshlrev_b64 v[6:7], 2, v[6:7]
	s_waitcnt lgkmcnt(0)
	v_mov_b32_e32 v0, s13
	v_add_co_u32_e32 v6, vcc, s12, v6
	v_addc_co_u32_e32 v7, vcc, v0, v7, vcc
	global_store_dword v[6:7], v13, off
	s_or_b64 exec, exec, s[6:7]
	s_and_saveexec_b64 s[0:1], s[2:3]
	s_cbranch_execz .LBB119_62
.LBB119_85:
	v_add_u32_e32 v2, v1, v3
	v_mov_b32_e32 v3, 0
	v_lshlrev_b64 v[2:3], 2, v[2:3]
	s_waitcnt lgkmcnt(0)
	v_mov_b32_e32 v0, s13
	v_add_co_u32_e32 v2, vcc, s12, v2
	v_addc_co_u32_e32 v3, vcc, v0, v3, vcc
	global_store_dword v[2:3], v11, off
	s_or_b64 exec, exec, s[0:1]
	s_and_b64 exec, exec, s[4:5]
	s_cbranch_execnz .LBB119_63
	s_branch .LBB119_64
	.section	.rodata,"a",@progbits
	.p2align	6, 0x0
	.amdhsa_kernel _ZL12mul_mat_q4_1IfLb0EEvPKvS1_PT_iiiii
		.amdhsa_group_segment_fixed_size 30336
		.amdhsa_private_segment_fixed_size 0
		.amdhsa_kernarg_size 44
		.amdhsa_user_sgpr_count 6
		.amdhsa_user_sgpr_private_segment_buffer 1
		.amdhsa_user_sgpr_dispatch_ptr 0
		.amdhsa_user_sgpr_queue_ptr 0
		.amdhsa_user_sgpr_kernarg_segment_ptr 1
		.amdhsa_user_sgpr_dispatch_id 0
		.amdhsa_user_sgpr_flat_scratch_init 0
		.amdhsa_user_sgpr_kernarg_preload_length 0
		.amdhsa_user_sgpr_kernarg_preload_offset 0
		.amdhsa_user_sgpr_private_segment_size 0
		.amdhsa_uses_dynamic_stack 0
		.amdhsa_system_sgpr_private_segment_wavefront_offset 0
		.amdhsa_system_sgpr_workgroup_id_x 1
		.amdhsa_system_sgpr_workgroup_id_y 1
		.amdhsa_system_sgpr_workgroup_id_z 0
		.amdhsa_system_sgpr_workgroup_info 0
		.amdhsa_system_vgpr_workitem_id 1
		.amdhsa_next_free_vgpr 170
		.amdhsa_next_free_sgpr 18
		.amdhsa_accum_offset 172
		.amdhsa_reserve_vcc 1
		.amdhsa_reserve_flat_scratch 0
		.amdhsa_float_round_mode_32 0
		.amdhsa_float_round_mode_16_64 0
		.amdhsa_float_denorm_mode_32 3
		.amdhsa_float_denorm_mode_16_64 3
		.amdhsa_dx10_clamp 1
		.amdhsa_ieee_mode 1
		.amdhsa_fp16_overflow 0
		.amdhsa_tg_split 0
		.amdhsa_exception_fp_ieee_invalid_op 0
		.amdhsa_exception_fp_denorm_src 0
		.amdhsa_exception_fp_ieee_div_zero 0
		.amdhsa_exception_fp_ieee_overflow 0
		.amdhsa_exception_fp_ieee_underflow 0
		.amdhsa_exception_fp_ieee_inexact 0
		.amdhsa_exception_int_div_zero 0
	.end_amdhsa_kernel
	.section	.text._ZL12mul_mat_q4_1IfLb0EEvPKvS1_PT_iiiii,"axG",@progbits,_ZL12mul_mat_q4_1IfLb0EEvPKvS1_PT_iiiii,comdat
.Lfunc_end119:
	.size	_ZL12mul_mat_q4_1IfLb0EEvPKvS1_PT_iiiii, .Lfunc_end119-_ZL12mul_mat_q4_1IfLb0EEvPKvS1_PT_iiiii
                                        ; -- End function
	.section	.AMDGPU.csdata,"",@progbits
; Kernel info:
; codeLenInByte = 10788
; NumSgprs: 22
; NumVgprs: 170
; NumAgprs: 0
; TotalNumVgprs: 170
; ScratchSize: 0
; MemoryBound: 0
; FloatMode: 240
; IeeeMode: 1
; LDSByteSize: 30336 bytes/workgroup (compile time only)
; SGPRBlocks: 2
; VGPRBlocks: 21
; NumSGPRsForWavesPerEU: 22
; NumVGPRsForWavesPerEU: 170
; AccumOffset: 172
; Occupancy: 2
; WaveLimiterHint : 0
; COMPUTE_PGM_RSRC2:SCRATCH_EN: 0
; COMPUTE_PGM_RSRC2:USER_SGPR: 6
; COMPUTE_PGM_RSRC2:TRAP_HANDLER: 0
; COMPUTE_PGM_RSRC2:TGID_X_EN: 1
; COMPUTE_PGM_RSRC2:TGID_Y_EN: 1
; COMPUTE_PGM_RSRC2:TGID_Z_EN: 0
; COMPUTE_PGM_RSRC2:TIDIG_COMP_CNT: 1
; COMPUTE_PGM_RSRC3_GFX90A:ACCUM_OFFSET: 42
; COMPUTE_PGM_RSRC3_GFX90A:TG_SPLIT: 0
	.section	.text._ZL12mul_mat_q4_1IfLb1EEvPKvS1_PT_iiiii,"axG",@progbits,_ZL12mul_mat_q4_1IfLb1EEvPKvS1_PT_iiiii,comdat
	.globl	_ZL12mul_mat_q4_1IfLb1EEvPKvS1_PT_iiiii ; -- Begin function _ZL12mul_mat_q4_1IfLb1EEvPKvS1_PT_iiiii
	.p2align	8
	.type	_ZL12mul_mat_q4_1IfLb1EEvPKvS1_PT_iiiii,@function
_ZL12mul_mat_q4_1IfLb1EEvPKvS1_PT_iiiii: ; @_ZL12mul_mat_q4_1IfLb1EEvPKvS1_PT_iiiii
; %bb.0:
	s_load_dwordx4 s[8:11], s[4:5], 0x18
	s_load_dword s14, s[4:5], 0x28
	s_lshl_b32 s15, s7, 6
	v_bfe_u32 v53, v0, 10, 10
	s_waitcnt lgkmcnt(0)
	s_cmp_gt_i32 s8, 31
	s_cbranch_scc1 .LBB120_2
; %bb.1:
	v_bfe_u32 v1, v0, 10, 10
	v_and_b32_e32 v49, 0x3ff, v0
	v_add_u32_e32 v65, s15, v1
	s_mov_b64 s[0:1], 0
	s_mov_b32 s2, 0
	s_branch .LBB120_3
.LBB120_2:
	s_mov_b64 s[0:1], -1
                                        ; implicit-def: $sgpr2
                                        ; implicit-def: $vgpr1
                                        ; implicit-def: $vgpr49
                                        ; implicit-def: $vgpr65
.LBB120_3:
	s_load_dwordx2 s[12:13], s[4:5], 0x10
	s_lshl_b32 s6, s6, 7
	s_andn2_b64 vcc, exec, s[0:1]
	v_mov_b32_e32 v9, s2
	v_mov_b32_e32 v17, s2
	;; [unrolled: 1-line block ×32, first 2 shown]
	s_cbranch_vccnz .LBB120_13
; %bb.4:
	s_load_dwordx4 s[0:3], s[4:5], 0x0
	s_ashr_i32 s4, s8, 31
	s_lshr_b32 s4, s4, 27
	s_ashr_i32 s5, s11, 31
	s_add_i32 s4, s8, s4
	s_lshr_b32 s5, s5, 27
	s_ashr_i32 s4, s4, 5
	s_add_i32 s5, s11, s5
	s_ashr_i32 s8, s5, 5
	s_mul_i32 s5, s4, s6
	s_mul_hi_i32 s7, s5, 20
	s_mul_i32 s5, s5, 20
	s_waitcnt lgkmcnt(0)
	s_add_u32 s0, s0, s5
	s_addc_u32 s1, s1, s7
	s_not_b32 s5, s6
	s_add_i32 s9, s5, s9
	v_and_b32_e32 v49, 0x3ff, v0
	v_lshlrev_b32_e32 v0, 2, v49
	v_min_i32_e32 v1, s9, v53
	s_movk_i32 s7, 0x84
	v_add_u32_e32 v4, 8, v53
	v_mul_lo_u32 v12, v1, s4
	v_mad_u64_u32 v[14:15], s[16:17], v1, s7, v[0:1]
	v_min_i32_e32 v1, s9, v4
	v_add_u32_e32 v5, 16, v53
	v_mul_lo_u32 v16, v1, s4
	v_mad_u64_u32 v[18:19], s[16:17], v1, s7, v[0:1]
	v_min_i32_e32 v1, s9, v5
	;; [unrolled: 4-line block ×7, first 2 shown]
	v_mul_lo_u32 v40, v1, s4
	v_mad_u64_u32 v[42:43], s[16:17], v1, s7, v[0:1]
	v_add_u32_e32 v1, 64, v53
	v_min_i32_e32 v1, s9, v1
	v_mul_lo_u32 v44, v1, s4
	v_mad_u64_u32 v[46:47], s[16:17], v1, s7, v[0:1]
	v_add_u32_e32 v1, 0x48, v53
	v_min_i32_e32 v1, s9, v1
	;; [unrolled: 4-line block ×8, first 2 shown]
	v_lshrrev_b32_e32 v77, 3, v49
	v_mul_lo_u32 v72, v1, s4
	v_mad_u64_u32 v[74:75], s[16:17], v1, s7, v[0:1]
	v_lshl_add_u32 v1, v53, 2, v77
	v_min_i32_e32 v2, s9, v1
	v_ashrrev_i32_e32 v3, 31, v2
	v_lshrrev_b32_e32 v3, 30, v3
	v_and_b32_e32 v76, 7, v49
	v_mul_lo_u32 v78, v2, s4
	v_add_u32_e32 v3, v2, v3
	v_lshlrev_b32_e32 v19, 5, v2
	v_add_u32_e32 v2, 32, v1
	v_and_b32_e32 v3, -4, v3
	v_lshlrev_b32_e32 v15, 2, v76
	s_movk_i32 s11, 0x6200
	v_min_i32_e32 v2, s9, v2
	v_add3_u32 v17, v3, v15, s11
	v_ashrrev_i32_e32 v3, 31, v2
	v_lshrrev_b32_e32 v3, 30, v3
	v_mul_lo_u32 v80, v2, s4
	v_add_u32_e32 v3, v2, v3
	v_lshlrev_b32_e32 v23, 5, v2
	v_add_u32_e32 v2, 64, v1
	v_and_b32_e32 v3, -4, v3
	v_min_i32_e32 v2, s9, v2
	v_add3_u32 v21, v3, v15, s11
	v_ashrrev_i32_e32 v3, 31, v2
	v_add_u32_e32 v1, 0x60, v1
	v_lshrrev_b32_e32 v3, 30, v3
	v_min_i32_e32 v1, s9, v1
	v_mul_lo_u32 v82, v2, s4
	v_add_u32_e32 v3, v2, v3
	v_lshlrev_b32_e32 v27, 5, v2
	v_ashrrev_i32_e32 v2, 31, v1
	v_lshrrev_b32_e32 v8, 2, v49
	v_and_b32_e32 v10, 12, v0
	v_lshrrev_b32_e32 v2, 30, v2
	v_and_b32_e32 v0, 28, v0
	v_mul_lo_u32 v84, v1, s4
	v_add_u32_e32 v2, v1, v2
	v_lshlrev_b32_e32 v29, 5, v1
	v_mov_b32_e32 v1, s3
	v_add_co_u32_e32 v86, vcc, s2, v0
	v_lshl_add_u32 v0, v53, 3, v8
	v_addc_co_u32_e32 v87, vcc, 0, v1, vcc
	v_and_b32_e32 v1, 63, v0
	s_add_i32 s9, s10, -1
	v_or_b32_e32 v33, s15, v1
	v_and_b32_e32 v0, 3, v49
	v_min_i32_e32 v33, s9, v33
	v_mad_u64_u32 v[88:89], s[16:17], v33, s8, v[0:1]
	v_lshlrev_b32_e32 v0, 2, v0
	v_and_b32_e32 v3, -4, v3
	v_and_b32_e32 v2, -4, v2
	v_add_u32_e32 v65, s15, v53
	v_lshl_or_b32 v0, v1, 4, v0
	v_add3_u32 v25, v3, v15, s11
	v_add3_u32 v15, v2, v15, s11
	v_cvt_f64_i32_e32 v[2:3], s9
	v_add_u32_e32 v81, 0x7280, v0
	v_cvt_f64_u32_e32 v[0:1], v65
	v_and_b32_e32 v31, 31, v49
	v_min_f64 v[0:1], v[0:1], v[2:3]
	v_cvt_i32_f64_e32 v0, v[0:1]
	v_lshlrev_b32_e32 v31, 2, v31
	v_lshlrev_b32_e32 v33, 7, v53
	v_mul_lo_u32 v83, s8, v0
	v_or_b32_e32 v0, v33, v31
	v_add_u32_e32 v85, 0x4200, v0
	v_add_u32_e32 v0, 8, v65
	v_cvt_f64_u32_e32 v[0:1], v0
	v_min_f64 v[0:1], v[0:1], v[2:3]
	v_cvt_i32_f64_e32 v0, v[0:1]
	v_mul_lo_u32 v89, s8, v0
	v_lshl_or_b32 v0, v4, 7, v31
	v_add_u32_e32 v92, 0x4200, v0
	v_add_u32_e32 v0, 16, v65
	v_cvt_f64_u32_e32 v[0:1], v0
	v_min_f64 v[0:1], v[0:1], v[2:3]
	v_cvt_i32_f64_e32 v0, v[0:1]
	v_mul_lo_u32 v93, s8, v0
	v_lshl_or_b32 v0, v5, 7, v31
	;; [unrolled: 7-line block ×7, first 2 shown]
	v_add_u32_e32 v104, 0x4200, v0
	v_add_u32_e32 v0, 32, v49
	;; [unrolled: 1-line block ×4, first 2 shown]
	v_lshlrev_b32_e32 v3, 5, v49
	v_lshrrev_b32_e32 v106, 3, v0
	v_and_b32_e32 v2, 0x1fc, v2
	v_and_b32_e32 v1, 0x1fc, v1
	;; [unrolled: 1-line block ×4, first 2 shown]
	v_add_u32_e32 v2, v3, v2
	v_add_u32_e32 v1, v3, v1
	;; [unrolled: 1-line block ×4, first 2 shown]
	v_mov_b32_e32 v4, 0x7280
	s_mov_b32 s5, 0
	v_mov_b32_e32 v57, 0
	v_mul_u32_u24_e32 v105, 0x84, v49
	v_add_u32_e32 v107, 0x6e00, v2
	v_add_u32_e32 v108, 0x6a00, v1
	;; [unrolled: 1-line block ×5, first 2 shown]
	v_lshl_add_u32 v112, v53, 4, v4
	v_add_u32_e32 v113, 0x6e10, v2
	v_add_u32_e32 v114, 0x6a10, v1
	;; [unrolled: 1-line block ×4, first 2 shown]
	v_mad_u32_u24 v117, v49, s7, 64
	v_add_u32_e32 v118, v17, v19
	v_add_u32_e32 v119, v21, v23
	;; [unrolled: 1-line block ×4, first 2 shown]
	v_mov_b32_e32 v71, 0
	v_mov_b32_e32 v61, 0
	;; [unrolled: 1-line block ×31, first 2 shown]
	s_branch .LBB120_6
.LBB120_5:                              ;   in Loop: Header=BB120_6 Depth=1
	s_add_i32 s5, s5, 8
	s_cmp_ge_i32 s5, s4
	s_cbranch_scc1 .LBB120_12
.LBB120_6:                              ; =>This Loop Header: Depth=1
                                        ;     Child Loop BB120_7 Depth 2
                                        ;     Child Loop BB120_10 Depth 2
	s_mul_i32 s8, s5, 20
	s_mul_hi_u32 s7, s5, 20
	s_add_u32 s8, s0, s8
	s_addc_u32 s9, s1, s7
	v_mad_u64_u32 v[0:1], s[16:17], v8, 20, s[8:9]
	v_add_co_u32_e32 v0, vcc, v0, v10
	v_addc_co_u32_e32 v1, vcc, 0, v1, vcc
	v_add_co_u32_e32 v0, vcc, 4, v0
	v_addc_co_u32_e32 v1, vcc, 0, v1, vcc
	v_mad_i64_i32 v[2:3], s[16:17], v12, 20, v[0:1]
	v_mad_i64_i32 v[4:5], s[16:17], v16, 20, v[0:1]
	;; [unrolled: 1-line block ×8, first 2 shown]
	global_load_dword v130, v[2:3], off
	global_load_dword v131, v[4:5], off
	;; [unrolled: 1-line block ×6, first 2 shown]
                                        ; kill: killed $vgpr124_vgpr125
                                        ; kill: killed $vgpr122_vgpr123
	global_load_dword v136, v[126:127], off
	global_load_dword v137, v[128:129], off
	v_mad_i64_i32 v[2:3], s[16:17], v44, 20, v[0:1]
	v_mad_i64_i32 v[4:5], s[16:17], v48, 20, v[0:1]
	;; [unrolled: 1-line block ×8, first 2 shown]
	global_load_dword v138, v[2:3], off
	global_load_dword v139, v[4:5], off
	;; [unrolled: 1-line block ×4, first 2 shown]
	s_nop 0
	global_load_dword v123, v[122:123], off
	s_nop 0
	global_load_dword v142, v[124:125], off
	global_load_dword v143, v[126:127], off
	;; [unrolled: 1-line block ×3, first 2 shown]
	v_mad_u64_u32 v[0:1], s[8:9], v76, 20, s[8:9]
	v_mad_i64_i32 v[2:3], s[8:9], v78, 20, v[0:1]
	v_mad_i64_i32 v[4:5], s[8:9], v80, 20, v[0:1]
	;; [unrolled: 1-line block ×4, first 2 shown]
	v_add_u32_e32 v128, s5, v77
	global_load_dword v145, v[2:3], off
	global_load_dword v146, v[4:5], off
	;; [unrolled: 1-line block ×4, first 2 shown]
	v_add_u32_e32 v0, v128, v83
	v_add_u32_e32 v2, v128, v89
	;; [unrolled: 1-line block ×5, first 2 shown]
	v_mad_i64_i32 v[0:1], s[8:9], v0, 36, v[86:87]
	v_mad_i64_i32 v[2:3], s[8:9], v2, 36, v[86:87]
	;; [unrolled: 1-line block ×5, first 2 shown]
	v_add_u32_e32 v124, v128, v99
	v_add_u32_e32 v126, v128, v101
	;; [unrolled: 1-line block ×3, first 2 shown]
	v_mad_i64_i32 v[124:125], s[8:9], v124, 36, v[86:87]
	v_mad_i64_i32 v[126:127], s[8:9], v126, 36, v[86:87]
	v_mad_i64_i32 v[128:129], s[8:9], v128, 36, v[86:87]
	global_load_dword v149, v[0:1], off offset:4
	s_nop 0
	global_load_dword v2, v[2:3], off offset:4
	s_nop 0
	global_load_dword v3, v[4:5], off offset:4
	s_nop 0
	global_load_dword v4, v[6:7], off offset:4
	global_load_dword v5, v[90:91], off offset:4
	s_nop 0
	global_load_dword v6, v[124:125], off offset:4
	global_load_dword v7, v[126:127], off offset:4
	;; [unrolled: 1-line block ×3, first 2 shown]
	v_add_u32_e32 v122, s5, v88
	v_mad_u64_u32 v[0:1], s[8:9], v122, 36, s[2:3]
	global_load_dword v0, v[0:1], off
	v_mov_b32_e32 v124, v111
	s_mov_b32 s7, -4
	v_mov_b32_e32 v125, v105
	v_mov_b32_e32 v126, v110
	;; [unrolled: 1-line block ×3, first 2 shown]
	s_waitcnt vmcnt(28)
	ds_write_b32 v14, v130
	s_waitcnt vmcnt(27)
	ds_write_b32 v18, v131
	;; [unrolled: 2-line block ×29, first 2 shown]
	v_mov_b32_e32 v123, v112
	v_mov_b32_e32 v128, v108
	;; [unrolled: 1-line block ×3, first 2 shown]
	s_waitcnt lgkmcnt(0)
	s_barrier
.LBB120_7:                              ;   Parent Loop BB120_6 Depth=1
                                        ; =>  This Inner Loop Header: Depth=2
	ds_read_b128 v[0:3], v124
	ds_read_b128 v[4:7], v124 offset:16
	ds_read2_b32 v[90:91], v123 offset1:32
	ds_read_b32 v130, v126
	ds_read2_b32 v[134:135], v125 offset1:1
	ds_read2_b32 v[138:139], v125 offset0:2 offset1:3
	v_mov_b32_e32 v140, 0
	v_add_u32_e32 v144, 0x1088, v125
	v_mov_b32_e32 v146, 0
	s_waitcnt lgkmcnt(1)
	v_and_b32_e32 v131, 0xf0f0f0f, v134
	v_lshrrev_b32_e32 v132, 4, v134
	v_and_b32_e32 v132, 0xf0f0f0f, v132
	v_dot4c_i32_i8_e32 v140, v131, v0
	v_dot4c_i32_i8_e32 v140, v132, v4
	v_and_b32_e32 v133, 0xf0f0f0f, v135
	v_lshrrev_b32_e32 v134, 4, v135
	v_and_b32_e32 v134, 0xf0f0f0f, v134
	v_dot4c_i32_i8_e32 v140, v133, v1
	v_dot4c_i32_i8_e32 v140, v134, v5
	s_waitcnt lgkmcnt(0)
	v_and_b32_e32 v135, 0xf0f0f0f, v138
	v_lshrrev_b32_e32 v136, 4, v138
	v_and_b32_e32 v136, 0xf0f0f0f, v136
	v_dot4c_i32_i8_e32 v140, v135, v2
	v_dot4c_i32_i8_e32 v140, v136, v6
	v_and_b32_e32 v137, 0xf0f0f0f, v139
	v_lshrrev_b32_e32 v138, 4, v139
	v_and_b32_e32 v138, 0xf0f0f0f, v138
	v_dot4c_i32_i8_e32 v140, v137, v3
	v_dot4c_i32_i8_e32 v140, v138, v7
	v_pk_mul_f16 v139, v90, v130
	v_mov_b32_e32 v158, 0
	v_mov_b32_e32 v162, 0
	v_cvt_f32_i32_e32 v140, v140
	s_add_i32 s7, s7, 4
	v_add_u32_e32 v126, 4, v126
	s_cmp_lt_u32 s7, 12
	v_fma_mix_f32 v139, v139, v140, v139 op_sel:[0,0,1] op_sel_hi:[1,0,1]
	v_add_f32_e32 v57, v57, v139
	v_add_u32_e32 v140, 0x1080, v125
	ds_read_b32 v139, v127
	ds_read2_b32 v[142:143], v140 offset1:1
	ds_read2_b32 v[148:149], v144 offset1:1
	v_add_u32_e32 v127, 4, v127
	s_waitcnt lgkmcnt(1)
	v_and_b32_e32 v140, 0xf0f0f0f, v142
	v_lshrrev_b32_e32 v141, 4, v142
	v_and_b32_e32 v141, 0xf0f0f0f, v141
	v_dot4c_i32_i8_e32 v146, v140, v0
	v_dot4c_i32_i8_e32 v146, v141, v4
	v_and_b32_e32 v142, 0xf0f0f0f, v143
	v_lshrrev_b32_e32 v143, 4, v143
	v_and_b32_e32 v143, 0xf0f0f0f, v143
	v_dot4c_i32_i8_e32 v146, v142, v1
	v_dot4c_i32_i8_e32 v146, v143, v5
	s_waitcnt lgkmcnt(0)
	v_and_b32_e32 v144, 0xf0f0f0f, v148
	v_lshrrev_b32_e32 v145, 4, v148
	v_and_b32_e32 v145, 0xf0f0f0f, v145
	v_dot4c_i32_i8_e32 v146, v144, v2
	v_dot4c_i32_i8_e32 v146, v145, v6
	v_and_b32_e32 v147, 0xf0f0f0f, v149
	v_lshrrev_b32_e32 v148, 4, v149
	v_and_b32_e32 v148, 0xf0f0f0f, v148
	v_dot4c_i32_i8_e32 v146, v147, v3
	v_dot4c_i32_i8_e32 v146, v148, v7
	v_pk_mul_f16 v149, v90, v139
	s_nop 1
	v_cvt_f32_i32_e32 v146, v146
	v_fma_mix_f32 v146, v149, v146, v149 op_sel:[0,0,1] op_sel_hi:[1,0,1]
	v_add_f32_e32 v79, v79, v146
	v_add_u32_e32 v149, 0x2100, v125
	ds_read_b32 v146, v128
	ds_read2_b32 v[152:153], v149 offset1:1
	v_add_u32_e32 v128, 4, v128
	s_waitcnt lgkmcnt(0)
	v_and_b32_e32 v149, 0xf0f0f0f, v152
	v_lshrrev_b32_e32 v150, 4, v152
	v_and_b32_e32 v151, 0xf0f0f0f, v153
	v_lshrrev_b32_e32 v152, 4, v153
	v_add_u32_e32 v153, 0x2108, v125
	ds_read2_b32 v[154:155], v153 offset1:1
	v_and_b32_e32 v150, 0xf0f0f0f, v150
	v_dot4c_i32_i8_e32 v158, v149, v0
	v_dot4c_i32_i8_e32 v158, v150, v4
	v_and_b32_e32 v152, 0xf0f0f0f, v152
	v_dot4c_i32_i8_e32 v158, v151, v1
	v_dot4c_i32_i8_e32 v158, v152, v5
	s_waitcnt lgkmcnt(0)
	v_and_b32_e32 v153, 0xf0f0f0f, v154
	v_lshrrev_b32_e32 v154, 4, v154
	v_and_b32_e32 v154, 0xf0f0f0f, v154
	v_dot4c_i32_i8_e32 v158, v153, v2
	v_dot4c_i32_i8_e32 v158, v154, v6
	v_and_b32_e32 v156, 0xf0f0f0f, v155
	v_lshrrev_b32_e32 v155, 4, v155
	v_and_b32_e32 v157, 0xf0f0f0f, v155
	v_dot4c_i32_i8_e32 v158, v156, v3
	v_dot4c_i32_i8_e32 v158, v157, v7
	v_pk_mul_f16 v155, v90, v146
	s_nop 1
	v_cvt_f32_i32_e32 v158, v158
	v_fma_mix_f32 v155, v155, v158, v155 op_sel:[0,0,1] op_sel_hi:[1,0,1]
	v_add_f32_e32 v75, v75, v155
	v_add_u32_e32 v158, 0x3180, v125
	ds_read_b32 v155, v129
	ds_read2_b32 v[160:161], v158 offset1:1
	v_add_u32_e32 v129, 4, v129
	s_waitcnt lgkmcnt(0)
	v_and_b32_e32 v158, 0xf0f0f0f, v160
	v_lshrrev_b32_e32 v159, 4, v160
	v_and_b32_e32 v159, 0xf0f0f0f, v159
	v_dot4c_i32_i8_e32 v162, v158, v0
	v_lshrrev_b32_e32 v0, 4, v161
	v_dot4c_i32_i8_e32 v162, v159, v4
	v_and_b32_e32 v4, 0xf0f0f0f, v161
	v_and_b32_e32 v160, 0xf0f0f0f, v0
	v_add_u32_e32 v0, 0x3188, v125
	v_dot4c_i32_i8_e32 v162, v4, v1
	ds_read2_b32 v[0:1], v0 offset1:1
	v_dot4c_i32_i8_e32 v162, v160, v5
	v_add_u32_e32 v125, 16, v125
	s_waitcnt lgkmcnt(0)
	v_and_b32_e32 v5, 0xf0f0f0f, v0
	v_lshrrev_b32_e32 v0, 4, v0
	v_and_b32_e32 v161, 0xf0f0f0f, v0
	v_dot4c_i32_i8_e32 v162, v5, v2
	v_dot4c_i32_i8_e32 v162, v161, v6
	v_and_b32_e32 v2, 0xf0f0f0f, v1
	v_lshrrev_b32_e32 v0, 4, v1
	v_and_b32_e32 v6, 0xf0f0f0f, v0
	v_dot4c_i32_i8_e32 v162, v2, v3
	v_dot4c_i32_i8_e32 v162, v6, v7
	v_pk_mul_f16 v0, v90, v155
	v_mov_b32_e32 v3, 0
	s_nop 0
	v_cvt_f32_i32_e32 v1, v162
	ds_read_b128 v[162:165], v124 offset:1024
	ds_read_b128 v[166:169], v124 offset:1040
	v_fma_mix_f32 v0, v0, v1, v0 op_sel:[0,0,1] op_sel_hi:[1,0,1]
	v_add_f32_e32 v73, v73, v0
	v_mov_b32_e32 v0, 0
	s_waitcnt lgkmcnt(1)
	v_dot4c_i32_i8_e32 v0, v131, v162
	s_waitcnt lgkmcnt(0)
	v_dot4c_i32_i8_e32 v0, v132, v166
	v_dot4c_i32_i8_e32 v0, v133, v163
	v_dot4c_i32_i8_e32 v0, v134, v167
	v_dot4c_i32_i8_e32 v0, v135, v164
	v_dot4c_i32_i8_e32 v0, v136, v168
	v_dot4c_i32_i8_e32 v0, v137, v165
	v_dot4c_i32_i8_e32 v0, v138, v169
	v_pk_mul_f16 v1, v130, v91
	s_nop 1
	v_cvt_f32_i32_e32 v0, v0
	v_fma_mix_f32 v0, v0, v1, v1 op_sel:[0,0,1] op_sel_hi:[0,1,1]
	v_add_f32_e32 v71, v71, v0
	v_mov_b32_e32 v0, 0
	v_dot4c_i32_i8_e32 v0, v140, v162
	v_dot4c_i32_i8_e32 v0, v141, v166
	v_dot4c_i32_i8_e32 v0, v142, v163
	v_dot4c_i32_i8_e32 v0, v143, v167
	v_dot4c_i32_i8_e32 v0, v144, v164
	v_dot4c_i32_i8_e32 v0, v145, v168
	v_dot4c_i32_i8_e32 v0, v147, v165
	v_dot4c_i32_i8_e32 v0, v148, v169
	v_pk_mul_f16 v1, v139, v91
	s_nop 1
	v_cvt_f32_i32_e32 v0, v0
	v_fma_mix_f32 v0, v0, v1, v1 op_sel:[0,0,1] op_sel_hi:[0,1,1]
	v_add_f32_e32 v69, v69, v0
	v_mov_b32_e32 v0, 0
	v_dot4c_i32_i8_e32 v0, v149, v162
	;; [unrolled: 14-line block ×3, first 2 shown]
	v_dot4c_i32_i8_e32 v0, v159, v166
	v_dot4c_i32_i8_e32 v0, v4, v163
	;; [unrolled: 1-line block ×7, first 2 shown]
	v_pk_mul_f16 v1, v155, v91
	s_nop 1
	v_cvt_f32_i32_e32 v0, v0
	v_fma_mix_f32 v0, v0, v1, v1 op_sel:[0,0,1] op_sel_hi:[0,1,1]
	v_add_f32_e32 v63, v63, v0
	ds_read_b128 v[162:165], v124 offset:2048
	ds_read_b128 v[166:169], v124 offset:2064
	ds_read2_b32 v[0:1], v123 offset0:64 offset1:96
	s_waitcnt lgkmcnt(2)
	v_dot4c_i32_i8_e32 v3, v131, v162
	s_waitcnt lgkmcnt(1)
	v_dot4c_i32_i8_e32 v3, v132, v166
	v_dot4c_i32_i8_e32 v3, v133, v163
	;; [unrolled: 1-line block ×7, first 2 shown]
	s_waitcnt lgkmcnt(0)
	v_pk_mul_f16 v7, v130, v0
	s_nop 0
	v_cvt_f32_i32_e32 v3, v3
	v_fma_mix_f32 v3, v3, v7, v7 op_sel:[0,0,1] op_sel_hi:[0,1,1]
	v_add_f32_e32 v61, v61, v3
	v_mov_b32_e32 v3, 0
	v_dot4c_i32_i8_e32 v3, v140, v162
	v_dot4c_i32_i8_e32 v3, v141, v166
	;; [unrolled: 1-line block ×8, first 2 shown]
	v_pk_mul_f16 v7, v139, v0
	s_nop 1
	v_cvt_f32_i32_e32 v3, v3
	v_fma_mix_f32 v3, v3, v7, v7 op_sel:[0,0,1] op_sel_hi:[0,1,1]
	v_add_f32_e32 v59, v59, v3
	v_mov_b32_e32 v3, 0
	v_dot4c_i32_i8_e32 v3, v149, v162
	v_dot4c_i32_i8_e32 v3, v150, v166
	;; [unrolled: 1-line block ×8, first 2 shown]
	v_pk_mul_f16 v7, v146, v0
	v_pk_mul_f16 v0, v155, v0
	s_nop 0
	v_cvt_f32_i32_e32 v3, v3
	v_fma_mix_f32 v3, v3, v7, v7 op_sel:[0,0,1] op_sel_hi:[0,1,1]
	v_add_f32_e32 v55, v55, v3
	v_mov_b32_e32 v3, 0
	v_dot4c_i32_i8_e32 v3, v158, v162
	v_dot4c_i32_i8_e32 v3, v159, v166
	;; [unrolled: 1-line block ×8, first 2 shown]
	ds_read_b128 v[162:165], v124 offset:3072
	ds_read_b128 v[166:169], v124 offset:3088
	s_nop 0
	v_cvt_f32_i32_e32 v3, v3
	v_fma_mix_f32 v0, v3, v0, v0 op_sel:[0,0,1] op_sel_hi:[0,1,1]
	v_add_f32_e32 v51, v51, v0
	v_mov_b32_e32 v0, 0
	s_waitcnt lgkmcnt(1)
	v_dot4c_i32_i8_e32 v0, v131, v162
	s_waitcnt lgkmcnt(0)
	v_dot4c_i32_i8_e32 v0, v132, v166
	v_dot4c_i32_i8_e32 v0, v133, v163
	;; [unrolled: 1-line block ×7, first 2 shown]
	v_pk_mul_f16 v3, v130, v1
	s_nop 1
	v_cvt_f32_i32_e32 v0, v0
	v_fma_mix_f32 v0, v0, v3, v3 op_sel:[0,0,1] op_sel_hi:[0,1,1]
	v_add_f32_e32 v47, v47, v0
	v_mov_b32_e32 v0, 0
	v_dot4c_i32_i8_e32 v0, v140, v162
	v_dot4c_i32_i8_e32 v0, v141, v166
	;; [unrolled: 1-line block ×8, first 2 shown]
	v_pk_mul_f16 v3, v139, v1
	s_nop 1
	v_cvt_f32_i32_e32 v0, v0
	v_fma_mix_f32 v0, v0, v3, v3 op_sel:[0,0,1] op_sel_hi:[0,1,1]
	v_add_f32_e32 v45, v45, v0
	v_mov_b32_e32 v0, 0
	v_dot4c_i32_i8_e32 v0, v149, v162
	v_dot4c_i32_i8_e32 v0, v150, v166
	;; [unrolled: 1-line block ×8, first 2 shown]
	v_pk_mul_f16 v3, v146, v1
	v_pk_mul_f16 v1, v155, v1
	s_nop 0
	v_cvt_f32_i32_e32 v0, v0
	v_fma_mix_f32 v0, v0, v3, v3 op_sel:[0,0,1] op_sel_hi:[0,1,1]
	v_add_f32_e32 v43, v43, v0
	v_mov_b32_e32 v0, 0
	v_dot4c_i32_i8_e32 v0, v158, v162
	v_dot4c_i32_i8_e32 v0, v159, v166
	;; [unrolled: 1-line block ×8, first 2 shown]
	v_mov_b32_e32 v3, 0
	s_nop 1
	v_cvt_f32_i32_e32 v0, v0
	v_fma_mix_f32 v0, v0, v1, v1 op_sel:[0,0,1] op_sel_hi:[0,1,1]
	v_add_f32_e32 v41, v41, v0
	ds_read_b128 v[162:165], v124 offset:4096
	ds_read_b128 v[166:169], v124 offset:4112
	ds_read2_b32 v[0:1], v123 offset0:128 offset1:160
	s_waitcnt lgkmcnt(2)
	v_dot4c_i32_i8_e32 v3, v131, v162
	s_waitcnt lgkmcnt(1)
	v_dot4c_i32_i8_e32 v3, v132, v166
	v_dot4c_i32_i8_e32 v3, v133, v163
	;; [unrolled: 1-line block ×7, first 2 shown]
	s_waitcnt lgkmcnt(0)
	v_pk_mul_f16 v7, v130, v0
	s_nop 0
	v_cvt_f32_i32_e32 v3, v3
	v_fma_mix_f32 v3, v3, v7, v7 op_sel:[0,0,1] op_sel_hi:[0,1,1]
	v_add_f32_e32 v39, v39, v3
	v_mov_b32_e32 v3, 0
	v_dot4c_i32_i8_e32 v3, v140, v162
	v_dot4c_i32_i8_e32 v3, v141, v166
	v_dot4c_i32_i8_e32 v3, v142, v163
	v_dot4c_i32_i8_e32 v3, v143, v167
	v_dot4c_i32_i8_e32 v3, v144, v164
	v_dot4c_i32_i8_e32 v3, v145, v168
	v_dot4c_i32_i8_e32 v3, v147, v165
	v_dot4c_i32_i8_e32 v3, v148, v169
	v_pk_mul_f16 v7, v139, v0
	s_nop 1
	v_cvt_f32_i32_e32 v3, v3
	v_fma_mix_f32 v3, v3, v7, v7 op_sel:[0,0,1] op_sel_hi:[0,1,1]
	v_add_f32_e32 v37, v37, v3
	v_mov_b32_e32 v3, 0
	v_dot4c_i32_i8_e32 v3, v149, v162
	v_dot4c_i32_i8_e32 v3, v150, v166
	;; [unrolled: 1-line block ×8, first 2 shown]
	v_pk_mul_f16 v7, v146, v0
	v_pk_mul_f16 v0, v155, v0
	s_nop 0
	v_cvt_f32_i32_e32 v3, v3
	v_fma_mix_f32 v3, v3, v7, v7 op_sel:[0,0,1] op_sel_hi:[0,1,1]
	v_add_f32_e32 v35, v35, v3
	v_mov_b32_e32 v3, 0
	v_dot4c_i32_i8_e32 v3, v158, v162
	v_dot4c_i32_i8_e32 v3, v159, v166
	;; [unrolled: 1-line block ×8, first 2 shown]
	ds_read_b128 v[162:165], v124 offset:5120
	ds_read_b128 v[166:169], v124 offset:5136
	s_nop 0
	v_cvt_f32_i32_e32 v3, v3
	v_fma_mix_f32 v0, v3, v0, v0 op_sel:[0,0,1] op_sel_hi:[0,1,1]
	v_add_f32_e32 v33, v33, v0
	v_mov_b32_e32 v0, 0
	s_waitcnt lgkmcnt(1)
	v_dot4c_i32_i8_e32 v0, v131, v162
	s_waitcnt lgkmcnt(0)
	v_dot4c_i32_i8_e32 v0, v132, v166
	v_dot4c_i32_i8_e32 v0, v133, v163
	;; [unrolled: 1-line block ×7, first 2 shown]
	v_pk_mul_f16 v3, v130, v1
	s_nop 1
	v_cvt_f32_i32_e32 v0, v0
	v_fma_mix_f32 v0, v0, v3, v3 op_sel:[0,0,1] op_sel_hi:[0,1,1]
	v_add_f32_e32 v31, v31, v0
	v_mov_b32_e32 v0, 0
	v_dot4c_i32_i8_e32 v0, v140, v162
	v_dot4c_i32_i8_e32 v0, v141, v166
	;; [unrolled: 1-line block ×8, first 2 shown]
	v_pk_mul_f16 v3, v139, v1
	s_nop 1
	v_cvt_f32_i32_e32 v0, v0
	v_fma_mix_f32 v0, v0, v3, v3 op_sel:[0,0,1] op_sel_hi:[0,1,1]
	v_add_f32_e32 v29, v29, v0
	v_mov_b32_e32 v0, 0
	v_dot4c_i32_i8_e32 v0, v149, v162
	v_dot4c_i32_i8_e32 v0, v150, v166
	;; [unrolled: 1-line block ×8, first 2 shown]
	v_pk_mul_f16 v3, v146, v1
	v_pk_mul_f16 v1, v155, v1
	s_nop 0
	v_cvt_f32_i32_e32 v0, v0
	v_fma_mix_f32 v0, v0, v3, v3 op_sel:[0,0,1] op_sel_hi:[0,1,1]
	v_add_f32_e32 v27, v27, v0
	v_mov_b32_e32 v0, 0
	v_dot4c_i32_i8_e32 v0, v158, v162
	v_dot4c_i32_i8_e32 v0, v159, v166
	;; [unrolled: 1-line block ×8, first 2 shown]
	v_mov_b32_e32 v3, 0
	s_nop 1
	v_cvt_f32_i32_e32 v0, v0
	v_fma_mix_f32 v0, v0, v1, v1 op_sel:[0,0,1] op_sel_hi:[0,1,1]
	v_add_f32_e32 v25, v25, v0
	ds_read_b128 v[162:165], v124 offset:6144
	ds_read_b128 v[166:169], v124 offset:6160
	ds_read2_b32 v[0:1], v123 offset0:192 offset1:224
	v_add_u32_e32 v123, 4, v123
	s_waitcnt lgkmcnt(2)
	v_dot4c_i32_i8_e32 v3, v131, v162
	s_waitcnt lgkmcnt(1)
	v_dot4c_i32_i8_e32 v3, v132, v166
	v_dot4c_i32_i8_e32 v3, v133, v163
	;; [unrolled: 1-line block ×7, first 2 shown]
	s_waitcnt lgkmcnt(0)
	v_pk_mul_f16 v7, v130, v0
	s_nop 0
	v_cvt_f32_i32_e32 v3, v3
	v_fma_mix_f32 v3, v3, v7, v7 op_sel:[0,0,1] op_sel_hi:[0,1,1]
	v_add_f32_e32 v23, v23, v3
	v_mov_b32_e32 v3, 0
	v_dot4c_i32_i8_e32 v3, v140, v162
	v_dot4c_i32_i8_e32 v3, v141, v166
	;; [unrolled: 1-line block ×8, first 2 shown]
	v_pk_mul_f16 v7, v139, v0
	s_nop 1
	v_cvt_f32_i32_e32 v3, v3
	v_fma_mix_f32 v3, v3, v7, v7 op_sel:[0,0,1] op_sel_hi:[0,1,1]
	v_add_f32_e32 v21, v21, v3
	v_mov_b32_e32 v3, 0
	v_dot4c_i32_i8_e32 v3, v149, v162
	v_dot4c_i32_i8_e32 v3, v150, v166
	;; [unrolled: 1-line block ×8, first 2 shown]
	v_pk_mul_f16 v7, v146, v0
	v_pk_mul_f16 v0, v155, v0
	s_nop 0
	v_cvt_f32_i32_e32 v3, v3
	v_fma_mix_f32 v3, v3, v7, v7 op_sel:[0,0,1] op_sel_hi:[0,1,1]
	v_add_f32_e32 v19, v19, v3
	v_mov_b32_e32 v3, 0
	v_dot4c_i32_i8_e32 v3, v158, v162
	v_dot4c_i32_i8_e32 v3, v159, v166
	;; [unrolled: 1-line block ×8, first 2 shown]
	ds_read_b128 v[162:165], v124 offset:7168
	ds_read_b128 v[166:169], v124 offset:7184
	v_add_u32_e32 v124, 32, v124
	v_cvt_f32_i32_e32 v3, v3
	v_fma_mix_f32 v0, v3, v0, v0 op_sel:[0,0,1] op_sel_hi:[0,1,1]
	v_add_f32_e32 v17, v17, v0
	v_mov_b32_e32 v0, 0
	s_waitcnt lgkmcnt(1)
	v_dot4c_i32_i8_e32 v0, v131, v162
	s_waitcnt lgkmcnt(0)
	v_dot4c_i32_i8_e32 v0, v132, v166
	v_dot4c_i32_i8_e32 v0, v133, v163
	;; [unrolled: 1-line block ×7, first 2 shown]
	v_pk_mul_f16 v3, v130, v1
	s_nop 1
	v_cvt_f32_i32_e32 v0, v0
	v_fma_mix_f32 v0, v0, v3, v3 op_sel:[0,0,1] op_sel_hi:[0,1,1]
	v_add_f32_e32 v15, v15, v0
	v_mov_b32_e32 v0, 0
	v_dot4c_i32_i8_e32 v0, v140, v162
	v_dot4c_i32_i8_e32 v0, v141, v166
	v_dot4c_i32_i8_e32 v0, v142, v163
	v_dot4c_i32_i8_e32 v0, v143, v167
	v_dot4c_i32_i8_e32 v0, v144, v164
	v_dot4c_i32_i8_e32 v0, v145, v168
	v_dot4c_i32_i8_e32 v0, v147, v165
	v_dot4c_i32_i8_e32 v0, v148, v169
	v_pk_mul_f16 v3, v139, v1
	s_nop 1
	v_cvt_f32_i32_e32 v0, v0
	v_fma_mix_f32 v0, v0, v3, v3 op_sel:[0,0,1] op_sel_hi:[0,1,1]
	v_add_f32_e32 v13, v13, v0
	v_mov_b32_e32 v0, 0
	v_dot4c_i32_i8_e32 v0, v149, v162
	v_dot4c_i32_i8_e32 v0, v150, v166
	;; [unrolled: 1-line block ×8, first 2 shown]
	v_pk_mul_f16 v3, v146, v1
	v_pk_mul_f16 v1, v155, v1
	s_nop 0
	v_cvt_f32_i32_e32 v0, v0
	v_fma_mix_f32 v0, v0, v3, v3 op_sel:[0,0,1] op_sel_hi:[0,1,1]
	v_add_f32_e32 v11, v11, v0
	v_mov_b32_e32 v0, 0
	v_dot4c_i32_i8_e32 v0, v158, v162
	v_dot4c_i32_i8_e32 v0, v159, v166
	;; [unrolled: 1-line block ×8, first 2 shown]
	s_nop 2
	v_cvt_f32_i32_e32 v0, v0
	v_fma_mix_f32 v0, v0, v1, v1 op_sel:[0,0,1] op_sel_hi:[0,1,1]
	v_add_f32_e32 v9, v9, v0
	s_cbranch_scc1 .LBB120_7
; %bb.8:                                ;   in Loop: Header=BB120_6 Depth=1
	s_or_b32 s7, s5, 4
	s_cmp_ge_i32 s7, s4
	s_barrier
	s_cbranch_scc1 .LBB120_5
; %bb.9:                                ;   in Loop: Header=BB120_6 Depth=1
	v_add_u32_e32 v123, s5, v106
	v_add_u32_e32 v0, v123, v83
	;; [unrolled: 1-line block ×6, first 2 shown]
	v_mad_i64_i32 v[0:1], s[8:9], v0, 36, v[86:87]
	v_mad_i64_i32 v[2:3], s[8:9], v2, 36, v[86:87]
	;; [unrolled: 1-line block ×5, first 2 shown]
	v_add_u32_e32 v124, v123, v99
	v_add_u32_e32 v126, v123, v101
	;; [unrolled: 1-line block ×3, first 2 shown]
	v_mad_i64_i32 v[124:125], s[8:9], v124, 36, v[86:87]
	v_mad_i64_i32 v[126:127], s[8:9], v126, 36, v[86:87]
	;; [unrolled: 1-line block ×3, first 2 shown]
	global_load_dword v130, v[0:1], off offset:4
	s_nop 0
	global_load_dword v2, v[2:3], off offset:4
	s_nop 0
	global_load_dword v3, v[4:5], off offset:4
	s_nop 0
	global_load_dword v4, v[6:7], off offset:4
	global_load_dword v5, v[90:91], off offset:4
                                        ; kill: killed $vgpr90_vgpr91
                                        ; kill: killed $vgpr6_vgpr7
	s_nop 0
	global_load_dword v6, v[124:125], off offset:4
	global_load_dword v7, v[126:127], off offset:4
	;; [unrolled: 1-line block ×3, first 2 shown]
	v_add_u32_e32 v0, 4, v122
	v_mad_u64_u32 v[0:1], s[8:9], v0, 36, s[2:3]
	global_load_dword v0, v[0:1], off
	s_mov_b32 s7, 12
	v_mov_b32_e32 v122, v112
	v_mov_b32_e32 v123, v111
	;; [unrolled: 1-line block ×7, first 2 shown]
	s_waitcnt vmcnt(8)
	ds_write_b32 v85, v130
	s_waitcnt vmcnt(7)
	ds_write_b32 v92, v2
	;; [unrolled: 2-line block ×9, first 2 shown]
	s_waitcnt lgkmcnt(0)
	s_barrier
.LBB120_10:                             ;   Parent Loop BB120_6 Depth=1
                                        ; =>  This Inner Loop Header: Depth=2
	ds_read_b128 v[0:3], v123
	ds_read_b128 v[4:7], v123 offset:16
	ds_read2_b32 v[90:91], v122 offset1:32
	ds_read_b32 v129, v125
	ds_read2_b32 v[132:133], v124 offset1:1
	ds_read2_b32 v[136:137], v124 offset0:2 offset1:3
	v_mov_b32_e32 v138, 0
	v_mov_b32_e32 v148, 0
	s_waitcnt lgkmcnt(2)
	v_pk_mul_f16 v139, v90, v129
	s_waitcnt lgkmcnt(1)
	v_and_b32_e32 v130, 0xf0f0f0f, v132
	v_lshrrev_b32_e32 v131, 4, v132
	v_and_b32_e32 v131, 0xf0f0f0f, v131
	v_dot4c_i32_i8_e32 v138, v130, v0
	v_dot4c_i32_i8_e32 v138, v131, v4
	v_and_b32_e32 v132, 0xf0f0f0f, v133
	v_lshrrev_b32_e32 v133, 4, v133
	v_and_b32_e32 v133, 0xf0f0f0f, v133
	v_dot4c_i32_i8_e32 v138, v132, v1
	v_dot4c_i32_i8_e32 v138, v133, v5
	s_waitcnt lgkmcnt(0)
	v_and_b32_e32 v134, 0xf0f0f0f, v136
	v_lshrrev_b32_e32 v135, 4, v136
	v_and_b32_e32 v135, 0xf0f0f0f, v135
	v_dot4c_i32_i8_e32 v138, v134, v2
	v_dot4c_i32_i8_e32 v138, v135, v6
	v_and_b32_e32 v136, 0xf0f0f0f, v137
	v_lshrrev_b32_e32 v137, 4, v137
	v_and_b32_e32 v137, 0xf0f0f0f, v137
	v_dot4c_i32_i8_e32 v138, v136, v3
	v_dot4c_i32_i8_e32 v138, v137, v7
	v_add_u32_e32 v152, 0x2108, v124
	v_mov_b32_e32 v154, 0
	v_mov_b32_e32 v161, 0
	v_cvt_f32_i32_e32 v138, v138
	s_add_i32 s7, s7, 4
	v_add_u32_e32 v125, 4, v125
	s_cmp_lt_u32 s7, 28
	v_fma_mix_f32 v138, v139, v138, v139 op_sel:[0,0,1] op_sel_hi:[1,0,1]
	v_add_f32_e32 v57, v57, v138
	v_add_u32_e32 v139, 0x1080, v124
	ds_read_b32 v138, v126
	ds_read2_b32 v[142:143], v139 offset1:1
	v_add_u32_e32 v126, 4, v126
	s_waitcnt lgkmcnt(0)
	v_and_b32_e32 v139, 0xf0f0f0f, v142
	v_lshrrev_b32_e32 v140, 4, v142
	v_and_b32_e32 v141, 0xf0f0f0f, v143
	v_lshrrev_b32_e32 v142, 4, v143
	v_add_u32_e32 v143, 0x1088, v124
	ds_read2_b32 v[144:145], v143 offset1:1
	v_and_b32_e32 v140, 0xf0f0f0f, v140
	v_dot4c_i32_i8_e32 v148, v139, v0
	v_dot4c_i32_i8_e32 v148, v140, v4
	v_and_b32_e32 v142, 0xf0f0f0f, v142
	v_dot4c_i32_i8_e32 v148, v141, v1
	v_dot4c_i32_i8_e32 v148, v142, v5
	s_waitcnt lgkmcnt(0)
	v_and_b32_e32 v143, 0xf0f0f0f, v144
	v_lshrrev_b32_e32 v144, 4, v144
	v_and_b32_e32 v144, 0xf0f0f0f, v144
	v_dot4c_i32_i8_e32 v148, v143, v2
	v_dot4c_i32_i8_e32 v148, v144, v6
	v_and_b32_e32 v146, 0xf0f0f0f, v145
	v_lshrrev_b32_e32 v145, 4, v145
	v_and_b32_e32 v147, 0xf0f0f0f, v145
	v_dot4c_i32_i8_e32 v148, v146, v3
	v_dot4c_i32_i8_e32 v148, v147, v7
	v_pk_mul_f16 v145, v90, v138
	s_nop 1
	v_cvt_f32_i32_e32 v148, v148
	v_fma_mix_f32 v145, v145, v148, v145 op_sel:[0,0,1] op_sel_hi:[1,0,1]
	v_add_f32_e32 v79, v79, v145
	v_add_u32_e32 v148, 0x2100, v124
	ds_read_b32 v145, v127
	ds_read2_b32 v[150:151], v148 offset1:1
	ds_read2_b32 v[156:157], v152 offset1:1
	v_add_u32_e32 v127, 4, v127
	s_waitcnt lgkmcnt(1)
	v_and_b32_e32 v148, 0xf0f0f0f, v150
	v_lshrrev_b32_e32 v149, 4, v150
	v_and_b32_e32 v149, 0xf0f0f0f, v149
	v_dot4c_i32_i8_e32 v154, v148, v0
	v_dot4c_i32_i8_e32 v154, v149, v4
	v_and_b32_e32 v150, 0xf0f0f0f, v151
	v_lshrrev_b32_e32 v151, 4, v151
	v_and_b32_e32 v151, 0xf0f0f0f, v151
	v_dot4c_i32_i8_e32 v154, v150, v1
	v_dot4c_i32_i8_e32 v154, v151, v5
	s_waitcnt lgkmcnt(0)
	v_and_b32_e32 v152, 0xf0f0f0f, v156
	v_lshrrev_b32_e32 v153, 4, v156
	v_and_b32_e32 v153, 0xf0f0f0f, v153
	v_dot4c_i32_i8_e32 v154, v152, v2
	v_dot4c_i32_i8_e32 v154, v153, v6
	v_and_b32_e32 v155, 0xf0f0f0f, v157
	v_lshrrev_b32_e32 v156, 4, v157
	v_and_b32_e32 v156, 0xf0f0f0f, v156
	v_dot4c_i32_i8_e32 v154, v155, v3
	v_dot4c_i32_i8_e32 v154, v156, v7
	v_pk_mul_f16 v157, v90, v145
	s_nop 1
	v_cvt_f32_i32_e32 v154, v154
	v_fma_mix_f32 v154, v157, v154, v157 op_sel:[0,0,1] op_sel_hi:[1,0,1]
	v_add_f32_e32 v75, v75, v154
	v_add_u32_e32 v157, 0x3180, v124
	ds_read_b32 v154, v128
	ds_read2_b32 v[158:159], v157 offset1:1
	v_add_u32_e32 v128, 4, v128
	s_waitcnt lgkmcnt(0)
	v_and_b32_e32 v157, 0xf0f0f0f, v158
	v_lshrrev_b32_e32 v158, 4, v158
	v_and_b32_e32 v158, 0xf0f0f0f, v158
	v_dot4c_i32_i8_e32 v161, v157, v0
	v_lshrrev_b32_e32 v0, 4, v159
	v_dot4c_i32_i8_e32 v161, v158, v4
	v_and_b32_e32 v4, 0xf0f0f0f, v159
	v_and_b32_e32 v159, 0xf0f0f0f, v0
	v_add_u32_e32 v0, 0x3188, v124
	v_dot4c_i32_i8_e32 v161, v4, v1
	ds_read2_b32 v[0:1], v0 offset1:1
	v_dot4c_i32_i8_e32 v161, v159, v5
	ds_read_b128 v[162:165], v123 offset:1024
	ds_read_b128 v[166:169], v123 offset:1040
	v_add_u32_e32 v124, 16, v124
	s_waitcnt lgkmcnt(2)
	v_and_b32_e32 v5, 0xf0f0f0f, v0
	v_lshrrev_b32_e32 v0, 4, v0
	v_and_b32_e32 v160, 0xf0f0f0f, v0
	v_dot4c_i32_i8_e32 v161, v5, v2
	v_dot4c_i32_i8_e32 v161, v160, v6
	v_and_b32_e32 v2, 0xf0f0f0f, v1
	v_lshrrev_b32_e32 v0, 4, v1
	v_and_b32_e32 v6, 0xf0f0f0f, v0
	v_dot4c_i32_i8_e32 v161, v2, v3
	v_dot4c_i32_i8_e32 v161, v6, v7
	v_pk_mul_f16 v0, v90, v154
	v_mov_b32_e32 v3, 0
	s_nop 0
	v_cvt_f32_i32_e32 v1, v161
	v_fma_mix_f32 v0, v0, v1, v0 op_sel:[0,0,1] op_sel_hi:[1,0,1]
	v_add_f32_e32 v73, v73, v0
	v_mov_b32_e32 v0, 0
	s_waitcnt lgkmcnt(1)
	v_dot4c_i32_i8_e32 v0, v130, v162
	s_waitcnt lgkmcnt(0)
	v_dot4c_i32_i8_e32 v0, v131, v166
	v_dot4c_i32_i8_e32 v0, v132, v163
	v_dot4c_i32_i8_e32 v0, v133, v167
	v_dot4c_i32_i8_e32 v0, v134, v164
	v_dot4c_i32_i8_e32 v0, v135, v168
	v_dot4c_i32_i8_e32 v0, v136, v165
	v_dot4c_i32_i8_e32 v0, v137, v169
	v_pk_mul_f16 v1, v129, v91
	s_nop 1
	v_cvt_f32_i32_e32 v0, v0
	v_fma_mix_f32 v0, v0, v1, v1 op_sel:[0,0,1] op_sel_hi:[0,1,1]
	v_add_f32_e32 v71, v71, v0
	v_mov_b32_e32 v0, 0
	v_dot4c_i32_i8_e32 v0, v139, v162
	v_dot4c_i32_i8_e32 v0, v140, v166
	v_dot4c_i32_i8_e32 v0, v141, v163
	v_dot4c_i32_i8_e32 v0, v142, v167
	v_dot4c_i32_i8_e32 v0, v143, v164
	v_dot4c_i32_i8_e32 v0, v144, v168
	v_dot4c_i32_i8_e32 v0, v146, v165
	v_dot4c_i32_i8_e32 v0, v147, v169
	v_pk_mul_f16 v1, v138, v91
	s_nop 1
	v_cvt_f32_i32_e32 v0, v0
	v_fma_mix_f32 v0, v0, v1, v1 op_sel:[0,0,1] op_sel_hi:[0,1,1]
	v_add_f32_e32 v69, v69, v0
	v_mov_b32_e32 v0, 0
	v_dot4c_i32_i8_e32 v0, v148, v162
	;; [unrolled: 14-line block ×3, first 2 shown]
	v_dot4c_i32_i8_e32 v0, v158, v166
	v_dot4c_i32_i8_e32 v0, v4, v163
	;; [unrolled: 1-line block ×7, first 2 shown]
	v_pk_mul_f16 v1, v154, v91
	s_nop 1
	v_cvt_f32_i32_e32 v0, v0
	v_fma_mix_f32 v0, v0, v1, v1 op_sel:[0,0,1] op_sel_hi:[0,1,1]
	v_add_f32_e32 v63, v63, v0
	ds_read_b128 v[162:165], v123 offset:2048
	ds_read_b128 v[166:169], v123 offset:2064
	ds_read2_b32 v[0:1], v122 offset0:64 offset1:96
	s_waitcnt lgkmcnt(2)
	v_dot4c_i32_i8_e32 v3, v130, v162
	s_waitcnt lgkmcnt(1)
	v_dot4c_i32_i8_e32 v3, v131, v166
	v_dot4c_i32_i8_e32 v3, v132, v163
	;; [unrolled: 1-line block ×7, first 2 shown]
	s_waitcnt lgkmcnt(0)
	v_pk_mul_f16 v7, v129, v0
	s_nop 0
	v_cvt_f32_i32_e32 v3, v3
	v_fma_mix_f32 v3, v3, v7, v7 op_sel:[0,0,1] op_sel_hi:[0,1,1]
	v_add_f32_e32 v61, v61, v3
	v_mov_b32_e32 v3, 0
	v_dot4c_i32_i8_e32 v3, v139, v162
	v_dot4c_i32_i8_e32 v3, v140, v166
	;; [unrolled: 1-line block ×8, first 2 shown]
	v_pk_mul_f16 v7, v138, v0
	s_nop 1
	v_cvt_f32_i32_e32 v3, v3
	v_fma_mix_f32 v3, v3, v7, v7 op_sel:[0,0,1] op_sel_hi:[0,1,1]
	v_add_f32_e32 v59, v59, v3
	v_mov_b32_e32 v3, 0
	v_dot4c_i32_i8_e32 v3, v148, v162
	v_dot4c_i32_i8_e32 v3, v149, v166
	;; [unrolled: 1-line block ×8, first 2 shown]
	v_pk_mul_f16 v7, v145, v0
	v_pk_mul_f16 v0, v154, v0
	s_nop 0
	v_cvt_f32_i32_e32 v3, v3
	v_fma_mix_f32 v3, v3, v7, v7 op_sel:[0,0,1] op_sel_hi:[0,1,1]
	v_add_f32_e32 v55, v55, v3
	v_mov_b32_e32 v3, 0
	v_dot4c_i32_i8_e32 v3, v157, v162
	v_dot4c_i32_i8_e32 v3, v158, v166
	;; [unrolled: 1-line block ×8, first 2 shown]
	ds_read_b128 v[162:165], v123 offset:3072
	ds_read_b128 v[166:169], v123 offset:3088
	s_nop 0
	v_cvt_f32_i32_e32 v3, v3
	v_fma_mix_f32 v0, v3, v0, v0 op_sel:[0,0,1] op_sel_hi:[0,1,1]
	v_add_f32_e32 v51, v51, v0
	v_mov_b32_e32 v0, 0
	s_waitcnt lgkmcnt(1)
	v_dot4c_i32_i8_e32 v0, v130, v162
	s_waitcnt lgkmcnt(0)
	v_dot4c_i32_i8_e32 v0, v131, v166
	v_dot4c_i32_i8_e32 v0, v132, v163
	;; [unrolled: 1-line block ×7, first 2 shown]
	v_pk_mul_f16 v3, v129, v1
	s_nop 1
	v_cvt_f32_i32_e32 v0, v0
	v_fma_mix_f32 v0, v0, v3, v3 op_sel:[0,0,1] op_sel_hi:[0,1,1]
	v_add_f32_e32 v47, v47, v0
	v_mov_b32_e32 v0, 0
	v_dot4c_i32_i8_e32 v0, v139, v162
	v_dot4c_i32_i8_e32 v0, v140, v166
	;; [unrolled: 1-line block ×8, first 2 shown]
	v_pk_mul_f16 v3, v138, v1
	s_nop 1
	v_cvt_f32_i32_e32 v0, v0
	v_fma_mix_f32 v0, v0, v3, v3 op_sel:[0,0,1] op_sel_hi:[0,1,1]
	v_add_f32_e32 v45, v45, v0
	v_mov_b32_e32 v0, 0
	v_dot4c_i32_i8_e32 v0, v148, v162
	v_dot4c_i32_i8_e32 v0, v149, v166
	;; [unrolled: 1-line block ×8, first 2 shown]
	v_pk_mul_f16 v3, v145, v1
	v_pk_mul_f16 v1, v154, v1
	s_nop 0
	v_cvt_f32_i32_e32 v0, v0
	v_fma_mix_f32 v0, v0, v3, v3 op_sel:[0,0,1] op_sel_hi:[0,1,1]
	v_add_f32_e32 v43, v43, v0
	v_mov_b32_e32 v0, 0
	v_dot4c_i32_i8_e32 v0, v157, v162
	v_dot4c_i32_i8_e32 v0, v158, v166
	;; [unrolled: 1-line block ×8, first 2 shown]
	v_mov_b32_e32 v3, 0
	s_nop 1
	v_cvt_f32_i32_e32 v0, v0
	v_fma_mix_f32 v0, v0, v1, v1 op_sel:[0,0,1] op_sel_hi:[0,1,1]
	v_add_f32_e32 v41, v41, v0
	ds_read_b128 v[162:165], v123 offset:4096
	ds_read_b128 v[166:169], v123 offset:4112
	ds_read2_b32 v[0:1], v122 offset0:128 offset1:160
	s_waitcnt lgkmcnt(2)
	v_dot4c_i32_i8_e32 v3, v130, v162
	s_waitcnt lgkmcnt(1)
	v_dot4c_i32_i8_e32 v3, v131, v166
	v_dot4c_i32_i8_e32 v3, v132, v163
	;; [unrolled: 1-line block ×7, first 2 shown]
	s_waitcnt lgkmcnt(0)
	v_pk_mul_f16 v7, v129, v0
	s_nop 0
	v_cvt_f32_i32_e32 v3, v3
	v_fma_mix_f32 v3, v3, v7, v7 op_sel:[0,0,1] op_sel_hi:[0,1,1]
	v_add_f32_e32 v39, v39, v3
	v_mov_b32_e32 v3, 0
	v_dot4c_i32_i8_e32 v3, v139, v162
	v_dot4c_i32_i8_e32 v3, v140, v166
	;; [unrolled: 1-line block ×8, first 2 shown]
	v_pk_mul_f16 v7, v138, v0
	s_nop 1
	v_cvt_f32_i32_e32 v3, v3
	v_fma_mix_f32 v3, v3, v7, v7 op_sel:[0,0,1] op_sel_hi:[0,1,1]
	v_add_f32_e32 v37, v37, v3
	v_mov_b32_e32 v3, 0
	v_dot4c_i32_i8_e32 v3, v148, v162
	v_dot4c_i32_i8_e32 v3, v149, v166
	;; [unrolled: 1-line block ×8, first 2 shown]
	v_pk_mul_f16 v7, v145, v0
	v_pk_mul_f16 v0, v154, v0
	s_nop 0
	v_cvt_f32_i32_e32 v3, v3
	v_fma_mix_f32 v3, v3, v7, v7 op_sel:[0,0,1] op_sel_hi:[0,1,1]
	v_add_f32_e32 v35, v35, v3
	v_mov_b32_e32 v3, 0
	v_dot4c_i32_i8_e32 v3, v157, v162
	v_dot4c_i32_i8_e32 v3, v158, v166
	;; [unrolled: 1-line block ×8, first 2 shown]
	ds_read_b128 v[162:165], v123 offset:5120
	ds_read_b128 v[166:169], v123 offset:5136
	s_nop 0
	v_cvt_f32_i32_e32 v3, v3
	v_fma_mix_f32 v0, v3, v0, v0 op_sel:[0,0,1] op_sel_hi:[0,1,1]
	v_add_f32_e32 v33, v33, v0
	v_mov_b32_e32 v0, 0
	s_waitcnt lgkmcnt(1)
	v_dot4c_i32_i8_e32 v0, v130, v162
	s_waitcnt lgkmcnt(0)
	v_dot4c_i32_i8_e32 v0, v131, v166
	v_dot4c_i32_i8_e32 v0, v132, v163
	;; [unrolled: 1-line block ×7, first 2 shown]
	v_pk_mul_f16 v3, v129, v1
	s_nop 1
	v_cvt_f32_i32_e32 v0, v0
	v_fma_mix_f32 v0, v0, v3, v3 op_sel:[0,0,1] op_sel_hi:[0,1,1]
	v_add_f32_e32 v31, v31, v0
	v_mov_b32_e32 v0, 0
	v_dot4c_i32_i8_e32 v0, v139, v162
	v_dot4c_i32_i8_e32 v0, v140, v166
	;; [unrolled: 1-line block ×8, first 2 shown]
	v_pk_mul_f16 v3, v138, v1
	s_nop 1
	v_cvt_f32_i32_e32 v0, v0
	v_fma_mix_f32 v0, v0, v3, v3 op_sel:[0,0,1] op_sel_hi:[0,1,1]
	v_add_f32_e32 v29, v29, v0
	v_mov_b32_e32 v0, 0
	v_dot4c_i32_i8_e32 v0, v148, v162
	v_dot4c_i32_i8_e32 v0, v149, v166
	;; [unrolled: 1-line block ×8, first 2 shown]
	v_pk_mul_f16 v3, v145, v1
	v_pk_mul_f16 v1, v154, v1
	s_nop 0
	v_cvt_f32_i32_e32 v0, v0
	v_fma_mix_f32 v0, v0, v3, v3 op_sel:[0,0,1] op_sel_hi:[0,1,1]
	v_add_f32_e32 v27, v27, v0
	v_mov_b32_e32 v0, 0
	v_dot4c_i32_i8_e32 v0, v157, v162
	v_dot4c_i32_i8_e32 v0, v158, v166
	;; [unrolled: 1-line block ×8, first 2 shown]
	v_mov_b32_e32 v3, 0
	s_nop 1
	v_cvt_f32_i32_e32 v0, v0
	v_fma_mix_f32 v0, v0, v1, v1 op_sel:[0,0,1] op_sel_hi:[0,1,1]
	v_add_f32_e32 v25, v25, v0
	ds_read_b128 v[162:165], v123 offset:6144
	ds_read_b128 v[166:169], v123 offset:6160
	ds_read2_b32 v[0:1], v122 offset0:192 offset1:224
	v_add_u32_e32 v122, 4, v122
	s_waitcnt lgkmcnt(2)
	v_dot4c_i32_i8_e32 v3, v130, v162
	s_waitcnt lgkmcnt(1)
	v_dot4c_i32_i8_e32 v3, v131, v166
	v_dot4c_i32_i8_e32 v3, v132, v163
	;; [unrolled: 1-line block ×7, first 2 shown]
	s_waitcnt lgkmcnt(0)
	v_pk_mul_f16 v7, v129, v0
	s_nop 0
	v_cvt_f32_i32_e32 v3, v3
	v_fma_mix_f32 v3, v3, v7, v7 op_sel:[0,0,1] op_sel_hi:[0,1,1]
	v_add_f32_e32 v23, v23, v3
	v_mov_b32_e32 v3, 0
	v_dot4c_i32_i8_e32 v3, v139, v162
	v_dot4c_i32_i8_e32 v3, v140, v166
	;; [unrolled: 1-line block ×8, first 2 shown]
	v_pk_mul_f16 v7, v138, v0
	s_nop 1
	v_cvt_f32_i32_e32 v3, v3
	v_fma_mix_f32 v3, v3, v7, v7 op_sel:[0,0,1] op_sel_hi:[0,1,1]
	v_add_f32_e32 v21, v21, v3
	v_mov_b32_e32 v3, 0
	v_dot4c_i32_i8_e32 v3, v148, v162
	v_dot4c_i32_i8_e32 v3, v149, v166
	;; [unrolled: 1-line block ×8, first 2 shown]
	v_pk_mul_f16 v7, v145, v0
	v_pk_mul_f16 v0, v154, v0
	s_nop 0
	v_cvt_f32_i32_e32 v3, v3
	v_fma_mix_f32 v3, v3, v7, v7 op_sel:[0,0,1] op_sel_hi:[0,1,1]
	v_add_f32_e32 v19, v19, v3
	v_mov_b32_e32 v3, 0
	v_dot4c_i32_i8_e32 v3, v157, v162
	v_dot4c_i32_i8_e32 v3, v158, v166
	;; [unrolled: 1-line block ×8, first 2 shown]
	ds_read_b128 v[162:165], v123 offset:7168
	ds_read_b128 v[166:169], v123 offset:7184
	v_add_u32_e32 v123, 32, v123
	v_cvt_f32_i32_e32 v3, v3
	v_fma_mix_f32 v0, v3, v0, v0 op_sel:[0,0,1] op_sel_hi:[0,1,1]
	v_add_f32_e32 v17, v17, v0
	v_mov_b32_e32 v0, 0
	s_waitcnt lgkmcnt(1)
	v_dot4c_i32_i8_e32 v0, v130, v162
	s_waitcnt lgkmcnt(0)
	v_dot4c_i32_i8_e32 v0, v131, v166
	v_dot4c_i32_i8_e32 v0, v132, v163
	;; [unrolled: 1-line block ×7, first 2 shown]
	v_pk_mul_f16 v3, v129, v1
	s_nop 1
	v_cvt_f32_i32_e32 v0, v0
	v_fma_mix_f32 v0, v0, v3, v3 op_sel:[0,0,1] op_sel_hi:[0,1,1]
	v_add_f32_e32 v15, v15, v0
	v_mov_b32_e32 v0, 0
	v_dot4c_i32_i8_e32 v0, v139, v162
	v_dot4c_i32_i8_e32 v0, v140, v166
	;; [unrolled: 1-line block ×8, first 2 shown]
	v_pk_mul_f16 v3, v138, v1
	s_nop 1
	v_cvt_f32_i32_e32 v0, v0
	v_fma_mix_f32 v0, v0, v3, v3 op_sel:[0,0,1] op_sel_hi:[0,1,1]
	v_add_f32_e32 v13, v13, v0
	v_mov_b32_e32 v0, 0
	v_dot4c_i32_i8_e32 v0, v148, v162
	v_dot4c_i32_i8_e32 v0, v149, v166
	;; [unrolled: 1-line block ×8, first 2 shown]
	v_pk_mul_f16 v3, v145, v1
	v_pk_mul_f16 v1, v154, v1
	s_nop 0
	v_cvt_f32_i32_e32 v0, v0
	v_fma_mix_f32 v0, v0, v3, v3 op_sel:[0,0,1] op_sel_hi:[0,1,1]
	v_add_f32_e32 v11, v11, v0
	v_mov_b32_e32 v0, 0
	v_dot4c_i32_i8_e32 v0, v157, v162
	v_dot4c_i32_i8_e32 v0, v158, v166
	;; [unrolled: 1-line block ×8, first 2 shown]
	s_nop 2
	v_cvt_f32_i32_e32 v0, v0
	v_fma_mix_f32 v0, v0, v1, v1 op_sel:[0,0,1] op_sel_hi:[0,1,1]
	v_add_f32_e32 v9, v9, v0
	s_cbranch_scc1 .LBB120_10
; %bb.11:                               ;   in Loop: Header=BB120_6 Depth=1
	s_barrier
	s_branch .LBB120_5
.LBB120_12:
	v_mov_b32_e32 v1, v53
.LBB120_13:
	v_cmp_gt_u32_e32 vcc, s10, v65
	s_and_saveexec_b64 s[0:1], vcc
	s_cbranch_execz .LBB120_64
; %bb.14:
	v_add_u32_e32 v0, s6, v49
	v_mul_lo_u32 v5, v65, s14
	v_cmp_gt_u32_e32 vcc, s14, v0
	s_and_saveexec_b64 s[2:3], vcc
	s_cbranch_execz .LBB120_16
; %bb.15:
	v_add_u32_e32 v2, v0, v5
	v_mov_b32_e32 v3, 0
	v_lshlrev_b64 v[2:3], 2, v[2:3]
	s_waitcnt lgkmcnt(0)
	v_mov_b32_e32 v4, s13
	v_add_co_u32_e64 v2, s[0:1], s12, v2
	v_addc_co_u32_e64 v3, s[0:1], v4, v3, s[0:1]
	global_store_dword v[2:3], v57, off
.LBB120_16:
	s_or_b64 exec, exec, s[2:3]
	v_add_u32_e32 v2, 32, v0
	v_cmp_gt_u32_e64 s[0:1], s14, v2
	s_and_saveexec_b64 s[4:5], s[0:1]
	s_cbranch_execz .LBB120_18
; %bb.17:
	v_add_u32_e32 v6, v2, v5
	v_mov_b32_e32 v7, 0
	v_lshlrev_b64 v[6:7], 2, v[6:7]
	s_waitcnt lgkmcnt(0)
	v_mov_b32_e32 v3, s13
	v_add_co_u32_e64 v6, s[2:3], s12, v6
	v_addc_co_u32_e64 v7, s[2:3], v3, v7, s[2:3]
	global_store_dword v[6:7], v79, off
.LBB120_18:
	s_or_b64 exec, exec, s[4:5]
	v_add_u32_e32 v3, 64, v0
	v_cmp_gt_u32_e64 s[2:3], s14, v3
	s_and_saveexec_b64 s[6:7], s[2:3]
	;; [unrolled: 15-line block ×3, first 2 shown]
	s_cbranch_execz .LBB120_22
; %bb.21:
	v_add_u32_e32 v6, v4, v5
	v_mov_b32_e32 v7, 0
	v_lshlrev_b64 v[6:7], 2, v[6:7]
	s_waitcnt lgkmcnt(0)
	v_mov_b32_e32 v5, s13
	v_add_co_u32_e64 v6, s[6:7], s12, v6
	v_addc_co_u32_e64 v7, s[6:7], v5, v7, s[6:7]
	global_store_dword v[6:7], v73, off
.LBB120_22:
	s_or_b64 exec, exec, s[8:9]
	v_add3_u32 v5, v1, s15, 8
	v_cmp_gt_u32_e64 s[6:7], s10, v5
	s_and_b64 exec, exec, s[6:7]
	s_cbranch_execz .LBB120_64
; %bb.23:
	v_mul_lo_u32 v5, v5, s14
	s_and_saveexec_b64 s[8:9], vcc
	s_cbranch_execnz .LBB120_65
; %bb.24:
	s_or_b64 exec, exec, s[8:9]
	s_and_saveexec_b64 s[8:9], s[0:1]
	s_cbranch_execnz .LBB120_66
.LBB120_25:
	s_or_b64 exec, exec, s[8:9]
	s_and_saveexec_b64 s[8:9], s[2:3]
	s_cbranch_execnz .LBB120_67
.LBB120_26:
	s_or_b64 exec, exec, s[8:9]
	s_and_saveexec_b64 s[8:9], s[4:5]
	s_cbranch_execz .LBB120_28
.LBB120_27:
	v_add_u32_e32 v6, v5, v4
	v_mov_b32_e32 v7, 0
	v_lshlrev_b64 v[6:7], 2, v[6:7]
	s_waitcnt lgkmcnt(0)
	v_mov_b32_e32 v5, s13
	v_add_co_u32_e64 v6, s[6:7], s12, v6
	v_addc_co_u32_e64 v7, s[6:7], v5, v7, s[6:7]
	global_store_dword v[6:7], v63, off
.LBB120_28:
	s_or_b64 exec, exec, s[8:9]
	v_add3_u32 v5, v1, s15, 16
	v_cmp_gt_u32_e64 s[6:7], s10, v5
	s_and_b64 exec, exec, s[6:7]
	s_cbranch_execz .LBB120_64
; %bb.29:
	v_mul_lo_u32 v5, v5, s14
	s_and_saveexec_b64 s[8:9], vcc
	s_cbranch_execnz .LBB120_68
; %bb.30:
	s_or_b64 exec, exec, s[8:9]
	s_and_saveexec_b64 s[8:9], s[0:1]
	s_cbranch_execnz .LBB120_69
.LBB120_31:
	s_or_b64 exec, exec, s[8:9]
	s_and_saveexec_b64 s[8:9], s[2:3]
	s_cbranch_execnz .LBB120_70
.LBB120_32:
	s_or_b64 exec, exec, s[8:9]
	s_and_saveexec_b64 s[8:9], s[4:5]
	s_cbranch_execz .LBB120_34
.LBB120_33:
	v_add_u32_e32 v6, v5, v4
	v_mov_b32_e32 v7, 0
	v_lshlrev_b64 v[6:7], 2, v[6:7]
	s_waitcnt lgkmcnt(0)
	v_mov_b32_e32 v5, s13
	v_add_co_u32_e64 v6, s[6:7], s12, v6
	v_addc_co_u32_e64 v7, s[6:7], v5, v7, s[6:7]
	global_store_dword v[6:7], v51, off
.LBB120_34:
	s_or_b64 exec, exec, s[8:9]
	v_add3_u32 v5, v1, s15, 24
	v_cmp_gt_u32_e64 s[6:7], s10, v5
	s_and_b64 exec, exec, s[6:7]
	s_cbranch_execz .LBB120_64
; %bb.35:
	v_mul_lo_u32 v5, v5, s14
	s_and_saveexec_b64 s[8:9], vcc
	s_cbranch_execnz .LBB120_71
; %bb.36:
	s_or_b64 exec, exec, s[8:9]
	s_and_saveexec_b64 s[8:9], s[0:1]
	s_cbranch_execnz .LBB120_72
.LBB120_37:
	s_or_b64 exec, exec, s[8:9]
	s_and_saveexec_b64 s[8:9], s[2:3]
	s_cbranch_execnz .LBB120_73
.LBB120_38:
	s_or_b64 exec, exec, s[8:9]
	s_and_saveexec_b64 s[8:9], s[4:5]
	s_cbranch_execz .LBB120_40
.LBB120_39:
	v_add_u32_e32 v6, v5, v4
	v_mov_b32_e32 v7, 0
	v_lshlrev_b64 v[6:7], 2, v[6:7]
	s_waitcnt lgkmcnt(0)
	v_mov_b32_e32 v5, s13
	v_add_co_u32_e64 v6, s[6:7], s12, v6
	v_addc_co_u32_e64 v7, s[6:7], v5, v7, s[6:7]
	global_store_dword v[6:7], v41, off
.LBB120_40:
	s_or_b64 exec, exec, s[8:9]
	v_add3_u32 v5, v1, s15, 32
	v_cmp_gt_u32_e64 s[6:7], s10, v5
	s_and_b64 exec, exec, s[6:7]
	s_cbranch_execz .LBB120_64
; %bb.41:
	v_mul_lo_u32 v5, v5, s14
	s_and_saveexec_b64 s[8:9], vcc
	s_cbranch_execnz .LBB120_74
; %bb.42:
	s_or_b64 exec, exec, s[8:9]
	s_and_saveexec_b64 s[8:9], s[0:1]
	s_cbranch_execnz .LBB120_75
.LBB120_43:
	s_or_b64 exec, exec, s[8:9]
	s_and_saveexec_b64 s[8:9], s[2:3]
	s_cbranch_execnz .LBB120_76
.LBB120_44:
	s_or_b64 exec, exec, s[8:9]
	s_and_saveexec_b64 s[8:9], s[4:5]
	s_cbranch_execz .LBB120_46
.LBB120_45:
	v_add_u32_e32 v6, v5, v4
	v_mov_b32_e32 v7, 0
	v_lshlrev_b64 v[6:7], 2, v[6:7]
	s_waitcnt lgkmcnt(0)
	v_mov_b32_e32 v5, s13
	v_add_co_u32_e64 v6, s[6:7], s12, v6
	v_addc_co_u32_e64 v7, s[6:7], v5, v7, s[6:7]
	global_store_dword v[6:7], v33, off
.LBB120_46:
	s_or_b64 exec, exec, s[8:9]
	v_add3_u32 v5, v1, s15, 40
	v_cmp_gt_u32_e64 s[6:7], s10, v5
	s_and_b64 exec, exec, s[6:7]
	s_cbranch_execz .LBB120_64
; %bb.47:
	v_mul_lo_u32 v5, v5, s14
	s_and_saveexec_b64 s[8:9], vcc
	s_cbranch_execnz .LBB120_77
; %bb.48:
	s_or_b64 exec, exec, s[8:9]
	s_and_saveexec_b64 s[8:9], s[0:1]
	s_cbranch_execnz .LBB120_78
.LBB120_49:
	s_or_b64 exec, exec, s[8:9]
	s_and_saveexec_b64 s[8:9], s[2:3]
	s_cbranch_execnz .LBB120_79
.LBB120_50:
	s_or_b64 exec, exec, s[8:9]
	s_and_saveexec_b64 s[8:9], s[4:5]
	s_cbranch_execz .LBB120_52
.LBB120_51:
	v_add_u32_e32 v6, v5, v4
	v_mov_b32_e32 v7, 0
	v_lshlrev_b64 v[6:7], 2, v[6:7]
	s_waitcnt lgkmcnt(0)
	v_mov_b32_e32 v5, s13
	v_add_co_u32_e64 v6, s[6:7], s12, v6
	v_addc_co_u32_e64 v7, s[6:7], v5, v7, s[6:7]
	global_store_dword v[6:7], v25, off
.LBB120_52:
	s_or_b64 exec, exec, s[8:9]
	v_add3_u32 v5, v1, s15, 48
	v_cmp_gt_u32_e64 s[6:7], s10, v5
	s_and_b64 exec, exec, s[6:7]
	s_cbranch_execz .LBB120_64
; %bb.53:
	v_mul_lo_u32 v5, v5, s14
	s_and_saveexec_b64 s[8:9], vcc
	s_cbranch_execnz .LBB120_80
; %bb.54:
	s_or_b64 exec, exec, s[8:9]
	s_and_saveexec_b64 s[8:9], s[0:1]
	s_cbranch_execnz .LBB120_81
.LBB120_55:
	s_or_b64 exec, exec, s[8:9]
	s_and_saveexec_b64 s[8:9], s[2:3]
	s_cbranch_execnz .LBB120_82
.LBB120_56:
	s_or_b64 exec, exec, s[8:9]
	s_and_saveexec_b64 s[8:9], s[4:5]
	s_cbranch_execz .LBB120_58
.LBB120_57:
	v_add_u32_e32 v6, v5, v4
	v_mov_b32_e32 v7, 0
	v_lshlrev_b64 v[6:7], 2, v[6:7]
	s_waitcnt lgkmcnt(0)
	v_mov_b32_e32 v5, s13
	v_add_co_u32_e64 v6, s[6:7], s12, v6
	v_addc_co_u32_e64 v7, s[6:7], v5, v7, s[6:7]
	global_store_dword v[6:7], v17, off
.LBB120_58:
	s_or_b64 exec, exec, s[8:9]
	v_add3_u32 v1, v1, s15, 56
	v_cmp_gt_u32_e64 s[6:7], s10, v1
	s_and_b64 exec, exec, s[6:7]
	s_cbranch_execz .LBB120_64
; %bb.59:
	v_mul_lo_u32 v1, v1, s14
	s_and_saveexec_b64 s[6:7], vcc
	s_cbranch_execnz .LBB120_83
; %bb.60:
	s_or_b64 exec, exec, s[6:7]
	s_and_saveexec_b64 s[6:7], s[0:1]
	s_cbranch_execnz .LBB120_84
.LBB120_61:
	s_or_b64 exec, exec, s[6:7]
	s_and_saveexec_b64 s[0:1], s[2:3]
	s_cbranch_execnz .LBB120_85
.LBB120_62:
	s_or_b64 exec, exec, s[0:1]
	s_and_b64 exec, exec, s[4:5]
	s_cbranch_execz .LBB120_64
.LBB120_63:
	v_add_u32_e32 v0, v1, v4
	v_mov_b32_e32 v1, 0
	v_lshlrev_b64 v[0:1], 2, v[0:1]
	s_waitcnt lgkmcnt(0)
	v_mov_b32_e32 v2, s13
	v_add_co_u32_e32 v0, vcc, s12, v0
	v_addc_co_u32_e32 v1, vcc, v2, v1, vcc
	global_store_dword v[0:1], v9, off
.LBB120_64:
	s_endpgm
.LBB120_65:
	v_add_u32_e32 v6, v5, v0
	v_mov_b32_e32 v7, 0
	v_lshlrev_b64 v[6:7], 2, v[6:7]
	s_waitcnt lgkmcnt(0)
	v_mov_b32_e32 v8, s13
	v_add_co_u32_e64 v6, s[6:7], s12, v6
	v_addc_co_u32_e64 v7, s[6:7], v8, v7, s[6:7]
	global_store_dword v[6:7], v71, off
	s_or_b64 exec, exec, s[8:9]
	s_and_saveexec_b64 s[8:9], s[0:1]
	s_cbranch_execz .LBB120_25
.LBB120_66:
	v_add_u32_e32 v6, v5, v2
	v_mov_b32_e32 v7, 0
	v_lshlrev_b64 v[6:7], 2, v[6:7]
	s_waitcnt lgkmcnt(0)
	v_mov_b32_e32 v8, s13
	v_add_co_u32_e64 v6, s[6:7], s12, v6
	v_addc_co_u32_e64 v7, s[6:7], v8, v7, s[6:7]
	global_store_dword v[6:7], v69, off
	s_or_b64 exec, exec, s[8:9]
	s_and_saveexec_b64 s[8:9], s[2:3]
	s_cbranch_execz .LBB120_26
.LBB120_67:
	v_add_u32_e32 v6, v5, v3
	v_mov_b32_e32 v7, 0
	v_lshlrev_b64 v[6:7], 2, v[6:7]
	s_waitcnt lgkmcnt(0)
	v_mov_b32_e32 v8, s13
	v_add_co_u32_e64 v6, s[6:7], s12, v6
	v_addc_co_u32_e64 v7, s[6:7], v8, v7, s[6:7]
	global_store_dword v[6:7], v67, off
	s_or_b64 exec, exec, s[8:9]
	s_and_saveexec_b64 s[8:9], s[4:5]
	s_cbranch_execnz .LBB120_27
	s_branch .LBB120_28
.LBB120_68:
	v_add_u32_e32 v6, v5, v0
	v_mov_b32_e32 v7, 0
	v_lshlrev_b64 v[6:7], 2, v[6:7]
	s_waitcnt lgkmcnt(0)
	v_mov_b32_e32 v8, s13
	v_add_co_u32_e64 v6, s[6:7], s12, v6
	v_addc_co_u32_e64 v7, s[6:7], v8, v7, s[6:7]
	global_store_dword v[6:7], v61, off
	s_or_b64 exec, exec, s[8:9]
	s_and_saveexec_b64 s[8:9], s[0:1]
	s_cbranch_execz .LBB120_31
.LBB120_69:
	v_add_u32_e32 v6, v5, v2
	v_mov_b32_e32 v7, 0
	v_lshlrev_b64 v[6:7], 2, v[6:7]
	s_waitcnt lgkmcnt(0)
	v_mov_b32_e32 v8, s13
	v_add_co_u32_e64 v6, s[6:7], s12, v6
	v_addc_co_u32_e64 v7, s[6:7], v8, v7, s[6:7]
	global_store_dword v[6:7], v59, off
	s_or_b64 exec, exec, s[8:9]
	s_and_saveexec_b64 s[8:9], s[2:3]
	s_cbranch_execz .LBB120_32
.LBB120_70:
	v_add_u32_e32 v6, v5, v3
	v_mov_b32_e32 v7, 0
	v_lshlrev_b64 v[6:7], 2, v[6:7]
	s_waitcnt lgkmcnt(0)
	v_mov_b32_e32 v8, s13
	v_add_co_u32_e64 v6, s[6:7], s12, v6
	v_addc_co_u32_e64 v7, s[6:7], v8, v7, s[6:7]
	global_store_dword v[6:7], v55, off
	s_or_b64 exec, exec, s[8:9]
	s_and_saveexec_b64 s[8:9], s[4:5]
	s_cbranch_execnz .LBB120_33
	s_branch .LBB120_34
.LBB120_71:
	v_add_u32_e32 v6, v5, v0
	v_mov_b32_e32 v7, 0
	v_lshlrev_b64 v[6:7], 2, v[6:7]
	s_waitcnt lgkmcnt(0)
	v_mov_b32_e32 v8, s13
	v_add_co_u32_e64 v6, s[6:7], s12, v6
	v_addc_co_u32_e64 v7, s[6:7], v8, v7, s[6:7]
	global_store_dword v[6:7], v47, off
	s_or_b64 exec, exec, s[8:9]
	s_and_saveexec_b64 s[8:9], s[0:1]
	s_cbranch_execz .LBB120_37
.LBB120_72:
	v_add_u32_e32 v6, v5, v2
	v_mov_b32_e32 v7, 0
	v_lshlrev_b64 v[6:7], 2, v[6:7]
	s_waitcnt lgkmcnt(0)
	v_mov_b32_e32 v8, s13
	v_add_co_u32_e64 v6, s[6:7], s12, v6
	v_addc_co_u32_e64 v7, s[6:7], v8, v7, s[6:7]
	global_store_dword v[6:7], v45, off
	s_or_b64 exec, exec, s[8:9]
	s_and_saveexec_b64 s[8:9], s[2:3]
	s_cbranch_execz .LBB120_38
.LBB120_73:
	v_add_u32_e32 v6, v5, v3
	v_mov_b32_e32 v7, 0
	v_lshlrev_b64 v[6:7], 2, v[6:7]
	s_waitcnt lgkmcnt(0)
	v_mov_b32_e32 v8, s13
	v_add_co_u32_e64 v6, s[6:7], s12, v6
	v_addc_co_u32_e64 v7, s[6:7], v8, v7, s[6:7]
	global_store_dword v[6:7], v43, off
	s_or_b64 exec, exec, s[8:9]
	s_and_saveexec_b64 s[8:9], s[4:5]
	s_cbranch_execnz .LBB120_39
	s_branch .LBB120_40
.LBB120_74:
	v_add_u32_e32 v6, v5, v0
	v_mov_b32_e32 v7, 0
	v_lshlrev_b64 v[6:7], 2, v[6:7]
	s_waitcnt lgkmcnt(0)
	v_mov_b32_e32 v8, s13
	v_add_co_u32_e64 v6, s[6:7], s12, v6
	v_addc_co_u32_e64 v7, s[6:7], v8, v7, s[6:7]
	global_store_dword v[6:7], v39, off
	s_or_b64 exec, exec, s[8:9]
	s_and_saveexec_b64 s[8:9], s[0:1]
	s_cbranch_execz .LBB120_43
.LBB120_75:
	v_add_u32_e32 v6, v5, v2
	v_mov_b32_e32 v7, 0
	v_lshlrev_b64 v[6:7], 2, v[6:7]
	s_waitcnt lgkmcnt(0)
	v_mov_b32_e32 v8, s13
	v_add_co_u32_e64 v6, s[6:7], s12, v6
	v_addc_co_u32_e64 v7, s[6:7], v8, v7, s[6:7]
	global_store_dword v[6:7], v37, off
	s_or_b64 exec, exec, s[8:9]
	s_and_saveexec_b64 s[8:9], s[2:3]
	s_cbranch_execz .LBB120_44
.LBB120_76:
	v_add_u32_e32 v6, v5, v3
	v_mov_b32_e32 v7, 0
	v_lshlrev_b64 v[6:7], 2, v[6:7]
	s_waitcnt lgkmcnt(0)
	v_mov_b32_e32 v8, s13
	v_add_co_u32_e64 v6, s[6:7], s12, v6
	v_addc_co_u32_e64 v7, s[6:7], v8, v7, s[6:7]
	global_store_dword v[6:7], v35, off
	s_or_b64 exec, exec, s[8:9]
	s_and_saveexec_b64 s[8:9], s[4:5]
	s_cbranch_execnz .LBB120_45
	s_branch .LBB120_46
.LBB120_77:
	v_add_u32_e32 v6, v5, v0
	v_mov_b32_e32 v7, 0
	v_lshlrev_b64 v[6:7], 2, v[6:7]
	s_waitcnt lgkmcnt(0)
	v_mov_b32_e32 v8, s13
	v_add_co_u32_e64 v6, s[6:7], s12, v6
	v_addc_co_u32_e64 v7, s[6:7], v8, v7, s[6:7]
	global_store_dword v[6:7], v31, off
	s_or_b64 exec, exec, s[8:9]
	s_and_saveexec_b64 s[8:9], s[0:1]
	s_cbranch_execz .LBB120_49
.LBB120_78:
	v_add_u32_e32 v6, v5, v2
	v_mov_b32_e32 v7, 0
	v_lshlrev_b64 v[6:7], 2, v[6:7]
	s_waitcnt lgkmcnt(0)
	v_mov_b32_e32 v8, s13
	v_add_co_u32_e64 v6, s[6:7], s12, v6
	v_addc_co_u32_e64 v7, s[6:7], v8, v7, s[6:7]
	global_store_dword v[6:7], v29, off
	s_or_b64 exec, exec, s[8:9]
	s_and_saveexec_b64 s[8:9], s[2:3]
	s_cbranch_execz .LBB120_50
.LBB120_79:
	v_add_u32_e32 v6, v5, v3
	v_mov_b32_e32 v7, 0
	v_lshlrev_b64 v[6:7], 2, v[6:7]
	s_waitcnt lgkmcnt(0)
	v_mov_b32_e32 v8, s13
	v_add_co_u32_e64 v6, s[6:7], s12, v6
	v_addc_co_u32_e64 v7, s[6:7], v8, v7, s[6:7]
	global_store_dword v[6:7], v27, off
	s_or_b64 exec, exec, s[8:9]
	s_and_saveexec_b64 s[8:9], s[4:5]
	s_cbranch_execnz .LBB120_51
	s_branch .LBB120_52
.LBB120_80:
	v_add_u32_e32 v6, v5, v0
	v_mov_b32_e32 v7, 0
	v_lshlrev_b64 v[6:7], 2, v[6:7]
	s_waitcnt lgkmcnt(0)
	v_mov_b32_e32 v8, s13
	v_add_co_u32_e64 v6, s[6:7], s12, v6
	v_addc_co_u32_e64 v7, s[6:7], v8, v7, s[6:7]
	global_store_dword v[6:7], v23, off
	s_or_b64 exec, exec, s[8:9]
	s_and_saveexec_b64 s[8:9], s[0:1]
	s_cbranch_execz .LBB120_55
.LBB120_81:
	v_add_u32_e32 v6, v5, v2
	v_mov_b32_e32 v7, 0
	v_lshlrev_b64 v[6:7], 2, v[6:7]
	s_waitcnt lgkmcnt(0)
	v_mov_b32_e32 v8, s13
	v_add_co_u32_e64 v6, s[6:7], s12, v6
	v_addc_co_u32_e64 v7, s[6:7], v8, v7, s[6:7]
	global_store_dword v[6:7], v21, off
	s_or_b64 exec, exec, s[8:9]
	s_and_saveexec_b64 s[8:9], s[2:3]
	s_cbranch_execz .LBB120_56
.LBB120_82:
	v_add_u32_e32 v6, v5, v3
	v_mov_b32_e32 v7, 0
	v_lshlrev_b64 v[6:7], 2, v[6:7]
	s_waitcnt lgkmcnt(0)
	v_mov_b32_e32 v8, s13
	v_add_co_u32_e64 v6, s[6:7], s12, v6
	v_addc_co_u32_e64 v7, s[6:7], v8, v7, s[6:7]
	global_store_dword v[6:7], v19, off
	s_or_b64 exec, exec, s[8:9]
	s_and_saveexec_b64 s[8:9], s[4:5]
	s_cbranch_execnz .LBB120_57
	s_branch .LBB120_58
.LBB120_83:
	v_add_u32_e32 v6, v1, v0
	v_mov_b32_e32 v7, 0
	v_lshlrev_b64 v[6:7], 2, v[6:7]
	s_waitcnt lgkmcnt(0)
	v_mov_b32_e32 v0, s13
	v_add_co_u32_e32 v6, vcc, s12, v6
	v_addc_co_u32_e32 v7, vcc, v0, v7, vcc
	global_store_dword v[6:7], v15, off
	s_or_b64 exec, exec, s[6:7]
	s_and_saveexec_b64 s[6:7], s[0:1]
	s_cbranch_execz .LBB120_61
.LBB120_84:
	v_add_u32_e32 v6, v1, v2
	v_mov_b32_e32 v7, 0
	v_lshlrev_b64 v[6:7], 2, v[6:7]
	s_waitcnt lgkmcnt(0)
	v_mov_b32_e32 v0, s13
	v_add_co_u32_e32 v6, vcc, s12, v6
	v_addc_co_u32_e32 v7, vcc, v0, v7, vcc
	global_store_dword v[6:7], v13, off
	s_or_b64 exec, exec, s[6:7]
	s_and_saveexec_b64 s[0:1], s[2:3]
	s_cbranch_execz .LBB120_62
.LBB120_85:
	v_add_u32_e32 v2, v1, v3
	v_mov_b32_e32 v3, 0
	v_lshlrev_b64 v[2:3], 2, v[2:3]
	s_waitcnt lgkmcnt(0)
	v_mov_b32_e32 v0, s13
	v_add_co_u32_e32 v2, vcc, s12, v2
	v_addc_co_u32_e32 v3, vcc, v0, v3, vcc
	global_store_dword v[2:3], v11, off
	s_or_b64 exec, exec, s[0:1]
	s_and_b64 exec, exec, s[4:5]
	s_cbranch_execnz .LBB120_63
	s_branch .LBB120_64
	.section	.rodata,"a",@progbits
	.p2align	6, 0x0
	.amdhsa_kernel _ZL12mul_mat_q4_1IfLb1EEvPKvS1_PT_iiiii
		.amdhsa_group_segment_fixed_size 30336
		.amdhsa_private_segment_fixed_size 0
		.amdhsa_kernarg_size 44
		.amdhsa_user_sgpr_count 6
		.amdhsa_user_sgpr_private_segment_buffer 1
		.amdhsa_user_sgpr_dispatch_ptr 0
		.amdhsa_user_sgpr_queue_ptr 0
		.amdhsa_user_sgpr_kernarg_segment_ptr 1
		.amdhsa_user_sgpr_dispatch_id 0
		.amdhsa_user_sgpr_flat_scratch_init 0
		.amdhsa_user_sgpr_kernarg_preload_length 0
		.amdhsa_user_sgpr_kernarg_preload_offset 0
		.amdhsa_user_sgpr_private_segment_size 0
		.amdhsa_uses_dynamic_stack 0
		.amdhsa_system_sgpr_private_segment_wavefront_offset 0
		.amdhsa_system_sgpr_workgroup_id_x 1
		.amdhsa_system_sgpr_workgroup_id_y 1
		.amdhsa_system_sgpr_workgroup_id_z 0
		.amdhsa_system_sgpr_workgroup_info 0
		.amdhsa_system_vgpr_workitem_id 1
		.amdhsa_next_free_vgpr 170
		.amdhsa_next_free_sgpr 18
		.amdhsa_accum_offset 172
		.amdhsa_reserve_vcc 1
		.amdhsa_reserve_flat_scratch 0
		.amdhsa_float_round_mode_32 0
		.amdhsa_float_round_mode_16_64 0
		.amdhsa_float_denorm_mode_32 3
		.amdhsa_float_denorm_mode_16_64 3
		.amdhsa_dx10_clamp 1
		.amdhsa_ieee_mode 1
		.amdhsa_fp16_overflow 0
		.amdhsa_tg_split 0
		.amdhsa_exception_fp_ieee_invalid_op 0
		.amdhsa_exception_fp_denorm_src 0
		.amdhsa_exception_fp_ieee_div_zero 0
		.amdhsa_exception_fp_ieee_overflow 0
		.amdhsa_exception_fp_ieee_underflow 0
		.amdhsa_exception_fp_ieee_inexact 0
		.amdhsa_exception_int_div_zero 0
	.end_amdhsa_kernel
	.section	.text._ZL12mul_mat_q4_1IfLb1EEvPKvS1_PT_iiiii,"axG",@progbits,_ZL12mul_mat_q4_1IfLb1EEvPKvS1_PT_iiiii,comdat
.Lfunc_end120:
	.size	_ZL12mul_mat_q4_1IfLb1EEvPKvS1_PT_iiiii, .Lfunc_end120-_ZL12mul_mat_q4_1IfLb1EEvPKvS1_PT_iiiii
                                        ; -- End function
	.section	.AMDGPU.csdata,"",@progbits
; Kernel info:
; codeLenInByte = 11116
; NumSgprs: 22
; NumVgprs: 170
; NumAgprs: 0
; TotalNumVgprs: 170
; ScratchSize: 0
; MemoryBound: 0
; FloatMode: 240
; IeeeMode: 1
; LDSByteSize: 30336 bytes/workgroup (compile time only)
; SGPRBlocks: 2
; VGPRBlocks: 21
; NumSGPRsForWavesPerEU: 22
; NumVGPRsForWavesPerEU: 170
; AccumOffset: 172
; Occupancy: 2
; WaveLimiterHint : 0
; COMPUTE_PGM_RSRC2:SCRATCH_EN: 0
; COMPUTE_PGM_RSRC2:USER_SGPR: 6
; COMPUTE_PGM_RSRC2:TRAP_HANDLER: 0
; COMPUTE_PGM_RSRC2:TGID_X_EN: 1
; COMPUTE_PGM_RSRC2:TGID_Y_EN: 1
; COMPUTE_PGM_RSRC2:TGID_Z_EN: 0
; COMPUTE_PGM_RSRC2:TIDIG_COMP_CNT: 1
; COMPUTE_PGM_RSRC3_GFX90A:ACCUM_OFFSET: 42
; COMPUTE_PGM_RSRC3_GFX90A:TG_SPLIT: 0
	.section	.text._ZL12mul_mat_q5_0IfLb0EEvPKvS1_PT_iiiii,"axG",@progbits,_ZL12mul_mat_q5_0IfLb0EEvPKvS1_PT_iiiii,comdat
	.globl	_ZL12mul_mat_q5_0IfLb0EEvPKvS1_PT_iiiii ; -- Begin function _ZL12mul_mat_q5_0IfLb0EEvPKvS1_PT_iiiii
	.p2align	8
	.type	_ZL12mul_mat_q5_0IfLb0EEvPKvS1_PT_iiiii,@function
_ZL12mul_mat_q5_0IfLb0EEvPKvS1_PT_iiiii: ; @_ZL12mul_mat_q5_0IfLb0EEvPKvS1_PT_iiiii
; %bb.0:
	s_load_dword s14, s[4:5], 0x18
	s_load_dwordx4 s[8:11], s[4:5], 0x20
	s_waitcnt lgkmcnt(0)
	s_lshl_b32 s11, s7, 6
	v_bfe_u32 v33, v0, 10, 10
	s_cmp_gt_i32 s14, 31
	s_cbranch_scc1 .LBB121_2
; %bb.1:
	v_bfe_u32 v32, v0, 10, 10
	s_mov_b32 s0, 0
	v_and_b32_e32 v1, 0x3ff, v0
	v_add_u32_e32 v35, s11, v32
	s_mov_b32 s1, s0
	s_mov_b64 s[2:3], 0
	s_branch .LBB121_3
.LBB121_2:
	s_mov_b64 s[2:3], -1
                                        ; implicit-def: $sgpr0_sgpr1
                                        ; implicit-def: $vgpr32
                                        ; implicit-def: $vgpr1
                                        ; implicit-def: $vgpr35
.LBB121_3:
	s_load_dwordx2 s[12:13], s[4:5], 0x10
	s_lshl_b32 s6, s6, 7
	s_andn2_b64 vcc, exec, s[2:3]
	v_pk_mov_b32 v[2:3], s[0:1], s[0:1] op_sel:[0,1]
	v_pk_mov_b32 v[10:11], s[0:1], s[0:1] op_sel:[0,1]
	;; [unrolled: 1-line block ×16, first 2 shown]
	s_cbranch_vccnz .LBB121_13
; %bb.4:
	s_load_dwordx4 s[0:3], s[4:5], 0x0
	s_ashr_i32 s4, s14, 31
	s_lshr_b32 s4, s4, 27
	s_ashr_i32 s5, s9, 31
	s_add_i32 s4, s14, s4
	s_lshr_b32 s5, s5, 27
	s_ashr_i32 s7, s4, 5
	s_add_i32 s5, s9, s5
	s_ashr_i32 s15, s5, 5
	s_mul_i32 s5, s7, s6
	s_mul_hi_i32 s14, s5, 22
	s_mul_i32 s5, s5, 22
	s_waitcnt lgkmcnt(0)
	s_add_u32 s9, s0, s5
	s_addc_u32 s14, s1, s14
	v_mul_lo_u32 v34, s7, v33
	s_lshl_b32 s5, s7, 3
	v_add_u32_e32 v36, s5, v34
	v_add_u32_e32 v40, s5, v36
	;; [unrolled: 1-line block ×11, first 2 shown]
	v_and_b32_e32 v1, 0x3ff, v0
	v_add_u32_e32 v60, s5, v58
	v_lshlrev_b32_e32 v3, 3, v1
	s_movk_i32 s1, 0x104
	v_add_u32_e32 v62, s5, v60
	v_lshrrev_b32_e32 v71, 3, v1
	v_mad_u32_u24 v37, v33, s1, v3
	v_add_u32_e32 v64, s5, v62
	v_and_b32_e32 v68, 7, v1
	v_lshl_add_u32 v3, v33, 2, v71
	v_add_u32_e32 v66, s5, v64
	v_and_b32_e32 v4, 0x7fc, v3
	v_lshlrev_b32_e32 v5, 2, v68
	s_mov_b32 s5, 0xa200
	v_add3_u32 v6, v4, v5, s5
	v_add_u32_e32 v4, 32, v3
	v_mul_lo_u32 v70, s7, v3
	v_lshlrev_b32_e32 v7, 5, v3
	v_and_b32_e32 v8, 0xffc, v4
	v_lshlrev_b32_e32 v9, 5, v4
	v_add_u32_e32 v4, 64, v3
	v_add_u32_e32 v3, 0x60, v3
	v_and_b32_e32 v10, 0xffc, v4
	v_lshlrev_b32_e32 v11, 5, v4
	v_and_b32_e32 v4, 0xffc, v3
	v_lshlrev_b32_e32 v13, 5, v3
	v_lshlrev_b32_e32 v3, 2, v1
	v_lshrrev_b32_e32 v0, 2, v1
	s_andn2_b32 s4, s4, 31
	v_and_b32_e32 v3, 28, v3
	v_add_u32_e32 v72, s4, v70
	v_add_co_u32_e32 v78, vcc, s2, v3
	v_lshl_add_u32 v3, v33, 3, v0
	v_add_u32_e32 v74, s4, v72
	v_mov_b32_e32 v15, s3
	v_and_b32_e32 v3, 63, v3
	v_and_b32_e32 v2, 3, v1
	v_add_u32_e32 v76, s4, v74
	s_add_i32 s4, s8, -1
	v_addc_co_u32_e32 v79, vcc, 0, v15, vcc
	v_or_b32_e32 v15, s11, v3
	v_lshlrev_b32_e32 v32, 2, v2
	v_min_i32_e32 v15, s4, v15
	v_add3_u32 v8, v8, v5, s5
	v_add3_u32 v10, v10, v5, s5
	;; [unrolled: 1-line block ×3, first 2 shown]
	v_add_u32_e32 v35, s11, v33
	v_cvt_f64_i32_e32 v[4:5], s4
	v_mad_u64_u32 v[80:81], s[4:5], v15, s15, v[2:3]
	v_lshl_or_b32 v2, v3, 4, v32
	v_add_u32_e32 v73, 0xb280, v2
	v_cvt_f64_u32_e32 v[2:3], v35
	v_min_f64 v[2:3], v[2:3], v[4:5]
	v_cvt_i32_f64_e32 v2, v[2:3]
	v_mul_lo_u32 v75, s15, v2
	v_add_u32_e32 v2, 8, v35
	v_cvt_f64_u32_e32 v[2:3], v2
	v_min_f64 v[2:3], v[2:3], v[4:5]
	v_cvt_i32_f64_e32 v2, v[2:3]
	v_mul_lo_u32 v81, s15, v2
	;; [unrolled: 5-line block ×8, first 2 shown]
	v_add_u32_e32 v2, 32, v1
	v_lshlrev_b32_e32 v5, 5, v1
	v_lshrrev_b32_e32 v135, 3, v2
	v_and_b32_e32 v2, 0x1fc, v2
	v_and_b32_e32 v14, 31, v1
	v_lshlrev_b32_e32 v15, 7, v33
	v_add_u32_e32 v2, v5, v2
	s_mov_b32 s0, 0
	v_lshl_or_b32 v14, v14, 2, v15
	v_add_u32_e32 v3, 64, v1
	v_add_u32_e32 v4, 0x60, v1
	;; [unrolled: 1-line block ×4, first 2 shown]
	v_mov_b32_e32 v2, 0x80
	v_add_u32_e32 v77, 0x8200, v14
	v_add_u32_e32 v85, 0x8600, v14
	;; [unrolled: 1-line block ×8, first 2 shown]
	v_and_b32_e32 v4, 0x1fc, v4
	v_and_b32_e32 v3, 0x1fc, v3
	;; [unrolled: 1-line block ×3, first 2 shown]
	v_mad_u32_u24 v146, v1, s1, v2
	s_mov_b32 s1, s0
	v_add_u32_e32 v4, v5, v4
	v_add_u32_e32 v3, v5, v3
	;; [unrolled: 1-line block ×3, first 2 shown]
	v_mov_b32_e32 v14, 0xb280
	v_pk_mov_b32 v[38:39], s[0:1], s[0:1] op_sel:[0,1]
	v_add_u32_e32 v41, 0x820, v37
	v_add_u32_e32 v43, 0x1040, v37
	;; [unrolled: 1-line block ×15, first 2 shown]
	v_mul_u32_u24_e32 v134, 0x104, v1
	v_add_u32_e32 v136, 0xae00, v4
	v_add_u32_e32 v137, 0xaa00, v3
	v_add_u32_e32 v139, 0xa200, v5
	v_add_u32_e32 v140, 0x8200, v15
	v_lshl_add_u32 v141, v33, 4, v14
	v_add_u32_e32 v142, 0xae10, v4
	v_add_u32_e32 v143, 0xaa10, v3
	;; [unrolled: 1-line block ×3, first 2 shown]
	s_movk_i32 s1, 0x1f00
	s_movk_i32 s15, 0xf000
	;; [unrolled: 1-line block ×3, first 2 shown]
	v_add_u32_e32 v147, v6, v7
	v_add_u32_e32 v148, v8, v9
	;; [unrolled: 1-line block ×4, first 2 shown]
	v_mov_b32_e32 v151, 8
	v_pk_mov_b32 v[24:25], v[38:39], v[38:39] op_sel:[0,1]
	v_pk_mov_b32 v[16:17], v[38:39], v[38:39] op_sel:[0,1]
	;; [unrolled: 1-line block ×15, first 2 shown]
	s_branch .LBB121_6
.LBB121_5:                              ;   in Loop: Header=BB121_6 Depth=1
	s_add_i32 s0, s0, 8
	s_cmp_ge_i32 s0, s7
	s_cbranch_scc1 .LBB121_12
.LBB121_6:                              ; =>This Loop Header: Depth=1
                                        ;     Child Loop BB121_7 Depth 2
                                        ;     Child Loop BB121_10 Depth 2
	s_mul_i32 s4, s0, 22
	s_mul_hi_u32 s5, s0, 22
	s_add_u32 s4, s9, s4
	s_addc_u32 s5, s14, s5
	v_mad_u64_u32 v[82:83], s[18:19], v0, 22, s[4:5]
	v_mad_u64_u32 v[88:89], s[18:19], v34, 22, v[82:83]
	v_add_co_u32_e32 v92, vcc, v88, v32
	v_addc_co_u32_e32 v93, vcc, 0, v89, vcc
	v_mad_u64_u32 v[98:99], s[18:19], v42, 22, v[82:83]
	v_mad_u64_u32 v[94:95], s[18:19], v36, 22, v[82:83]
	v_mad_u64_u32 v[96:97], s[18:19], v40, 22, v[82:83]
	global_load_dword v84, v[98:99], off offset:2
	global_load_dword v86, v[96:97], off offset:2
	;; [unrolled: 1-line block ×3, first 2 shown]
	s_nop 0
	global_load_dword v92, v[92:93], off offset:6
	s_nop 0
	global_load_dword v93, v[88:89], off offset:2
	v_add_co_u32_e32 v88, vcc, v94, v32
	v_addc_co_u32_e32 v89, vcc, 0, v95, vcc
	global_load_dword v94, v[88:89], off offset:6
	v_add_co_u32_e32 v88, vcc, v96, v32
	v_addc_co_u32_e32 v89, vcc, 0, v97, vcc
	global_load_dword v106, v[88:89], off offset:6
	v_add_co_u32_e32 v88, vcc, v98, v32
	v_addc_co_u32_e32 v89, vcc, 0, v99, vcc
	global_load_dword v107, v[88:89], off offset:6
	v_mov_b32_e32 v152, v141
	v_mov_b32_e32 v153, v140
	;; [unrolled: 1-line block ×7, first 2 shown]
	s_waitcnt vmcnt(7)
	v_ashrrev_i32_e32 v84, v32, v84
	s_waitcnt vmcnt(6)
	v_ashrrev_i32_e32 v86, v32, v86
	;; [unrolled: 2-line block ×3, first 2 shown]
	s_waitcnt vmcnt(4)
	v_and_b32_e32 v89, 0xf0f0f0f, v92
	s_waitcnt vmcnt(3)
	v_ashrrev_i32_e32 v88, v32, v93
	v_lshlrev_b32_e32 v95, 4, v88
	v_lshlrev_b32_e32 v96, 11, v88
	;; [unrolled: 1-line block ×4, first 2 shown]
	v_lshrrev_b32_e32 v99, 12, v88
	v_lshrrev_b32_e32 v100, 5, v88
	v_lshlrev_b32_e32 v101, 2, v88
	v_lshrrev_b32_e32 v92, 4, v92
	v_lshlrev_b32_e32 v88, 9, v88
	v_and_b32_e32 v95, 16, v95
	v_and_b32_e32 v96, 0x1000, v96
	;; [unrolled: 1-line block ×9, first 2 shown]
	v_or3_b32 v95, v95, v89, v96
	v_or3_b32 v89, v89, v97, v98
	;; [unrolled: 1-line block ×3, first 2 shown]
	v_and_b32_e32 v98, 0x1f00, v95
	v_lshlrev_b16_e32 v95, 8, v95
	v_and_b32_sdwa v99, v89, s1 dst_sel:DWORD dst_unused:UNUSED_PAD src0_sel:WORD_1 src1_sel:DWORD
	v_lshlrev_b16_sdwa v89, v151, v89 dst_sel:DWORD dst_unused:UNUSED_PAD src0_sel:DWORD src1_sel:WORD_1
	v_or3_b32 v88, v96, v88, v92
	v_add_u16_e32 v92, 0xf000, v95
	v_add_u16_e32 v89, 0xf000, v89
	v_lshlrev_b16_e32 v96, 8, v88
	v_and_b32_sdwa v100, v88, s16 dst_sel:DWORD dst_unused:UNUSED_PAD src0_sel:WORD_1 src1_sel:DWORD
	v_lshlrev_b32_e32 v102, 4, v90
	v_lshlrev_b32_e32 v103, 11, v90
	v_and_b32_e32 v95, 0x1f00, v88
	v_lshlrev_b16_sdwa v88, v151, v88 dst_sel:DWORD dst_unused:UNUSED_PAD src0_sel:DWORD src1_sel:WORD_1
	v_or_b32_sdwa v92, v98, v92 dst_sel:DWORD dst_unused:UNUSED_PAD src0_sel:DWORD src1_sel:BYTE_1
	v_or_b32_sdwa v89, v99, v89 dst_sel:DWORD dst_unused:UNUSED_PAD src0_sel:DWORD src1_sel:BYTE_1
	v_add_i16 v96, v96, s15 clamp
	v_add_i16 v98, v100, s15 clamp
	s_waitcnt vmcnt(2)
	v_and_b32_e32 v93, 0xf0f0f0f, v94
	v_and_b32_e32 v102, 16, v102
	;; [unrolled: 1-line block ×3, first 2 shown]
	v_add_i16 v88, v88, s15 clamp
	v_add_u16_e32 v92, 0xf000, v92
	v_add_u16_sdwa v89, v89, s15 dst_sel:WORD_1 dst_unused:UNUSED_PAD src0_sel:DWORD src1_sel:DWORD
	v_or_b32_sdwa v95, v95, v96 dst_sel:DWORD dst_unused:UNUSED_PAD src0_sel:DWORD src1_sel:BYTE_1
	v_and_b32_e32 v96, 0xffffff00, v98
	v_lshlrev_b32_e32 v104, 18, v90
	v_lshlrev_b32_e32 v105, 25, v90
	v_or3_b32 v97, v102, v93, v103
	v_or_b32_e32 v89, v92, v89
	v_add_u16_e32 v92, 0xf000, v95
	v_or_b32_sdwa v88, v88, v96 dst_sel:WORD_1 dst_unused:UNUSED_PAD src0_sel:BYTE_1 src1_sel:DWORD
	v_and_b32_e32 v104, 0x100000, v104
	v_and_b32_e32 v105, 0x10000000, v105
	v_or_b32_e32 v88, v92, v88
	v_lshlrev_b16_e32 v92, 8, v97
	ds_write2_b32 v37, v89, v88 offset1:1
	v_or3_b32 v88, v93, v104, v105
	v_and_b32_e32 v89, 0x1f00, v97
	v_add_u16_e32 v92, 0xf000, v92
	v_or_b32_sdwa v89, v89, v92 dst_sel:DWORD dst_unused:UNUSED_PAD src0_sel:DWORD src1_sel:BYTE_1
	v_and_b32_sdwa v92, v88, s1 dst_sel:DWORD dst_unused:UNUSED_PAD src0_sel:WORD_1 src1_sel:DWORD
	v_lshlrev_b16_sdwa v88, v151, v88 dst_sel:DWORD dst_unused:UNUSED_PAD src0_sel:DWORD src1_sel:WORD_1
	v_add_u16_e32 v88, 0xf000, v88
	v_or_b32_sdwa v88, v92, v88 dst_sel:DWORD dst_unused:UNUSED_PAD src0_sel:DWORD src1_sel:BYTE_1
	v_add_u16_e32 v89, 0xf000, v89
	v_add_u16_sdwa v88, v88, s15 dst_sel:WORD_1 dst_unused:UNUSED_PAD src0_sel:DWORD src1_sel:DWORD
	v_or_b32_e32 v88, v89, v88
	v_lshrrev_b32_e32 v89, 4, v94
	v_lshrrev_b32_e32 v92, 12, v90
	v_lshrrev_b32_e32 v93, 5, v90
	v_lshlrev_b32_e32 v94, 2, v90
	v_and_b32_e32 v92, 16, v92
	v_and_b32_e32 v93, 0x1000, v93
	;; [unrolled: 1-line block ×3, first 2 shown]
	v_lshlrev_b32_e32 v90, 9, v90
	v_and_b32_e32 v89, 0xf0f0f0f, v89
	v_and_b32_e32 v90, 0x10000000, v90
	v_or3_b32 v92, v93, v92, v94
	v_or3_b32 v89, v92, v90, v89
	v_lshlrev_b16_e32 v92, 8, v89
	v_and_b32_e32 v90, 0x1f00, v89
	v_add_i16 v92, v92, s15 clamp
	v_or_b32_sdwa v90, v90, v92 dst_sel:DWORD dst_unused:UNUSED_PAD src0_sel:DWORD src1_sel:BYTE_1
	v_and_b32_sdwa v92, v89, s16 dst_sel:DWORD dst_unused:UNUSED_PAD src0_sel:WORD_1 src1_sel:DWORD
	v_add_i16 v92, v92, s15 clamp
	v_lshlrev_b16_sdwa v89, v151, v89 dst_sel:DWORD dst_unused:UNUSED_PAD src0_sel:DWORD src1_sel:WORD_1
	v_and_b32_e32 v92, 0xffffff00, v92
	v_add_i16 v89, v89, s15 clamp
	v_add_u16_e32 v90, 0xf000, v90
	v_or_b32_sdwa v89, v89, v92 dst_sel:WORD_1 dst_unused:UNUSED_PAD src0_sel:BYTE_1 src1_sel:DWORD
	v_or_b32_e32 v89, v90, v89
	ds_write2_b32 v41, v88, v89 offset1:1
	v_lshlrev_b32_e32 v89, 4, v86
	v_lshlrev_b32_e32 v90, 11, v86
	s_waitcnt vmcnt(1)
	v_and_b32_e32 v88, 0xf0f0f0f, v106
	v_and_b32_e32 v89, 16, v89
	;; [unrolled: 1-line block ×3, first 2 shown]
	v_or3_b32 v89, v89, v88, v90
	v_lshlrev_b32_e32 v90, 18, v86
	v_lshlrev_b32_e32 v92, 25, v86
	v_and_b32_e32 v90, 0x100000, v90
	v_and_b32_e32 v92, 0x10000000, v92
	v_or3_b32 v90, v88, v90, v92
	v_and_b32_e32 v88, 0x1f00, v89
	v_lshlrev_b16_e32 v89, 8, v89
	v_add_u16_e32 v89, 0xf000, v89
	v_or_b32_sdwa v88, v88, v89 dst_sel:DWORD dst_unused:UNUSED_PAD src0_sel:DWORD src1_sel:BYTE_1
	v_add_u16_e32 v108, 0xf000, v88
	v_mad_u64_u32 v[88:89], s[18:19], v44, 22, v[82:83]
	v_add_co_u32_e32 v92, vcc, v88, v32
	v_addc_co_u32_e32 v93, vcc, 0, v89, vcc
	v_mad_u64_u32 v[94:95], s[18:19], v46, 22, v[82:83]
	v_add_co_u32_e32 v96, vcc, v94, v32
	v_addc_co_u32_e32 v97, vcc, 0, v95, vcc
	;; [unrolled: 3-line block ×4, first 2 shown]
	global_load_dword v109, v[104:105], off offset:6
	global_load_dword v110, v[102:103], off offset:2
	;; [unrolled: 1-line block ×3, first 2 shown]
	s_nop 0
	global_load_dword v98, v[98:99], off offset:2
	s_nop 0
	global_load_dword v96, v[96:97], off offset:6
	;; [unrolled: 2-line block ×5, first 2 shown]
	v_and_b32_sdwa v89, v90, s1 dst_sel:DWORD dst_unused:UNUSED_PAD src0_sel:WORD_1 src1_sel:DWORD
	v_lshlrev_b16_sdwa v90, v151, v90 dst_sel:DWORD dst_unused:UNUSED_PAD src0_sel:DWORD src1_sel:WORD_1
	v_add_u16_e32 v90, 0xf000, v90
	v_lshrrev_b32_e32 v93, 12, v86
	v_lshrrev_b32_e32 v95, 5, v86
	v_lshlrev_b32_e32 v97, 2, v86
	v_or_b32_sdwa v89, v89, v90 dst_sel:DWORD dst_unused:UNUSED_PAD src0_sel:DWORD src1_sel:BYTE_1
	v_lshrrev_b32_e32 v90, 4, v106
	v_and_b32_e32 v93, 16, v93
	v_and_b32_e32 v95, 0x1000, v95
	;; [unrolled: 1-line block ×3, first 2 shown]
	v_lshlrev_b32_e32 v86, 9, v86
	v_and_b32_e32 v90, 0xf0f0f0f, v90
	v_and_b32_e32 v86, 0x10000000, v86
	v_or3_b32 v93, v95, v93, v97
	v_or3_b32 v86, v93, v86, v90
	v_lshlrev_b16_e32 v93, 8, v86
	v_and_b32_e32 v90, 0x1f00, v86
	v_add_i16 v93, v93, s15 clamp
	v_or_b32_sdwa v90, v90, v93 dst_sel:DWORD dst_unused:UNUSED_PAD src0_sel:DWORD src1_sel:BYTE_1
	v_and_b32_sdwa v93, v86, s16 dst_sel:DWORD dst_unused:UNUSED_PAD src0_sel:WORD_1 src1_sel:DWORD
	v_add_i16 v93, v93, s15 clamp
	v_lshlrev_b16_sdwa v86, v151, v86 dst_sel:DWORD dst_unused:UNUSED_PAD src0_sel:DWORD src1_sel:WORD_1
	v_and_b32_e32 v93, 0xffffff00, v93
	v_add_i16 v86, v86, s15 clamp
	v_add_u16_sdwa v89, v89, s15 dst_sel:WORD_1 dst_unused:UNUSED_PAD src0_sel:DWORD src1_sel:DWORD
	v_add_u16_e32 v90, 0xf000, v90
	v_or_b32_sdwa v86, v86, v93 dst_sel:WORD_1 dst_unused:UNUSED_PAD src0_sel:BYTE_1 src1_sel:DWORD
	v_or_b32_e32 v89, v108, v89
	v_or_b32_e32 v86, v90, v86
	ds_write2_b32 v43, v89, v86 offset1:1
	v_lshlrev_b32_e32 v89, 4, v84
	v_lshlrev_b32_e32 v90, 11, v84
	s_waitcnt vmcnt(8)
	v_and_b32_e32 v86, 0xf0f0f0f, v107
	v_and_b32_e32 v89, 16, v89
	;; [unrolled: 1-line block ×3, first 2 shown]
	v_or3_b32 v89, v89, v86, v90
	v_lshlrev_b32_e32 v90, 18, v84
	v_lshlrev_b32_e32 v93, 25, v84
	v_and_b32_e32 v90, 0x100000, v90
	v_and_b32_e32 v93, 0x10000000, v93
	v_or3_b32 v86, v86, v90, v93
	v_and_b32_e32 v90, 0x1f00, v89
	v_lshlrev_b16_e32 v89, 8, v89
	v_add_u16_e32 v89, 0xf000, v89
	v_or_b32_sdwa v89, v90, v89 dst_sel:DWORD dst_unused:UNUSED_PAD src0_sel:DWORD src1_sel:BYTE_1
	v_and_b32_sdwa v90, v86, s1 dst_sel:DWORD dst_unused:UNUSED_PAD src0_sel:WORD_1 src1_sel:DWORD
	v_lshlrev_b16_sdwa v86, v151, v86 dst_sel:DWORD dst_unused:UNUSED_PAD src0_sel:DWORD src1_sel:WORD_1
	v_add_u16_e32 v86, 0xf000, v86
	v_or_b32_sdwa v86, v90, v86 dst_sel:DWORD dst_unused:UNUSED_PAD src0_sel:DWORD src1_sel:BYTE_1
	v_add_u16_e32 v89, 0xf000, v89
	v_add_u16_sdwa v86, v86, s15 dst_sel:WORD_1 dst_unused:UNUSED_PAD src0_sel:DWORD src1_sel:DWORD
	v_lshrrev_b32_e32 v90, 12, v84
	v_lshrrev_b32_e32 v93, 5, v84
	v_lshlrev_b32_e32 v95, 2, v84
	v_or_b32_e32 v86, v89, v86
	v_lshrrev_b32_e32 v89, 4, v107
	v_and_b32_e32 v90, 16, v90
	v_and_b32_e32 v93, 0x1000, v93
	;; [unrolled: 1-line block ×3, first 2 shown]
	v_lshlrev_b32_e32 v84, 9, v84
	v_and_b32_e32 v89, 0xf0f0f0f, v89
	v_and_b32_e32 v84, 0x10000000, v84
	v_or3_b32 v90, v93, v90, v95
	v_or3_b32 v84, v90, v84, v89
	v_lshlrev_b16_e32 v90, 8, v84
	v_and_b32_e32 v89, 0x1f00, v84
	v_add_i16 v90, v90, s15 clamp
	v_or_b32_sdwa v89, v89, v90 dst_sel:DWORD dst_unused:UNUSED_PAD src0_sel:DWORD src1_sel:BYTE_1
	v_and_b32_sdwa v90, v84, s16 dst_sel:DWORD dst_unused:UNUSED_PAD src0_sel:WORD_1 src1_sel:DWORD
	v_add_i16 v90, v90, s15 clamp
	v_lshlrev_b16_sdwa v84, v151, v84 dst_sel:DWORD dst_unused:UNUSED_PAD src0_sel:DWORD src1_sel:WORD_1
	v_and_b32_e32 v90, 0xffffff00, v90
	v_add_i16 v84, v84, s15 clamp
	v_add_u16_e32 v89, 0xf000, v89
	v_or_b32_sdwa v84, v84, v90 dst_sel:WORD_1 dst_unused:UNUSED_PAD src0_sel:BYTE_1 src1_sel:DWORD
	v_or_b32_e32 v84, v89, v84
	ds_write2_b32 v45, v86, v84 offset1:1
	s_waitcnt vmcnt(1)
	v_and_b32_e32 v86, 0xf0f0f0f, v92
	s_waitcnt vmcnt(0)
	v_ashrrev_i32_e32 v84, v32, v88
	v_lshlrev_b32_e32 v88, 4, v84
	v_lshlrev_b32_e32 v89, 11, v84
	v_and_b32_e32 v88, 16, v88
	v_and_b32_e32 v89, 0x1000, v89
	v_or3_b32 v88, v88, v86, v89
	v_lshlrev_b32_e32 v89, 18, v84
	v_lshlrev_b32_e32 v90, 25, v84
	v_and_b32_e32 v89, 0x100000, v89
	v_and_b32_e32 v90, 0x10000000, v90
	v_or3_b32 v86, v86, v89, v90
	v_and_b32_e32 v89, 0x1f00, v88
	v_lshlrev_b16_e32 v88, 8, v88
	v_add_u16_e32 v88, 0xf000, v88
	v_or_b32_sdwa v88, v89, v88 dst_sel:DWORD dst_unused:UNUSED_PAD src0_sel:DWORD src1_sel:BYTE_1
	v_and_b32_sdwa v89, v86, s1 dst_sel:DWORD dst_unused:UNUSED_PAD src0_sel:WORD_1 src1_sel:DWORD
	v_lshlrev_b16_sdwa v86, v151, v86 dst_sel:DWORD dst_unused:UNUSED_PAD src0_sel:DWORD src1_sel:WORD_1
	v_add_u16_e32 v86, 0xf000, v86
	v_or_b32_sdwa v86, v89, v86 dst_sel:DWORD dst_unused:UNUSED_PAD src0_sel:DWORD src1_sel:BYTE_1
	v_add_u16_e32 v88, 0xf000, v88
	v_add_u16_sdwa v86, v86, s15 dst_sel:WORD_1 dst_unused:UNUSED_PAD src0_sel:DWORD src1_sel:DWORD
	v_or_b32_e32 v86, v88, v86
	v_lshrrev_b32_e32 v88, 4, v92
	v_lshrrev_b32_e32 v89, 12, v84
	v_lshrrev_b32_e32 v90, 5, v84
	v_lshlrev_b32_e32 v92, 2, v84
	v_and_b32_e32 v89, 16, v89
	v_and_b32_e32 v90, 0x1000, v90
	v_and_b32_e32 v92, 0x100000, v92
	v_lshlrev_b32_e32 v84, 9, v84
	v_and_b32_e32 v88, 0xf0f0f0f, v88
	v_and_b32_e32 v84, 0x10000000, v84
	v_or3_b32 v89, v90, v89, v92
	v_or3_b32 v84, v89, v84, v88
	v_lshlrev_b16_e32 v89, 8, v84
	v_and_b32_e32 v88, 0x1f00, v84
	v_add_i16 v89, v89, s15 clamp
	v_or_b32_sdwa v88, v88, v89 dst_sel:DWORD dst_unused:UNUSED_PAD src0_sel:DWORD src1_sel:BYTE_1
	v_and_b32_sdwa v89, v84, s16 dst_sel:DWORD dst_unused:UNUSED_PAD src0_sel:WORD_1 src1_sel:DWORD
	v_add_i16 v89, v89, s15 clamp
	v_lshlrev_b16_sdwa v84, v151, v84 dst_sel:DWORD dst_unused:UNUSED_PAD src0_sel:DWORD src1_sel:WORD_1
	v_and_b32_e32 v89, 0xffffff00, v89
	v_add_i16 v84, v84, s15 clamp
	v_add_u16_e32 v88, 0xf000, v88
	v_or_b32_sdwa v84, v84, v89 dst_sel:WORD_1 dst_unused:UNUSED_PAD src0_sel:BYTE_1 src1_sel:DWORD
	v_or_b32_e32 v84, v88, v84
	ds_write2_b32 v47, v86, v84 offset1:1
	v_ashrrev_i32_e32 v84, v32, v94
	v_lshlrev_b32_e32 v88, 4, v84
	v_lshlrev_b32_e32 v89, 11, v84
	v_and_b32_e32 v86, 0xf0f0f0f, v96
	v_and_b32_e32 v88, 16, v88
	;; [unrolled: 1-line block ×3, first 2 shown]
	v_or3_b32 v88, v88, v86, v89
	v_lshlrev_b32_e32 v89, 18, v84
	v_lshlrev_b32_e32 v90, 25, v84
	v_and_b32_e32 v89, 0x100000, v89
	v_and_b32_e32 v90, 0x10000000, v90
	v_or3_b32 v86, v86, v89, v90
	v_and_b32_e32 v89, 0x1f00, v88
	v_lshlrev_b16_e32 v88, 8, v88
	v_add_u16_e32 v88, 0xf000, v88
	v_or_b32_sdwa v88, v89, v88 dst_sel:DWORD dst_unused:UNUSED_PAD src0_sel:DWORD src1_sel:BYTE_1
	v_and_b32_sdwa v89, v86, s1 dst_sel:DWORD dst_unused:UNUSED_PAD src0_sel:WORD_1 src1_sel:DWORD
	v_lshlrev_b16_sdwa v86, v151, v86 dst_sel:DWORD dst_unused:UNUSED_PAD src0_sel:DWORD src1_sel:WORD_1
	v_add_u16_e32 v86, 0xf000, v86
	v_or_b32_sdwa v86, v89, v86 dst_sel:DWORD dst_unused:UNUSED_PAD src0_sel:DWORD src1_sel:BYTE_1
	v_add_u16_e32 v88, 0xf000, v88
	v_add_u16_sdwa v86, v86, s15 dst_sel:WORD_1 dst_unused:UNUSED_PAD src0_sel:DWORD src1_sel:DWORD
	v_lshrrev_b32_e32 v89, 12, v84
	v_lshrrev_b32_e32 v90, 5, v84
	v_lshlrev_b32_e32 v92, 2, v84
	v_or_b32_e32 v86, v88, v86
	v_lshrrev_b32_e32 v88, 4, v96
	v_and_b32_e32 v89, 16, v89
	v_and_b32_e32 v90, 0x1000, v90
	;; [unrolled: 1-line block ×3, first 2 shown]
	v_lshlrev_b32_e32 v84, 9, v84
	v_and_b32_e32 v88, 0xf0f0f0f, v88
	v_and_b32_e32 v84, 0x10000000, v84
	v_or3_b32 v89, v90, v89, v92
	v_or3_b32 v84, v89, v84, v88
	v_lshlrev_b16_e32 v89, 8, v84
	v_and_b32_e32 v88, 0x1f00, v84
	v_add_i16 v89, v89, s15 clamp
	v_or_b32_sdwa v88, v88, v89 dst_sel:DWORD dst_unused:UNUSED_PAD src0_sel:DWORD src1_sel:BYTE_1
	v_and_b32_sdwa v89, v84, s16 dst_sel:DWORD dst_unused:UNUSED_PAD src0_sel:WORD_1 src1_sel:DWORD
	v_add_i16 v89, v89, s15 clamp
	v_lshlrev_b16_sdwa v84, v151, v84 dst_sel:DWORD dst_unused:UNUSED_PAD src0_sel:DWORD src1_sel:WORD_1
	v_and_b32_e32 v89, 0xffffff00, v89
	v_add_i16 v84, v84, s15 clamp
	v_add_u16_e32 v88, 0xf000, v88
	v_or_b32_sdwa v84, v84, v89 dst_sel:WORD_1 dst_unused:UNUSED_PAD src0_sel:BYTE_1 src1_sel:DWORD
	v_or_b32_e32 v84, v88, v84
	ds_write2_b32 v49, v86, v84 offset1:1
	v_ashrrev_i32_e32 v84, v32, v98
	v_lshlrev_b32_e32 v88, 4, v84
	v_lshlrev_b32_e32 v89, 11, v84
	v_and_b32_e32 v86, 0xf0f0f0f, v111
	v_and_b32_e32 v88, 16, v88
	v_and_b32_e32 v89, 0x1000, v89
	v_or3_b32 v88, v88, v86, v89
	v_lshlrev_b32_e32 v89, 18, v84
	v_lshlrev_b32_e32 v90, 25, v84
	v_and_b32_e32 v89, 0x100000, v89
	v_and_b32_e32 v90, 0x10000000, v90
	v_or3_b32 v86, v86, v89, v90
	v_and_b32_e32 v89, 0x1f00, v88
	v_lshlrev_b16_e32 v88, 8, v88
	v_add_u16_e32 v88, 0xf000, v88
	v_or_b32_sdwa v88, v89, v88 dst_sel:DWORD dst_unused:UNUSED_PAD src0_sel:DWORD src1_sel:BYTE_1
	v_add_u16_e32 v90, 0xf000, v88
	v_mad_u64_u32 v[88:89], s[18:19], v52, 22, v[82:83]
	v_add_co_u32_e32 v92, vcc, v88, v32
	v_addc_co_u32_e32 v93, vcc, 0, v89, vcc
	v_mad_u64_u32 v[94:95], s[18:19], v54, 22, v[82:83]
	v_add_co_u32_e32 v96, vcc, v94, v32
	v_addc_co_u32_e32 v97, vcc, 0, v95, vcc
	;; [unrolled: 3-line block ×4, first 2 shown]
	global_load_dword v104, v[104:105], off offset:6
	s_nop 0
	global_load_dword v105, v[102:103], off offset:2
	global_load_dword v106, v[100:101], off offset:6
	s_nop 0
	global_load_dword v98, v[98:99], off offset:2
	s_nop 0
	;; [unrolled: 2-line block ×5, first 2 shown]
	global_load_dword v88, v[88:89], off offset:2
	v_and_b32_sdwa v89, v86, s1 dst_sel:DWORD dst_unused:UNUSED_PAD src0_sel:WORD_1 src1_sel:DWORD
	v_lshlrev_b16_sdwa v86, v151, v86 dst_sel:DWORD dst_unused:UNUSED_PAD src0_sel:DWORD src1_sel:WORD_1
	v_add_u16_e32 v86, 0xf000, v86
	v_or_b32_sdwa v86, v89, v86 dst_sel:DWORD dst_unused:UNUSED_PAD src0_sel:DWORD src1_sel:BYTE_1
	v_add_u16_sdwa v86, v86, s15 dst_sel:WORD_1 dst_unused:UNUSED_PAD src0_sel:DWORD src1_sel:DWORD
	v_or_b32_e32 v86, v90, v86
	v_lshrrev_b32_e32 v90, 12, v84
	v_lshrrev_b32_e32 v93, 5, v84
	v_lshlrev_b32_e32 v95, 2, v84
	v_lshrrev_b32_e32 v89, 4, v111
	v_and_b32_e32 v90, 16, v90
	v_and_b32_e32 v93, 0x1000, v93
	;; [unrolled: 1-line block ×3, first 2 shown]
	v_lshlrev_b32_e32 v84, 9, v84
	v_and_b32_e32 v89, 0xf0f0f0f, v89
	v_and_b32_e32 v84, 0x10000000, v84
	v_or3_b32 v90, v93, v90, v95
	v_or3_b32 v84, v90, v84, v89
	v_lshlrev_b16_e32 v90, 8, v84
	v_and_b32_e32 v89, 0x1f00, v84
	v_add_i16 v90, v90, s15 clamp
	v_or_b32_sdwa v89, v89, v90 dst_sel:DWORD dst_unused:UNUSED_PAD src0_sel:DWORD src1_sel:BYTE_1
	v_and_b32_sdwa v90, v84, s16 dst_sel:DWORD dst_unused:UNUSED_PAD src0_sel:WORD_1 src1_sel:DWORD
	v_add_i16 v90, v90, s15 clamp
	v_lshlrev_b16_sdwa v84, v151, v84 dst_sel:DWORD dst_unused:UNUSED_PAD src0_sel:DWORD src1_sel:WORD_1
	v_and_b32_e32 v90, 0xffffff00, v90
	v_add_i16 v84, v84, s15 clamp
	v_add_u16_e32 v89, 0xf000, v89
	v_or_b32_sdwa v84, v84, v90 dst_sel:WORD_1 dst_unused:UNUSED_PAD src0_sel:BYTE_1 src1_sel:DWORD
	v_or_b32_e32 v84, v89, v84
	ds_write2_b32 v51, v86, v84 offset1:1
	v_ashrrev_i32_e32 v84, v32, v110
	v_lshlrev_b32_e32 v89, 4, v84
	v_lshlrev_b32_e32 v90, 11, v84
	v_and_b32_e32 v86, 0xf0f0f0f, v109
	v_and_b32_e32 v89, 16, v89
	;; [unrolled: 1-line block ×3, first 2 shown]
	v_or3_b32 v89, v89, v86, v90
	v_lshlrev_b32_e32 v90, 18, v84
	v_lshlrev_b32_e32 v93, 25, v84
	v_and_b32_e32 v90, 0x100000, v90
	v_and_b32_e32 v93, 0x10000000, v93
	v_or3_b32 v86, v86, v90, v93
	v_and_b32_e32 v90, 0x1f00, v89
	v_lshlrev_b16_e32 v89, 8, v89
	v_add_u16_e32 v89, 0xf000, v89
	v_or_b32_sdwa v89, v90, v89 dst_sel:DWORD dst_unused:UNUSED_PAD src0_sel:DWORD src1_sel:BYTE_1
	v_and_b32_sdwa v90, v86, s1 dst_sel:DWORD dst_unused:UNUSED_PAD src0_sel:WORD_1 src1_sel:DWORD
	v_lshlrev_b16_sdwa v86, v151, v86 dst_sel:DWORD dst_unused:UNUSED_PAD src0_sel:DWORD src1_sel:WORD_1
	v_add_u16_e32 v86, 0xf000, v86
	v_or_b32_sdwa v86, v90, v86 dst_sel:DWORD dst_unused:UNUSED_PAD src0_sel:DWORD src1_sel:BYTE_1
	v_add_u16_e32 v89, 0xf000, v89
	v_add_u16_sdwa v86, v86, s15 dst_sel:WORD_1 dst_unused:UNUSED_PAD src0_sel:DWORD src1_sel:DWORD
	v_lshrrev_b32_e32 v90, 12, v84
	v_lshrrev_b32_e32 v93, 5, v84
	v_lshlrev_b32_e32 v95, 2, v84
	v_or_b32_e32 v86, v89, v86
	v_lshrrev_b32_e32 v89, 4, v109
	v_and_b32_e32 v90, 16, v90
	v_and_b32_e32 v93, 0x1000, v93
	;; [unrolled: 1-line block ×3, first 2 shown]
	v_lshlrev_b32_e32 v84, 9, v84
	v_and_b32_e32 v89, 0xf0f0f0f, v89
	v_and_b32_e32 v84, 0x10000000, v84
	v_or3_b32 v90, v93, v90, v95
	v_or3_b32 v84, v90, v84, v89
	v_lshlrev_b16_e32 v90, 8, v84
	v_and_b32_e32 v89, 0x1f00, v84
	v_add_i16 v90, v90, s15 clamp
	v_or_b32_sdwa v89, v89, v90 dst_sel:DWORD dst_unused:UNUSED_PAD src0_sel:DWORD src1_sel:BYTE_1
	v_and_b32_sdwa v90, v84, s16 dst_sel:DWORD dst_unused:UNUSED_PAD src0_sel:WORD_1 src1_sel:DWORD
	v_add_i16 v90, v90, s15 clamp
	v_lshlrev_b16_sdwa v84, v151, v84 dst_sel:DWORD dst_unused:UNUSED_PAD src0_sel:DWORD src1_sel:WORD_1
	v_and_b32_e32 v90, 0xffffff00, v90
	v_add_i16 v84, v84, s15 clamp
	v_add_u16_e32 v89, 0xf000, v89
	v_or_b32_sdwa v84, v84, v90 dst_sel:WORD_1 dst_unused:UNUSED_PAD src0_sel:BYTE_1 src1_sel:DWORD
	v_or_b32_e32 v84, v89, v84
	ds_write2_b32 v53, v86, v84 offset1:1
	s_waitcnt vmcnt(0)
	v_ashrrev_i32_e32 v84, v32, v88
	v_lshlrev_b32_e32 v88, 4, v84
	v_lshlrev_b32_e32 v89, 11, v84
	v_and_b32_e32 v86, 0xf0f0f0f, v92
	v_and_b32_e32 v88, 16, v88
	;; [unrolled: 1-line block ×3, first 2 shown]
	v_or3_b32 v88, v88, v86, v89
	v_lshlrev_b32_e32 v89, 18, v84
	v_lshlrev_b32_e32 v90, 25, v84
	v_and_b32_e32 v89, 0x100000, v89
	v_and_b32_e32 v90, 0x10000000, v90
	v_or3_b32 v86, v86, v89, v90
	v_and_b32_e32 v89, 0x1f00, v88
	v_lshlrev_b16_e32 v88, 8, v88
	v_add_u16_e32 v88, 0xf000, v88
	v_or_b32_sdwa v88, v89, v88 dst_sel:DWORD dst_unused:UNUSED_PAD src0_sel:DWORD src1_sel:BYTE_1
	v_and_b32_sdwa v89, v86, s1 dst_sel:DWORD dst_unused:UNUSED_PAD src0_sel:WORD_1 src1_sel:DWORD
	v_lshlrev_b16_sdwa v86, v151, v86 dst_sel:DWORD dst_unused:UNUSED_PAD src0_sel:DWORD src1_sel:WORD_1
	v_add_u16_e32 v86, 0xf000, v86
	v_or_b32_sdwa v86, v89, v86 dst_sel:DWORD dst_unused:UNUSED_PAD src0_sel:DWORD src1_sel:BYTE_1
	v_add_u16_e32 v88, 0xf000, v88
	v_add_u16_sdwa v86, v86, s15 dst_sel:WORD_1 dst_unused:UNUSED_PAD src0_sel:DWORD src1_sel:DWORD
	v_or_b32_e32 v86, v88, v86
	v_lshrrev_b32_e32 v88, 4, v92
	v_lshrrev_b32_e32 v89, 12, v84
	;; [unrolled: 1-line block ×3, first 2 shown]
	v_lshlrev_b32_e32 v92, 2, v84
	v_and_b32_e32 v89, 16, v89
	v_and_b32_e32 v90, 0x1000, v90
	;; [unrolled: 1-line block ×3, first 2 shown]
	v_lshlrev_b32_e32 v84, 9, v84
	v_and_b32_e32 v88, 0xf0f0f0f, v88
	v_and_b32_e32 v84, 0x10000000, v84
	v_or3_b32 v89, v90, v89, v92
	v_or3_b32 v84, v89, v84, v88
	v_lshlrev_b16_e32 v89, 8, v84
	v_and_b32_e32 v88, 0x1f00, v84
	v_add_i16 v89, v89, s15 clamp
	v_or_b32_sdwa v88, v88, v89 dst_sel:DWORD dst_unused:UNUSED_PAD src0_sel:DWORD src1_sel:BYTE_1
	v_and_b32_sdwa v89, v84, s16 dst_sel:DWORD dst_unused:UNUSED_PAD src0_sel:WORD_1 src1_sel:DWORD
	v_add_i16 v89, v89, s15 clamp
	v_lshlrev_b16_sdwa v84, v151, v84 dst_sel:DWORD dst_unused:UNUSED_PAD src0_sel:DWORD src1_sel:WORD_1
	v_and_b32_e32 v89, 0xffffff00, v89
	v_add_i16 v84, v84, s15 clamp
	v_add_u16_e32 v88, 0xf000, v88
	v_or_b32_sdwa v84, v84, v89 dst_sel:WORD_1 dst_unused:UNUSED_PAD src0_sel:BYTE_1 src1_sel:DWORD
	v_or_b32_e32 v84, v88, v84
	ds_write2_b32 v55, v86, v84 offset1:1
	v_ashrrev_i32_e32 v84, v32, v94
	v_lshlrev_b32_e32 v88, 4, v84
	v_lshlrev_b32_e32 v89, 11, v84
	v_and_b32_e32 v86, 0xf0f0f0f, v96
	v_and_b32_e32 v88, 16, v88
	;; [unrolled: 1-line block ×3, first 2 shown]
	v_or3_b32 v88, v88, v86, v89
	v_lshlrev_b32_e32 v89, 18, v84
	v_lshlrev_b32_e32 v90, 25, v84
	v_and_b32_e32 v89, 0x100000, v89
	v_and_b32_e32 v90, 0x10000000, v90
	v_or3_b32 v86, v86, v89, v90
	v_and_b32_e32 v89, 0x1f00, v88
	v_lshlrev_b16_e32 v88, 8, v88
	v_add_u16_e32 v88, 0xf000, v88
	v_or_b32_sdwa v88, v89, v88 dst_sel:DWORD dst_unused:UNUSED_PAD src0_sel:DWORD src1_sel:BYTE_1
	v_and_b32_sdwa v89, v86, s1 dst_sel:DWORD dst_unused:UNUSED_PAD src0_sel:WORD_1 src1_sel:DWORD
	v_lshlrev_b16_sdwa v86, v151, v86 dst_sel:DWORD dst_unused:UNUSED_PAD src0_sel:DWORD src1_sel:WORD_1
	v_add_u16_e32 v86, 0xf000, v86
	v_or_b32_sdwa v86, v89, v86 dst_sel:DWORD dst_unused:UNUSED_PAD src0_sel:DWORD src1_sel:BYTE_1
	v_add_u16_e32 v88, 0xf000, v88
	v_add_u16_sdwa v86, v86, s15 dst_sel:WORD_1 dst_unused:UNUSED_PAD src0_sel:DWORD src1_sel:DWORD
	v_lshrrev_b32_e32 v89, 12, v84
	v_lshrrev_b32_e32 v90, 5, v84
	v_lshlrev_b32_e32 v92, 2, v84
	v_or_b32_e32 v86, v88, v86
	v_lshrrev_b32_e32 v88, 4, v96
	v_and_b32_e32 v89, 16, v89
	v_and_b32_e32 v90, 0x1000, v90
	;; [unrolled: 1-line block ×3, first 2 shown]
	v_lshlrev_b32_e32 v84, 9, v84
	v_and_b32_e32 v88, 0xf0f0f0f, v88
	v_and_b32_e32 v84, 0x10000000, v84
	v_or3_b32 v89, v90, v89, v92
	v_or3_b32 v84, v89, v84, v88
	v_lshlrev_b16_e32 v89, 8, v84
	v_and_b32_e32 v88, 0x1f00, v84
	v_add_i16 v89, v89, s15 clamp
	v_or_b32_sdwa v88, v88, v89 dst_sel:DWORD dst_unused:UNUSED_PAD src0_sel:DWORD src1_sel:BYTE_1
	v_and_b32_sdwa v89, v84, s16 dst_sel:DWORD dst_unused:UNUSED_PAD src0_sel:WORD_1 src1_sel:DWORD
	v_add_i16 v89, v89, s15 clamp
	v_lshlrev_b16_sdwa v84, v151, v84 dst_sel:DWORD dst_unused:UNUSED_PAD src0_sel:DWORD src1_sel:WORD_1
	v_and_b32_e32 v89, 0xffffff00, v89
	v_add_i16 v84, v84, s15 clamp
	v_add_u16_e32 v88, 0xf000, v88
	v_or_b32_sdwa v84, v84, v89 dst_sel:WORD_1 dst_unused:UNUSED_PAD src0_sel:BYTE_1 src1_sel:DWORD
	v_or_b32_e32 v84, v88, v84
	ds_write2_b32 v57, v86, v84 offset1:1
	v_ashrrev_i32_e32 v84, v32, v98
	v_lshlrev_b32_e32 v88, 4, v84
	v_lshlrev_b32_e32 v89, 11, v84
	v_and_b32_e32 v86, 0xf0f0f0f, v106
	v_and_b32_e32 v88, 16, v88
	;; [unrolled: 1-line block ×3, first 2 shown]
	v_or3_b32 v88, v88, v86, v89
	v_lshlrev_b32_e32 v89, 18, v84
	v_lshlrev_b32_e32 v90, 25, v84
	v_and_b32_e32 v89, 0x100000, v89
	v_and_b32_e32 v90, 0x10000000, v90
	v_or3_b32 v86, v86, v89, v90
	v_and_b32_e32 v89, 0x1f00, v88
	v_lshlrev_b16_e32 v88, 8, v88
	v_add_u16_e32 v88, 0xf000, v88
	v_or_b32_sdwa v88, v89, v88 dst_sel:DWORD dst_unused:UNUSED_PAD src0_sel:DWORD src1_sel:BYTE_1
	v_add_u16_e32 v90, 0xf000, v88
	v_mad_u64_u32 v[88:89], s[18:19], v60, 22, v[82:83]
	v_add_co_u32_e32 v92, vcc, v88, v32
	v_addc_co_u32_e32 v93, vcc, 0, v89, vcc
	v_mad_u64_u32 v[94:95], s[18:19], v62, 22, v[82:83]
	v_add_co_u32_e32 v96, vcc, v94, v32
	v_addc_co_u32_e32 v97, vcc, 0, v95, vcc
	;; [unrolled: 3-line block ×4, first 2 shown]
	global_load_dword v108, v[102:103], off offset:6
	global_load_dword v109, v[82:83], off offset:2
	s_nop 0
	global_load_dword v82, v[100:101], off offset:6
	global_load_dword v83, v[98:99], off offset:2
	s_nop 0
	global_load_dword v96, v[96:97], off offset:6
	s_nop 0
	;; [unrolled: 2-line block ×4, first 2 shown]
	global_load_dword v88, v[88:89], off offset:2
	v_and_b32_sdwa v89, v86, s1 dst_sel:DWORD dst_unused:UNUSED_PAD src0_sel:WORD_1 src1_sel:DWORD
	v_lshlrev_b16_sdwa v86, v151, v86 dst_sel:DWORD dst_unused:UNUSED_PAD src0_sel:DWORD src1_sel:WORD_1
	v_add_u16_e32 v86, 0xf000, v86
	v_or_b32_sdwa v86, v89, v86 dst_sel:DWORD dst_unused:UNUSED_PAD src0_sel:DWORD src1_sel:BYTE_1
	v_add_u16_sdwa v86, v86, s15 dst_sel:WORD_1 dst_unused:UNUSED_PAD src0_sel:DWORD src1_sel:DWORD
	v_or_b32_e32 v86, v90, v86
	v_lshrrev_b32_e32 v90, 12, v84
	v_lshrrev_b32_e32 v93, 5, v84
	v_lshlrev_b32_e32 v95, 2, v84
	v_lshrrev_b32_e32 v89, 4, v106
	v_and_b32_e32 v90, 16, v90
	v_and_b32_e32 v93, 0x1000, v93
	;; [unrolled: 1-line block ×3, first 2 shown]
	v_lshlrev_b32_e32 v84, 9, v84
	v_and_b32_e32 v89, 0xf0f0f0f, v89
	v_and_b32_e32 v84, 0x10000000, v84
	v_or3_b32 v90, v93, v90, v95
	v_or3_b32 v84, v90, v84, v89
	v_lshlrev_b16_e32 v90, 8, v84
	v_and_b32_e32 v89, 0x1f00, v84
	v_add_i16 v90, v90, s15 clamp
	v_or_b32_sdwa v89, v89, v90 dst_sel:DWORD dst_unused:UNUSED_PAD src0_sel:DWORD src1_sel:BYTE_1
	v_and_b32_sdwa v90, v84, s16 dst_sel:DWORD dst_unused:UNUSED_PAD src0_sel:WORD_1 src1_sel:DWORD
	v_add_i16 v90, v90, s15 clamp
	v_lshlrev_b16_sdwa v84, v151, v84 dst_sel:DWORD dst_unused:UNUSED_PAD src0_sel:DWORD src1_sel:WORD_1
	v_and_b32_e32 v90, 0xffffff00, v90
	v_add_i16 v84, v84, s15 clamp
	v_add_u16_e32 v89, 0xf000, v89
	v_or_b32_sdwa v84, v84, v90 dst_sel:WORD_1 dst_unused:UNUSED_PAD src0_sel:BYTE_1 src1_sel:DWORD
	v_or_b32_e32 v84, v89, v84
	ds_write2_b32 v59, v86, v84 offset1:1
	v_ashrrev_i32_e32 v84, v32, v105
	v_lshlrev_b32_e32 v89, 4, v84
	v_lshlrev_b32_e32 v90, 11, v84
	v_and_b32_e32 v86, 0xf0f0f0f, v104
	v_and_b32_e32 v89, 16, v89
	;; [unrolled: 1-line block ×3, first 2 shown]
	v_or3_b32 v89, v89, v86, v90
	v_lshlrev_b32_e32 v90, 18, v84
	v_lshlrev_b32_e32 v93, 25, v84
	v_and_b32_e32 v90, 0x100000, v90
	v_and_b32_e32 v93, 0x10000000, v93
	v_or3_b32 v86, v86, v90, v93
	v_and_b32_e32 v90, 0x1f00, v89
	v_lshlrev_b16_e32 v89, 8, v89
	v_add_u16_e32 v89, 0xf000, v89
	v_or_b32_sdwa v89, v90, v89 dst_sel:DWORD dst_unused:UNUSED_PAD src0_sel:DWORD src1_sel:BYTE_1
	v_and_b32_sdwa v90, v86, s1 dst_sel:DWORD dst_unused:UNUSED_PAD src0_sel:WORD_1 src1_sel:DWORD
	v_lshlrev_b16_sdwa v86, v151, v86 dst_sel:DWORD dst_unused:UNUSED_PAD src0_sel:DWORD src1_sel:WORD_1
	v_add_u16_e32 v86, 0xf000, v86
	v_or_b32_sdwa v86, v90, v86 dst_sel:DWORD dst_unused:UNUSED_PAD src0_sel:DWORD src1_sel:BYTE_1
	v_add_u16_e32 v89, 0xf000, v89
	v_add_u16_sdwa v86, v86, s15 dst_sel:WORD_1 dst_unused:UNUSED_PAD src0_sel:DWORD src1_sel:DWORD
	v_lshrrev_b32_e32 v90, 12, v84
	v_lshrrev_b32_e32 v93, 5, v84
	v_lshlrev_b32_e32 v95, 2, v84
	v_or_b32_e32 v86, v89, v86
	v_lshrrev_b32_e32 v89, 4, v104
	v_and_b32_e32 v90, 16, v90
	v_and_b32_e32 v93, 0x1000, v93
	;; [unrolled: 1-line block ×3, first 2 shown]
	v_lshlrev_b32_e32 v84, 9, v84
	v_and_b32_e32 v89, 0xf0f0f0f, v89
	v_and_b32_e32 v84, 0x10000000, v84
	v_or3_b32 v90, v93, v90, v95
	v_or3_b32 v84, v90, v84, v89
	v_lshlrev_b16_e32 v90, 8, v84
	v_and_b32_e32 v89, 0x1f00, v84
	v_add_i16 v90, v90, s15 clamp
	v_or_b32_sdwa v89, v89, v90 dst_sel:DWORD dst_unused:UNUSED_PAD src0_sel:DWORD src1_sel:BYTE_1
	v_and_b32_sdwa v90, v84, s16 dst_sel:DWORD dst_unused:UNUSED_PAD src0_sel:WORD_1 src1_sel:DWORD
	v_add_i16 v90, v90, s15 clamp
	v_lshlrev_b16_sdwa v84, v151, v84 dst_sel:DWORD dst_unused:UNUSED_PAD src0_sel:DWORD src1_sel:WORD_1
	v_and_b32_e32 v90, 0xffffff00, v90
	v_add_i16 v84, v84, s15 clamp
	v_add_u16_e32 v89, 0xf000, v89
	v_or_b32_sdwa v84, v84, v90 dst_sel:WORD_1 dst_unused:UNUSED_PAD src0_sel:BYTE_1 src1_sel:DWORD
	v_or_b32_e32 v84, v89, v84
	ds_write2_b32 v61, v86, v84 offset1:1
	s_waitcnt vmcnt(0)
	v_ashrrev_i32_e32 v84, v32, v88
	v_lshlrev_b32_e32 v88, 4, v84
	v_lshlrev_b32_e32 v89, 11, v84
	v_and_b32_e32 v86, 0xf0f0f0f, v92
	v_and_b32_e32 v88, 16, v88
	;; [unrolled: 1-line block ×3, first 2 shown]
	v_or3_b32 v88, v88, v86, v89
	v_lshlrev_b32_e32 v89, 18, v84
	v_lshlrev_b32_e32 v90, 25, v84
	v_and_b32_e32 v89, 0x100000, v89
	v_and_b32_e32 v90, 0x10000000, v90
	v_or3_b32 v86, v86, v89, v90
	v_and_b32_e32 v89, 0x1f00, v88
	v_lshlrev_b16_e32 v88, 8, v88
	v_add_u16_e32 v88, 0xf000, v88
	v_or_b32_sdwa v88, v89, v88 dst_sel:DWORD dst_unused:UNUSED_PAD src0_sel:DWORD src1_sel:BYTE_1
	v_and_b32_sdwa v89, v86, s1 dst_sel:DWORD dst_unused:UNUSED_PAD src0_sel:WORD_1 src1_sel:DWORD
	v_lshlrev_b16_sdwa v86, v151, v86 dst_sel:DWORD dst_unused:UNUSED_PAD src0_sel:DWORD src1_sel:WORD_1
	v_add_u16_e32 v86, 0xf000, v86
	v_or_b32_sdwa v86, v89, v86 dst_sel:DWORD dst_unused:UNUSED_PAD src0_sel:DWORD src1_sel:BYTE_1
	v_add_u16_e32 v88, 0xf000, v88
	v_add_u16_sdwa v86, v86, s15 dst_sel:WORD_1 dst_unused:UNUSED_PAD src0_sel:DWORD src1_sel:DWORD
	v_or_b32_e32 v86, v88, v86
	v_lshrrev_b32_e32 v88, 4, v92
	v_lshrrev_b32_e32 v89, 12, v84
	;; [unrolled: 1-line block ×3, first 2 shown]
	v_lshlrev_b32_e32 v92, 2, v84
	v_and_b32_e32 v89, 16, v89
	v_and_b32_e32 v90, 0x1000, v90
	;; [unrolled: 1-line block ×3, first 2 shown]
	v_lshlrev_b32_e32 v84, 9, v84
	v_and_b32_e32 v88, 0xf0f0f0f, v88
	v_and_b32_e32 v84, 0x10000000, v84
	v_or3_b32 v89, v90, v89, v92
	v_or3_b32 v84, v89, v84, v88
	v_lshlrev_b16_e32 v89, 8, v84
	v_and_b32_e32 v88, 0x1f00, v84
	v_add_i16 v89, v89, s15 clamp
	v_or_b32_sdwa v88, v88, v89 dst_sel:DWORD dst_unused:UNUSED_PAD src0_sel:DWORD src1_sel:BYTE_1
	v_and_b32_sdwa v89, v84, s16 dst_sel:DWORD dst_unused:UNUSED_PAD src0_sel:WORD_1 src1_sel:DWORD
	v_add_i16 v89, v89, s15 clamp
	v_lshlrev_b16_sdwa v84, v151, v84 dst_sel:DWORD dst_unused:UNUSED_PAD src0_sel:DWORD src1_sel:WORD_1
	v_and_b32_e32 v89, 0xffffff00, v89
	v_add_i16 v84, v84, s15 clamp
	v_add_u16_e32 v88, 0xf000, v88
	v_or_b32_sdwa v84, v84, v89 dst_sel:WORD_1 dst_unused:UNUSED_PAD src0_sel:BYTE_1 src1_sel:DWORD
	v_or_b32_e32 v84, v88, v84
	ds_write2_b32 v63, v86, v84 offset1:1
	v_ashrrev_i32_e32 v84, v32, v94
	v_lshlrev_b32_e32 v88, 4, v84
	v_lshlrev_b32_e32 v89, 11, v84
	v_and_b32_e32 v86, 0xf0f0f0f, v96
	v_and_b32_e32 v88, 16, v88
	;; [unrolled: 1-line block ×3, first 2 shown]
	v_or3_b32 v88, v88, v86, v89
	v_lshlrev_b32_e32 v89, 18, v84
	v_lshlrev_b32_e32 v90, 25, v84
	v_and_b32_e32 v89, 0x100000, v89
	v_and_b32_e32 v90, 0x10000000, v90
	v_or3_b32 v86, v86, v89, v90
	v_and_b32_e32 v89, 0x1f00, v88
	v_lshlrev_b16_e32 v88, 8, v88
	v_add_u16_e32 v88, 0xf000, v88
	v_or_b32_sdwa v88, v89, v88 dst_sel:DWORD dst_unused:UNUSED_PAD src0_sel:DWORD src1_sel:BYTE_1
	v_and_b32_sdwa v89, v86, s1 dst_sel:DWORD dst_unused:UNUSED_PAD src0_sel:WORD_1 src1_sel:DWORD
	v_lshlrev_b16_sdwa v86, v151, v86 dst_sel:DWORD dst_unused:UNUSED_PAD src0_sel:DWORD src1_sel:WORD_1
	v_add_u16_e32 v86, 0xf000, v86
	v_or_b32_sdwa v86, v89, v86 dst_sel:DWORD dst_unused:UNUSED_PAD src0_sel:DWORD src1_sel:BYTE_1
	v_add_u16_e32 v88, 0xf000, v88
	v_add_u16_sdwa v86, v86, s15 dst_sel:WORD_1 dst_unused:UNUSED_PAD src0_sel:DWORD src1_sel:DWORD
	v_lshrrev_b32_e32 v89, 12, v84
	v_lshrrev_b32_e32 v90, 5, v84
	v_lshlrev_b32_e32 v92, 2, v84
	v_or_b32_e32 v86, v88, v86
	v_lshrrev_b32_e32 v88, 4, v96
	v_and_b32_e32 v89, 16, v89
	v_and_b32_e32 v90, 0x1000, v90
	;; [unrolled: 1-line block ×3, first 2 shown]
	v_lshlrev_b32_e32 v84, 9, v84
	v_and_b32_e32 v88, 0xf0f0f0f, v88
	v_and_b32_e32 v84, 0x10000000, v84
	v_or3_b32 v89, v90, v89, v92
	v_or3_b32 v84, v89, v84, v88
	v_lshlrev_b16_e32 v89, 8, v84
	v_and_b32_e32 v88, 0x1f00, v84
	v_add_i16 v89, v89, s15 clamp
	v_or_b32_sdwa v88, v88, v89 dst_sel:DWORD dst_unused:UNUSED_PAD src0_sel:DWORD src1_sel:BYTE_1
	v_and_b32_sdwa v89, v84, s16 dst_sel:DWORD dst_unused:UNUSED_PAD src0_sel:WORD_1 src1_sel:DWORD
	v_add_i16 v89, v89, s15 clamp
	v_lshlrev_b16_sdwa v84, v151, v84 dst_sel:DWORD dst_unused:UNUSED_PAD src0_sel:DWORD src1_sel:WORD_1
	v_and_b32_e32 v89, 0xffffff00, v89
	v_add_i16 v84, v84, s15 clamp
	v_add_u16_e32 v88, 0xf000, v88
	v_or_b32_sdwa v84, v84, v89 dst_sel:WORD_1 dst_unused:UNUSED_PAD src0_sel:BYTE_1 src1_sel:DWORD
	v_or_b32_e32 v84, v88, v84
	v_ashrrev_i32_e32 v83, v32, v83
	ds_write2_b32 v65, v86, v84 offset1:1
	v_lshlrev_b32_e32 v86, 4, v83
	v_lshlrev_b32_e32 v88, 11, v83
	v_and_b32_e32 v84, 0xf0f0f0f, v82
	v_and_b32_e32 v86, 16, v86
	;; [unrolled: 1-line block ×3, first 2 shown]
	v_or3_b32 v86, v86, v84, v88
	v_lshlrev_b32_e32 v88, 18, v83
	v_lshlrev_b32_e32 v89, 25, v83
	v_and_b32_e32 v88, 0x100000, v88
	v_and_b32_e32 v89, 0x10000000, v89
	v_or3_b32 v84, v84, v88, v89
	v_and_b32_e32 v88, 0x1f00, v86
	v_lshlrev_b16_e32 v86, 8, v86
	v_add_u16_e32 v86, 0xf000, v86
	v_or_b32_sdwa v86, v88, v86 dst_sel:DWORD dst_unused:UNUSED_PAD src0_sel:DWORD src1_sel:BYTE_1
	v_and_b32_sdwa v88, v84, s1 dst_sel:DWORD dst_unused:UNUSED_PAD src0_sel:WORD_1 src1_sel:DWORD
	v_lshlrev_b16_sdwa v84, v151, v84 dst_sel:DWORD dst_unused:UNUSED_PAD src0_sel:DWORD src1_sel:WORD_1
	v_add_u16_e32 v84, 0xf000, v84
	v_or_b32_sdwa v84, v88, v84 dst_sel:DWORD dst_unused:UNUSED_PAD src0_sel:DWORD src1_sel:BYTE_1
	v_add_u16_e32 v86, 0xf000, v86
	v_add_u16_sdwa v84, v84, s15 dst_sel:WORD_1 dst_unused:UNUSED_PAD src0_sel:DWORD src1_sel:DWORD
	v_lshrrev_b32_e32 v82, 4, v82
	v_or_b32_e32 v84, v86, v84
	v_and_b32_e32 v86, 0xf0f0f0f, v82
	v_lshrrev_b32_e32 v82, 12, v83
	v_and_b32_e32 v90, 16, v82
	v_lshrrev_b32_e32 v82, 5, v83
	v_and_b32_e32 v110, 0x1000, v82
	v_lshlrev_b32_e32 v82, 2, v83
	v_and_b32_e32 v111, 0x100000, v82
	v_lshlrev_b32_e32 v82, 9, v83
	v_and_b32_e32 v112, 0x10000000, v82
	v_mad_u64_u32 v[82:83], s[4:5], v68, 22, s[4:5]
	v_mad_u64_u32 v[88:89], s[4:5], v70, 22, v[82:83]
	;; [unrolled: 1-line block ×5, first 2 shown]
	v_add_u32_e32 v104, s0, v71
	global_load_ushort v113, v[88:89], off
	global_load_ushort v114, v[92:93], off
	;; [unrolled: 1-line block ×3, first 2 shown]
	s_nop 0
	global_load_ushort v82, v[82:83], off
	v_add_u32_e32 v88, v104, v75
	v_add_u32_e32 v92, v104, v81
	;; [unrolled: 1-line block ×6, first 2 shown]
	v_mad_i64_i32 v[88:89], s[4:5], v88, 36, v[78:79]
	v_mad_i64_i32 v[92:93], s[4:5], v92, 36, v[78:79]
	;; [unrolled: 1-line block ×5, first 2 shown]
	v_add_u32_e32 v100, v104, v128
	v_add_u32_e32 v102, v104, v130
	;; [unrolled: 1-line block ×3, first 2 shown]
	v_mad_i64_i32 v[100:101], s[4:5], v100, 36, v[78:79]
	v_mad_i64_i32 v[102:103], s[4:5], v102, 36, v[78:79]
	;; [unrolled: 1-line block ×3, first 2 shown]
	v_mad_u64_u32 v[106:107], s[4:5], v83, 36, s[2:3]
	global_load_dword v88, v[88:89], off offset:4
	s_nop 0
	global_load_dword v89, v[92:93], off offset:4
	s_nop 0
	global_load_dword v92, v[94:95], off offset:4
	global_load_dword v93, v[96:97], off offset:4
	s_nop 0
	global_load_dword v94, v[98:99], off offset:4
	global_load_dword v95, v[106:107], off
	global_load_dword v96, v[100:101], off offset:4
	global_load_dword v97, v[102:103], off offset:4
	s_nop 0
	global_load_dword v98, v[104:105], off offset:4
	v_or3_b32 v90, v110, v90, v111
	v_or3_b32 v86, v90, v112, v86
	v_lshlrev_b16_e32 v99, 8, v86
	v_and_b32_e32 v90, 0x1f00, v86
	v_add_i16 v99, v99, s15 clamp
	v_or_b32_sdwa v90, v90, v99 dst_sel:DWORD dst_unused:UNUSED_PAD src0_sel:DWORD src1_sel:BYTE_1
	v_and_b32_sdwa v99, v86, s16 dst_sel:DWORD dst_unused:UNUSED_PAD src0_sel:WORD_1 src1_sel:DWORD
	v_add_i16 v99, v99, s15 clamp
	v_lshlrev_b16_sdwa v86, v151, v86 dst_sel:DWORD dst_unused:UNUSED_PAD src0_sel:DWORD src1_sel:WORD_1
	v_and_b32_e32 v99, 0xffffff00, v99
	v_add_i16 v86, v86, s15 clamp
	v_add_u16_e32 v90, 0xf000, v90
	v_or_b32_sdwa v86, v86, v99 dst_sel:WORD_1 dst_unused:UNUSED_PAD src0_sel:BYTE_1 src1_sel:DWORD
	v_or_b32_e32 v86, v90, v86
	ds_write2_b32 v67, v84, v86 offset1:1
	v_ashrrev_i32_e32 v84, v32, v109
	v_lshlrev_b32_e32 v90, 4, v84
	v_lshlrev_b32_e32 v99, 11, v84
	v_and_b32_e32 v86, 0xf0f0f0f, v108
	v_and_b32_e32 v90, 16, v90
	;; [unrolled: 1-line block ×3, first 2 shown]
	v_or3_b32 v90, v90, v86, v99
	v_lshlrev_b32_e32 v99, 18, v84
	v_lshlrev_b32_e32 v100, 25, v84
	v_and_b32_e32 v99, 0x100000, v99
	v_and_b32_e32 v100, 0x10000000, v100
	v_or3_b32 v86, v86, v99, v100
	v_and_b32_e32 v99, 0x1f00, v90
	v_lshlrev_b16_e32 v90, 8, v90
	v_add_u16_e32 v90, 0xf000, v90
	v_or_b32_sdwa v90, v99, v90 dst_sel:DWORD dst_unused:UNUSED_PAD src0_sel:DWORD src1_sel:BYTE_1
	v_and_b32_sdwa v99, v86, s1 dst_sel:DWORD dst_unused:UNUSED_PAD src0_sel:WORD_1 src1_sel:DWORD
	v_lshlrev_b16_sdwa v86, v151, v86 dst_sel:DWORD dst_unused:UNUSED_PAD src0_sel:DWORD src1_sel:WORD_1
	v_add_u16_e32 v86, 0xf000, v86
	v_or_b32_sdwa v86, v99, v86 dst_sel:DWORD dst_unused:UNUSED_PAD src0_sel:DWORD src1_sel:BYTE_1
	v_add_u16_e32 v90, 0xf000, v90
	v_add_u16_sdwa v86, v86, s15 dst_sel:WORD_1 dst_unused:UNUSED_PAD src0_sel:DWORD src1_sel:DWORD
	v_lshrrev_b32_e32 v99, 12, v84
	v_lshrrev_b32_e32 v100, 5, v84
	v_lshlrev_b32_e32 v101, 2, v84
	v_or_b32_e32 v86, v90, v86
	v_lshrrev_b32_e32 v90, 4, v108
	v_and_b32_e32 v99, 16, v99
	v_and_b32_e32 v100, 0x1000, v100
	;; [unrolled: 1-line block ×3, first 2 shown]
	v_lshlrev_b32_e32 v84, 9, v84
	v_and_b32_e32 v90, 0xf0f0f0f, v90
	v_and_b32_e32 v84, 0x10000000, v84
	v_or3_b32 v99, v100, v99, v101
	v_or3_b32 v84, v99, v84, v90
	v_lshlrev_b16_e32 v99, 8, v84
	v_and_b32_e32 v90, 0x1f00, v84
	v_add_i16 v99, v99, s15 clamp
	v_or_b32_sdwa v90, v90, v99 dst_sel:DWORD dst_unused:UNUSED_PAD src0_sel:DWORD src1_sel:BYTE_1
	v_and_b32_sdwa v99, v84, s16 dst_sel:DWORD dst_unused:UNUSED_PAD src0_sel:WORD_1 src1_sel:DWORD
	v_add_i16 v99, v99, s15 clamp
	v_lshlrev_b16_sdwa v84, v151, v84 dst_sel:DWORD dst_unused:UNUSED_PAD src0_sel:DWORD src1_sel:WORD_1
	v_and_b32_e32 v99, 0xffffff00, v99
	v_add_i16 v84, v84, s15 clamp
	v_add_u16_e32 v90, 0xf000, v90
	v_or_b32_sdwa v84, v84, v99 dst_sel:WORD_1 dst_unused:UNUSED_PAD src0_sel:BYTE_1 src1_sel:DWORD
	v_or_b32_e32 v84, v90, v84
	ds_write2_b32 v69, v86, v84 offset1:1
	s_waitcnt vmcnt(12)
	v_cvt_f32_f16_e32 v84, v113
	s_waitcnt vmcnt(11)
	v_cvt_f32_f16_e32 v86, v114
	;; [unrolled: 2-line block ×4, first 2 shown]
	ds_write_b32 v147, v84
	ds_write_b32 v148, v86
	;; [unrolled: 1-line block ×4, first 2 shown]
	s_waitcnt vmcnt(8)
	ds_write_b32 v77, v88
	s_waitcnt vmcnt(7)
	ds_write_b32 v85, v89
	s_waitcnt vmcnt(6)
	ds_write_b32 v91, v92
	s_waitcnt vmcnt(5)
	ds_write_b32 v125, v93
	s_waitcnt vmcnt(4)
	ds_write_b32 v127, v94
	s_waitcnt vmcnt(3)
	v_cvt_f32_f16_e32 v82, v95
	s_mov_b32 s4, -4
	s_waitcnt vmcnt(2)
	ds_write_b32 v129, v96
	s_waitcnt vmcnt(1)
	ds_write_b32 v131, v97
	;; [unrolled: 2-line block ×3, first 2 shown]
	ds_write_b32 v73, v82
	s_waitcnt lgkmcnt(0)
	s_barrier
.LBB121_7:                              ;   Parent Loop BB121_6 Depth=1
                                        ; =>  This Inner Loop Header: Depth=2
	v_add_u32_e32 v84, 0x2080, v154
	ds_read_b128 v[160:163], v153
	ds_read_b128 v[164:167], v153 offset:16
	ds_read2_b32 v[122:123], v152 offset1:32
	ds_read_b32 v86, v155
	ds_read2_b32 v[94:95], v154 offset1:1
	ds_read2_b32 v[102:103], v154 offset0:2 offset1:3
	ds_read2_b32 v[108:109], v154 offset0:4 offset1:5
	;; [unrolled: 1-line block ×3, first 2 shown]
	ds_read_b32 v82, v156
	ds_read2_b32 v[88:89], v84 offset1:1
	v_add_u32_e32 v84, 0x2088, v154
	ds_read2_b32 v[96:97], v84 offset1:1
	v_add_u32_e32 v84, 0x2090, v154
	;; [unrolled: 2-line block ×3, first 2 shown]
	v_add_u32_e32 v90, 0x4100, v154
	ds_read2_b32 v[114:115], v84 offset1:1
	ds_read_b32 v84, v157
	ds_read2_b32 v[92:93], v90 offset1:1
	v_add_u32_e32 v90, 0x4108, v154
	ds_read2_b32 v[100:101], v90 offset1:1
	v_add_u32_e32 v90, 0x4110, v154
	;; [unrolled: 2-line block ×3, first 2 shown]
	v_add_u32_e32 v98, 0x6180, v154
	ds_read2_b32 v[118:119], v90 offset1:1
	ds_read_b32 v90, v158
	ds_read2_b32 v[98:99], v98 offset1:1
	v_add_u32_e32 v106, 0x6188, v154
	ds_read2_b32 v[106:107], v106 offset1:1
	v_add_u32_e32 v116, 0x6190, v154
	ds_read2_b32 v[116:117], v116 offset1:1
	v_mov_b32_e32 v159, 0
	v_mov_b32_e32 v172, 0
	;; [unrolled: 1-line block ×4, first 2 shown]
	s_waitcnt lgkmcnt(14)
	v_dot4c_i32_i8_e32 v159, v94, v160
	s_waitcnt lgkmcnt(12)
	v_dot4c_i32_i8_e32 v172, v88, v160
	;; [unrolled: 2-line block ×4, first 2 shown]
	v_add_u32_e32 v120, 0x6198, v154
	ds_read2_b32 v[120:121], v120 offset1:1
	v_dot4c_i32_i8_e32 v159, v95, v164
	v_dot4c_i32_i8_e32 v172, v89, v164
	v_dot4c_i32_i8_e32 v173, v93, v164
	v_dot4c_i32_i8_e32 v174, v99, v164
	v_dot4c_i32_i8_e32 v159, v102, v161
	v_dot4c_i32_i8_e32 v172, v96, v161
	v_dot4c_i32_i8_e32 v173, v100, v161
	s_waitcnt lgkmcnt(2)
	v_dot4c_i32_i8_e32 v174, v106, v161
	v_dot4c_i32_i8_e32 v159, v103, v165
	v_dot4c_i32_i8_e32 v172, v97, v165
	v_dot4c_i32_i8_e32 v173, v101, v165
	v_dot4c_i32_i8_e32 v174, v107, v165
	v_dot4c_i32_i8_e32 v159, v108, v162
	v_dot4c_i32_i8_e32 v172, v104, v162
	v_dot4c_i32_i8_e32 v173, v110, v162
	s_waitcnt lgkmcnt(1)
	v_dot4c_i32_i8_e32 v174, v116, v162
	;; [unrolled: 9-line block ×3, first 2 shown]
	v_dot4c_i32_i8_e32 v159, v113, v167
	v_dot4c_i32_i8_e32 v172, v115, v167
	;; [unrolled: 1-line block ×4, first 2 shown]
	ds_read_b128 v[160:163], v153 offset:1024
	ds_read_b128 v[164:167], v153 offset:1040
	v_mov_b32_e32 v170, 0
	v_pk_mul_f32 v[168:169], v[86:87], v[122:123] op_sel_hi:[0,1]
	s_add_i32 s4, s4, 4
	s_waitcnt lgkmcnt(1)
	v_dot4c_i32_i8_e32 v170, v94, v160
	s_waitcnt lgkmcnt(0)
	v_dot4c_i32_i8_e32 v170, v95, v164
	v_dot4c_i32_i8_e32 v170, v102, v161
	;; [unrolled: 1-line block ×7, first 2 shown]
	v_add_u32_e32 v158, 4, v158
	v_add_u32_e32 v157, 4, v157
	;; [unrolled: 1-line block ×3, first 2 shown]
	v_cvt_f32_i32_e32 v171, v170
	v_cvt_f32_i32_e32 v170, v159
	v_mov_b32_e32 v159, 0
	v_dot4c_i32_i8_e32 v159, v88, v160
	v_dot4c_i32_i8_e32 v159, v89, v164
	;; [unrolled: 1-line block ×8, first 2 shown]
	v_pk_fma_f32 v[38:39], v[168:169], v[170:171], v[38:39]
	v_cvt_f32_i32_e32 v170, v172
	v_pk_mul_f32 v[168:169], v[82:83], v[122:123] op_sel_hi:[0,1]
	v_cvt_f32_i32_e32 v171, v159
	v_mov_b32_e32 v159, 0
	v_dot4c_i32_i8_e32 v159, v92, v160
	v_dot4c_i32_i8_e32 v159, v93, v164
	;; [unrolled: 1-line block ×8, first 2 shown]
	v_pk_fma_f32 v[30:31], v[168:169], v[170:171], v[30:31]
	v_pk_mul_f32 v[168:169], v[84:85], v[122:123] op_sel_hi:[0,1]
	v_pk_mul_f32 v[122:123], v[90:91], v[122:123] op_sel_hi:[0,1]
	v_cvt_f32_i32_e32 v171, v159
	v_mov_b32_e32 v159, 0
	v_dot4c_i32_i8_e32 v159, v98, v160
	v_dot4c_i32_i8_e32 v159, v99, v164
	;; [unrolled: 1-line block ×8, first 2 shown]
	v_cvt_f32_i32_e32 v160, v174
	v_cvt_f32_i32_e32 v170, v173
	v_mov_b32_e32 v172, 0
	v_cvt_f32_i32_e32 v161, v159
	v_mov_b32_e32 v159, 0
	v_mov_b32_e32 v173, 0
	v_mov_b32_e32 v174, 0
	v_pk_fma_f32 v[26:27], v[122:123], v[160:161], v[26:27]
	ds_read_b128 v[160:163], v153 offset:2048
	ds_read_b128 v[164:167], v153 offset:2064
	ds_read2_b32 v[122:123], v152 offset0:64 offset1:96
	v_pk_fma_f32 v[28:29], v[168:169], v[170:171], v[28:29]
	v_mov_b32_e32 v170, 0
	s_waitcnt lgkmcnt(2)
	v_dot4c_i32_i8_e32 v159, v94, v160
	v_dot4c_i32_i8_e32 v172, v88, v160
	;; [unrolled: 1-line block ×4, first 2 shown]
	s_waitcnt lgkmcnt(1)
	v_dot4c_i32_i8_e32 v159, v95, v164
	v_dot4c_i32_i8_e32 v172, v89, v164
	;; [unrolled: 1-line block ×28, first 2 shown]
	ds_read_b128 v[160:163], v153 offset:3072
	ds_read_b128 v[164:167], v153 offset:3088
	s_waitcnt lgkmcnt(2)
	v_pk_mul_f32 v[168:169], v[86:87], v[122:123] op_sel_hi:[0,1]
	v_add_u32_e32 v155, 4, v155
	v_add_u32_e32 v154, 32, v154
	s_waitcnt lgkmcnt(1)
	v_dot4c_i32_i8_e32 v170, v94, v160
	s_waitcnt lgkmcnt(0)
	v_dot4c_i32_i8_e32 v170, v95, v164
	v_dot4c_i32_i8_e32 v170, v102, v161
	;; [unrolled: 1-line block ×7, first 2 shown]
	s_cmp_lt_u32 s4, 12
	s_nop 1
	v_cvt_f32_i32_e32 v171, v170
	v_cvt_f32_i32_e32 v170, v159
	v_mov_b32_e32 v159, 0
	v_dot4c_i32_i8_e32 v159, v88, v160
	v_dot4c_i32_i8_e32 v159, v89, v164
	;; [unrolled: 1-line block ×8, first 2 shown]
	v_pk_fma_f32 v[24:25], v[168:169], v[170:171], v[24:25]
	v_cvt_f32_i32_e32 v170, v172
	v_pk_mul_f32 v[168:169], v[82:83], v[122:123] op_sel_hi:[0,1]
	v_cvt_f32_i32_e32 v171, v159
	v_mov_b32_e32 v159, 0
	v_dot4c_i32_i8_e32 v159, v92, v160
	v_dot4c_i32_i8_e32 v159, v93, v164
	;; [unrolled: 1-line block ×8, first 2 shown]
	v_pk_fma_f32 v[22:23], v[168:169], v[170:171], v[22:23]
	v_pk_mul_f32 v[168:169], v[84:85], v[122:123] op_sel_hi:[0,1]
	v_pk_mul_f32 v[122:123], v[90:91], v[122:123] op_sel_hi:[0,1]
	v_cvt_f32_i32_e32 v171, v159
	v_mov_b32_e32 v159, 0
	v_dot4c_i32_i8_e32 v159, v98, v160
	v_dot4c_i32_i8_e32 v159, v99, v164
	;; [unrolled: 1-line block ×8, first 2 shown]
	v_cvt_f32_i32_e32 v160, v174
	v_cvt_f32_i32_e32 v170, v173
	v_mov_b32_e32 v172, 0
	v_cvt_f32_i32_e32 v161, v159
	v_mov_b32_e32 v159, 0
	v_mov_b32_e32 v173, 0
	;; [unrolled: 1-line block ×3, first 2 shown]
	v_pk_fma_f32 v[18:19], v[122:123], v[160:161], v[18:19]
	ds_read_b128 v[160:163], v153 offset:4096
	ds_read_b128 v[164:167], v153 offset:4112
	ds_read2_b32 v[122:123], v152 offset0:128 offset1:160
	v_pk_fma_f32 v[20:21], v[168:169], v[170:171], v[20:21]
	v_mov_b32_e32 v170, 0
	s_waitcnt lgkmcnt(2)
	v_dot4c_i32_i8_e32 v159, v94, v160
	v_dot4c_i32_i8_e32 v172, v88, v160
	;; [unrolled: 1-line block ×4, first 2 shown]
	s_waitcnt lgkmcnt(1)
	v_dot4c_i32_i8_e32 v159, v95, v164
	v_dot4c_i32_i8_e32 v172, v89, v164
	;; [unrolled: 1-line block ×28, first 2 shown]
	ds_read_b128 v[160:163], v153 offset:5120
	ds_read_b128 v[164:167], v153 offset:5136
	s_waitcnt lgkmcnt(2)
	v_pk_mul_f32 v[168:169], v[86:87], v[122:123] op_sel_hi:[0,1]
	s_waitcnt lgkmcnt(1)
	v_dot4c_i32_i8_e32 v170, v94, v160
	s_waitcnt lgkmcnt(0)
	v_dot4c_i32_i8_e32 v170, v95, v164
	v_dot4c_i32_i8_e32 v170, v102, v161
	;; [unrolled: 1-line block ×7, first 2 shown]
	s_nop 2
	v_cvt_f32_i32_e32 v171, v170
	v_cvt_f32_i32_e32 v170, v159
	v_mov_b32_e32 v159, 0
	v_dot4c_i32_i8_e32 v159, v88, v160
	v_dot4c_i32_i8_e32 v159, v89, v164
	;; [unrolled: 1-line block ×8, first 2 shown]
	v_pk_fma_f32 v[16:17], v[168:169], v[170:171], v[16:17]
	v_cvt_f32_i32_e32 v170, v172
	v_pk_mul_f32 v[168:169], v[82:83], v[122:123] op_sel_hi:[0,1]
	v_cvt_f32_i32_e32 v171, v159
	v_mov_b32_e32 v159, 0
	v_dot4c_i32_i8_e32 v159, v92, v160
	v_dot4c_i32_i8_e32 v159, v93, v164
	;; [unrolled: 1-line block ×8, first 2 shown]
	v_pk_fma_f32 v[14:15], v[168:169], v[170:171], v[14:15]
	v_cvt_f32_i32_e32 v170, v173
	v_pk_mul_f32 v[168:169], v[84:85], v[122:123] op_sel_hi:[0,1]
	v_cvt_f32_i32_e32 v171, v159
	v_mov_b32_e32 v159, 0
	v_dot4c_i32_i8_e32 v159, v98, v160
	v_dot4c_i32_i8_e32 v159, v99, v164
	;; [unrolled: 1-line block ×8, first 2 shown]
	v_cvt_f32_i32_e32 v160, v174
	v_pk_mul_f32 v[122:123], v[90:91], v[122:123] op_sel_hi:[0,1]
	v_pk_fma_f32 v[12:13], v[168:169], v[170:171], v[12:13]
	v_cvt_f32_i32_e32 v161, v159
	v_mov_b32_e32 v159, 0
	v_mov_b32_e32 v168, 0
	v_mov_b32_e32 v169, 0
	v_pk_fma_f32 v[10:11], v[122:123], v[160:161], v[10:11]
	ds_read_b128 v[160:163], v153 offset:6144
	ds_read_b128 v[164:167], v153 offset:6160
	ds_read2_b32 v[122:123], v152 offset0:192 offset1:224
	v_mov_b32_e32 v170, 0
	v_mov_b32_e32 v171, 0
	s_waitcnt lgkmcnt(2)
	v_dot4c_i32_i8_e32 v159, v94, v160
	v_dot4c_i32_i8_e32 v168, v88, v160
	;; [unrolled: 1-line block ×4, first 2 shown]
	s_waitcnt lgkmcnt(1)
	v_dot4c_i32_i8_e32 v159, v95, v164
	v_dot4c_i32_i8_e32 v168, v89, v164
	;; [unrolled: 1-line block ×28, first 2 shown]
	ds_read_b128 v[160:163], v153 offset:7168
	ds_read_b128 v[164:167], v153 offset:7184
	v_add_u32_e32 v153, 32, v153
	v_add_u32_e32 v152, 4, v152
	s_waitcnt lgkmcnt(1)
	v_dot4c_i32_i8_e32 v171, v94, v160
	s_waitcnt lgkmcnt(0)
	v_dot4c_i32_i8_e32 v171, v95, v164
	v_pk_mul_f32 v[94:95], v[86:87], v[122:123] op_sel_hi:[0,1]
	v_mov_b32_e32 v86, 0
	v_dot4c_i32_i8_e32 v86, v88, v160
	v_dot4c_i32_i8_e32 v86, v89, v164
	v_pk_mul_f32 v[88:89], v[82:83], v[122:123] op_sel_hi:[0,1]
	v_mov_b32_e32 v82, 0
	v_dot4c_i32_i8_e32 v82, v92, v160
	v_dot4c_i32_i8_e32 v82, v93, v164
	;; [unrolled: 1-line block ×16, first 2 shown]
	v_cvt_f32_i32_e32 v102, v159
	v_cvt_f32_i32_e32 v103, v171
	v_dot4c_i32_i8_e32 v86, v104, v162
	v_cvt_f32_i32_e32 v93, v82
	v_mov_b32_e32 v82, 0
	v_dot4c_i32_i8_e32 v86, v105, v166
	v_dot4c_i32_i8_e32 v82, v98, v160
	;; [unrolled: 1-line block ×6, first 2 shown]
	v_pk_fma_f32 v[8:9], v[94:95], v[102:103], v[8:9]
	v_cvt_f32_i32_e32 v94, v168
	v_cvt_f32_i32_e32 v95, v86
	v_dot4c_i32_i8_e32 v82, v107, v165
	v_cvt_f32_i32_e32 v92, v169
	v_dot4c_i32_i8_e32 v82, v116, v162
	v_dot4c_i32_i8_e32 v82, v117, v166
	;; [unrolled: 1-line block ×3, first 2 shown]
	v_pk_fma_f32 v[6:7], v[88:89], v[94:95], v[6:7]
	v_pk_mul_f32 v[88:89], v[84:85], v[122:123] op_sel_hi:[0,1]
	v_dot4c_i32_i8_e32 v82, v121, v167
	v_pk_fma_f32 v[4:5], v[88:89], v[92:93], v[4:5]
	v_cvt_f32_i32_e32 v92, v170
	v_pk_mul_f32 v[88:89], v[90:91], v[122:123] op_sel_hi:[0,1]
	v_cvt_f32_i32_e32 v93, v82
	v_pk_fma_f32 v[2:3], v[88:89], v[92:93], v[2:3]
	s_cbranch_scc1 .LBB121_7
; %bb.8:                                ;   in Loop: Header=BB121_6 Depth=1
	s_or_b32 s4, s0, 4
	s_cmp_ge_i32 s4, s7
	s_barrier
	s_cbranch_scc1 .LBB121_5
; %bb.9:                                ;   in Loop: Header=BB121_6 Depth=1
	v_add_u32_e32 v82, s0, v135
	v_add_u32_e32 v84, v82, v75
	v_mad_i64_i32 v[88:89], s[4:5], v84, 36, v[78:79]
	v_add_u32_e32 v84, v82, v81
	v_mad_i64_i32 v[92:93], s[4:5], v84, 36, v[78:79]
	v_add_u32_e32 v84, v82, v87
	v_mad_i64_i32 v[94:95], s[4:5], v84, 36, v[78:79]
	v_add_u32_e32 v84, v82, v124
	v_mad_i64_i32 v[96:97], s[4:5], v84, 36, v[78:79]
	v_add_u32_e32 v84, v82, v126
	v_mad_i64_i32 v[98:99], s[4:5], v84, 36, v[78:79]
	v_add_u32_e32 v84, v82, v128
	v_mad_i64_i32 v[100:101], s[4:5], v84, 36, v[78:79]
	v_add_u32_e32 v84, v82, v130
	v_add_u32_e32 v82, v82, v132
	v_mad_i64_i32 v[104:105], s[4:5], v82, 36, v[78:79]
	v_add_u32_e32 v82, 4, v83
	v_mad_u64_u32 v[82:83], s[4:5], v82, 36, s[2:3]
	v_mad_i64_i32 v[102:103], s[4:5], v84, 36, v[78:79]
	global_load_dword v82, v[82:83], off
	s_nop 0
	global_load_dword v84, v[88:89], off offset:4
	global_load_dword v86, v[92:93], off offset:4
	s_nop 0
	global_load_dword v88, v[94:95], off offset:4
	global_load_dword v89, v[96:97], off offset:4
	global_load_dword v90, v[98:99], off offset:4
	global_load_dword v92, v[100:101], off offset:4
                                        ; kill: killed $vgpr100_vgpr101
                                        ; kill: killed $vgpr98_vgpr99
	global_load_dword v93, v[102:103], off offset:4
	s_nop 0
	global_load_dword v94, v[104:105], off offset:4
	s_mov_b32 s4, 12
	v_mov_b32_e32 v83, v141
	v_mov_b32_e32 v152, v140
	;; [unrolled: 1-line block ×7, first 2 shown]
	s_waitcnt vmcnt(8)
	v_cvt_f32_f16_e32 v82, v82
	s_waitcnt vmcnt(7)
	ds_write_b32 v77, v84
	s_waitcnt vmcnt(6)
	ds_write_b32 v85, v86
	;; [unrolled: 2-line block ×8, first 2 shown]
	ds_write_b32 v73, v82
	s_waitcnt lgkmcnt(0)
	s_barrier
.LBB121_10:                             ;   Parent Loop BB121_6 Depth=1
                                        ; =>  This Inner Loop Header: Depth=2
	v_add_u32_e32 v84, 0x2080, v153
	ds_read_b128 v[158:161], v152
	ds_read_b128 v[162:165], v152 offset:16
	ds_read2_b32 v[122:123], v83 offset1:32
	ds_read_b32 v86, v154
	ds_read2_b32 v[94:95], v153 offset1:1
	ds_read2_b32 v[102:103], v153 offset0:2 offset1:3
	ds_read2_b32 v[108:109], v153 offset0:4 offset1:5
	;; [unrolled: 1-line block ×3, first 2 shown]
	ds_read_b32 v82, v155
	ds_read2_b32 v[88:89], v84 offset1:1
	v_add_u32_e32 v84, 0x2088, v153
	ds_read2_b32 v[96:97], v84 offset1:1
	v_add_u32_e32 v84, 0x2090, v153
	;; [unrolled: 2-line block ×3, first 2 shown]
	v_add_u32_e32 v90, 0x4100, v153
	ds_read2_b32 v[114:115], v84 offset1:1
	ds_read_b32 v84, v156
	ds_read2_b32 v[92:93], v90 offset1:1
	v_add_u32_e32 v90, 0x4108, v153
	ds_read2_b32 v[100:101], v90 offset1:1
	v_add_u32_e32 v90, 0x4110, v153
	;; [unrolled: 2-line block ×3, first 2 shown]
	v_add_u32_e32 v98, 0x6180, v153
	ds_read2_b32 v[118:119], v90 offset1:1
	ds_read_b32 v90, v157
	ds_read2_b32 v[98:99], v98 offset1:1
	v_add_u32_e32 v106, 0x6188, v153
	ds_read2_b32 v[106:107], v106 offset1:1
	v_add_u32_e32 v116, 0x6190, v153
	ds_read2_b32 v[116:117], v116 offset1:1
	v_mov_b32_e32 v168, 0
	v_mov_b32_e32 v170, 0
	;; [unrolled: 1-line block ×4, first 2 shown]
	s_waitcnt lgkmcnt(14)
	v_dot4c_i32_i8_e32 v168, v94, v158
	s_waitcnt lgkmcnt(12)
	v_dot4c_i32_i8_e32 v170, v88, v158
	;; [unrolled: 2-line block ×4, first 2 shown]
	v_add_u32_e32 v120, 0x6198, v153
	ds_read2_b32 v[120:121], v120 offset1:1
	v_dot4c_i32_i8_e32 v168, v95, v162
	v_dot4c_i32_i8_e32 v170, v89, v162
	v_dot4c_i32_i8_e32 v171, v93, v162
	v_dot4c_i32_i8_e32 v172, v99, v162
	v_dot4c_i32_i8_e32 v168, v102, v159
	v_dot4c_i32_i8_e32 v170, v96, v159
	v_dot4c_i32_i8_e32 v171, v100, v159
	s_waitcnt lgkmcnt(2)
	v_dot4c_i32_i8_e32 v172, v106, v159
	v_dot4c_i32_i8_e32 v168, v103, v163
	v_dot4c_i32_i8_e32 v170, v97, v163
	v_dot4c_i32_i8_e32 v171, v101, v163
	v_dot4c_i32_i8_e32 v172, v107, v163
	v_dot4c_i32_i8_e32 v168, v108, v160
	v_dot4c_i32_i8_e32 v170, v104, v160
	v_dot4c_i32_i8_e32 v171, v110, v160
	s_waitcnt lgkmcnt(1)
	v_dot4c_i32_i8_e32 v172, v116, v160
	;; [unrolled: 9-line block ×3, first 2 shown]
	v_dot4c_i32_i8_e32 v168, v113, v165
	v_dot4c_i32_i8_e32 v170, v115, v165
	;; [unrolled: 1-line block ×4, first 2 shown]
	ds_read_b128 v[158:161], v152 offset:1024
	ds_read_b128 v[162:165], v152 offset:1040
	v_mov_b32_e32 v169, 0
	v_cvt_f32_i32_e32 v168, v168
	v_pk_mul_f32 v[166:167], v[86:87], v[122:123] op_sel_hi:[0,1]
	s_waitcnt lgkmcnt(1)
	v_dot4c_i32_i8_e32 v169, v94, v158
	s_waitcnt lgkmcnt(0)
	v_dot4c_i32_i8_e32 v169, v95, v162
	v_dot4c_i32_i8_e32 v169, v102, v159
	;; [unrolled: 1-line block ×7, first 2 shown]
	s_add_i32 s4, s4, 4
	v_add_u32_e32 v157, 4, v157
	v_add_u32_e32 v156, 4, v156
	v_cvt_f32_i32_e32 v169, v169
	v_add_u32_e32 v155, 4, v155
	v_add_u32_e32 v154, 4, v154
	;; [unrolled: 1-line block ×3, first 2 shown]
	v_pk_fma_f32 v[38:39], v[166:167], v[168:169], v[38:39]
	v_mov_b32_e32 v168, 0
	v_dot4c_i32_i8_e32 v168, v88, v158
	v_dot4c_i32_i8_e32 v168, v89, v162
	;; [unrolled: 1-line block ×8, first 2 shown]
	v_pk_mul_f32 v[166:167], v[82:83], v[122:123] op_sel_hi:[0,1]
	s_cmp_lt_u32 s4, 28
	s_nop 0
	v_cvt_f32_i32_e32 v169, v168
	v_cvt_f32_i32_e32 v168, v170
	v_mov_b32_e32 v170, 0
	v_pk_fma_f32 v[30:31], v[166:167], v[168:169], v[30:31]
	v_mov_b32_e32 v168, 0
	v_dot4c_i32_i8_e32 v168, v92, v158
	v_dot4c_i32_i8_e32 v168, v93, v162
	;; [unrolled: 1-line block ×8, first 2 shown]
	v_pk_mul_f32 v[166:167], v[84:85], v[122:123] op_sel_hi:[0,1]
	v_pk_mul_f32 v[122:123], v[90:91], v[122:123] op_sel_hi:[0,1]
	s_nop 0
	v_cvt_f32_i32_e32 v169, v168
	v_cvt_f32_i32_e32 v168, v171
	v_mov_b32_e32 v171, 0
	v_pk_fma_f32 v[28:29], v[166:167], v[168:169], v[28:29]
	v_mov_b32_e32 v166, 0
	v_dot4c_i32_i8_e32 v166, v98, v158
	v_dot4c_i32_i8_e32 v166, v99, v162
	;; [unrolled: 1-line block ×8, first 2 shown]
	v_cvt_f32_i32_e32 v158, v172
	v_mov_b32_e32 v168, 0
	v_mov_b32_e32 v172, 0
	v_cvt_f32_i32_e32 v159, v166
	v_mov_b32_e32 v169, 0
	v_pk_fma_f32 v[26:27], v[122:123], v[158:159], v[26:27]
	ds_read_b128 v[158:161], v152 offset:2048
	ds_read_b128 v[162:165], v152 offset:2064
	ds_read2_b32 v[122:123], v83 offset0:64 offset1:96
	s_waitcnt lgkmcnt(2)
	v_dot4c_i32_i8_e32 v168, v94, v158
	v_dot4c_i32_i8_e32 v170, v88, v158
	;; [unrolled: 1-line block ×4, first 2 shown]
	s_waitcnt lgkmcnt(1)
	v_dot4c_i32_i8_e32 v168, v95, v162
	v_dot4c_i32_i8_e32 v170, v89, v162
	;; [unrolled: 1-line block ×28, first 2 shown]
	ds_read_b128 v[158:161], v152 offset:3072
	ds_read_b128 v[162:165], v152 offset:3088
	v_cvt_f32_i32_e32 v168, v168
	s_waitcnt lgkmcnt(2)
	v_pk_mul_f32 v[166:167], v[86:87], v[122:123] op_sel_hi:[0,1]
	s_waitcnt lgkmcnt(1)
	v_dot4c_i32_i8_e32 v169, v94, v158
	s_waitcnt lgkmcnt(0)
	v_dot4c_i32_i8_e32 v169, v95, v162
	v_dot4c_i32_i8_e32 v169, v102, v159
	;; [unrolled: 1-line block ×7, first 2 shown]
	s_nop 2
	v_cvt_f32_i32_e32 v169, v169
	v_pk_fma_f32 v[24:25], v[166:167], v[168:169], v[24:25]
	v_mov_b32_e32 v168, 0
	v_dot4c_i32_i8_e32 v168, v88, v158
	v_dot4c_i32_i8_e32 v168, v89, v162
	;; [unrolled: 1-line block ×8, first 2 shown]
	v_pk_mul_f32 v[166:167], v[82:83], v[122:123] op_sel_hi:[0,1]
	s_nop 1
	v_cvt_f32_i32_e32 v169, v168
	v_cvt_f32_i32_e32 v168, v170
	v_mov_b32_e32 v170, 0
	v_pk_fma_f32 v[22:23], v[166:167], v[168:169], v[22:23]
	v_mov_b32_e32 v168, 0
	v_dot4c_i32_i8_e32 v168, v92, v158
	v_dot4c_i32_i8_e32 v168, v93, v162
	v_dot4c_i32_i8_e32 v168, v100, v159
	v_dot4c_i32_i8_e32 v168, v101, v163
	v_dot4c_i32_i8_e32 v168, v110, v160
	v_dot4c_i32_i8_e32 v168, v111, v164
	v_dot4c_i32_i8_e32 v168, v118, v161
	v_dot4c_i32_i8_e32 v168, v119, v165
	v_pk_mul_f32 v[166:167], v[84:85], v[122:123] op_sel_hi:[0,1]
	v_pk_mul_f32 v[122:123], v[90:91], v[122:123] op_sel_hi:[0,1]
	s_nop 0
	v_cvt_f32_i32_e32 v169, v168
	v_cvt_f32_i32_e32 v168, v171
	v_mov_b32_e32 v171, 0
	v_pk_fma_f32 v[20:21], v[166:167], v[168:169], v[20:21]
	v_mov_b32_e32 v166, 0
	v_dot4c_i32_i8_e32 v166, v98, v158
	v_dot4c_i32_i8_e32 v166, v99, v162
	;; [unrolled: 1-line block ×8, first 2 shown]
	v_cvt_f32_i32_e32 v158, v172
	v_mov_b32_e32 v168, 0
	v_mov_b32_e32 v172, 0
	v_cvt_f32_i32_e32 v159, v166
	v_mov_b32_e32 v169, 0
	v_pk_fma_f32 v[18:19], v[122:123], v[158:159], v[18:19]
	ds_read_b128 v[158:161], v152 offset:4096
	ds_read_b128 v[162:165], v152 offset:4112
	ds_read2_b32 v[122:123], v83 offset0:128 offset1:160
	s_waitcnt lgkmcnt(2)
	v_dot4c_i32_i8_e32 v168, v94, v158
	v_dot4c_i32_i8_e32 v170, v88, v158
	;; [unrolled: 1-line block ×4, first 2 shown]
	s_waitcnt lgkmcnt(1)
	v_dot4c_i32_i8_e32 v168, v95, v162
	v_dot4c_i32_i8_e32 v170, v89, v162
	;; [unrolled: 1-line block ×28, first 2 shown]
	ds_read_b128 v[158:161], v152 offset:5120
	ds_read_b128 v[162:165], v152 offset:5136
	v_cvt_f32_i32_e32 v168, v168
	s_waitcnt lgkmcnt(2)
	v_pk_mul_f32 v[166:167], v[86:87], v[122:123] op_sel_hi:[0,1]
	s_waitcnt lgkmcnt(1)
	v_dot4c_i32_i8_e32 v169, v94, v158
	s_waitcnt lgkmcnt(0)
	v_dot4c_i32_i8_e32 v169, v95, v162
	v_dot4c_i32_i8_e32 v169, v102, v159
	;; [unrolled: 1-line block ×7, first 2 shown]
	s_nop 2
	v_cvt_f32_i32_e32 v169, v169
	v_pk_fma_f32 v[16:17], v[166:167], v[168:169], v[16:17]
	v_mov_b32_e32 v168, 0
	v_dot4c_i32_i8_e32 v168, v88, v158
	v_dot4c_i32_i8_e32 v168, v89, v162
	;; [unrolled: 1-line block ×8, first 2 shown]
	v_pk_mul_f32 v[166:167], v[82:83], v[122:123] op_sel_hi:[0,1]
	s_nop 1
	v_cvt_f32_i32_e32 v169, v168
	v_cvt_f32_i32_e32 v168, v170
	v_mov_b32_e32 v170, 0
	v_pk_fma_f32 v[14:15], v[166:167], v[168:169], v[14:15]
	v_mov_b32_e32 v168, 0
	v_dot4c_i32_i8_e32 v168, v92, v158
	v_dot4c_i32_i8_e32 v168, v93, v162
	;; [unrolled: 1-line block ×8, first 2 shown]
	v_pk_mul_f32 v[166:167], v[84:85], v[122:123] op_sel_hi:[0,1]
	v_pk_mul_f32 v[122:123], v[90:91], v[122:123] op_sel_hi:[0,1]
	s_nop 0
	v_cvt_f32_i32_e32 v169, v168
	v_cvt_f32_i32_e32 v168, v171
	v_pk_fma_f32 v[12:13], v[166:167], v[168:169], v[12:13]
	v_mov_b32_e32 v166, 0
	v_dot4c_i32_i8_e32 v166, v98, v158
	v_dot4c_i32_i8_e32 v166, v99, v162
	v_dot4c_i32_i8_e32 v166, v106, v159
	v_dot4c_i32_i8_e32 v166, v107, v163
	v_dot4c_i32_i8_e32 v166, v116, v160
	v_dot4c_i32_i8_e32 v166, v117, v164
	v_dot4c_i32_i8_e32 v166, v120, v161
	v_dot4c_i32_i8_e32 v166, v121, v165
	v_cvt_f32_i32_e32 v158, v172
	v_mov_b32_e32 v167, 0
	v_mov_b32_e32 v168, 0
	v_cvt_f32_i32_e32 v159, v166
	v_mov_b32_e32 v166, 0
	v_mov_b32_e32 v169, 0
	v_pk_fma_f32 v[10:11], v[122:123], v[158:159], v[10:11]
	ds_read_b128 v[158:161], v152 offset:6144
	ds_read_b128 v[162:165], v152 offset:6160
	ds_read2_b32 v[122:123], v83 offset0:192 offset1:224
	s_waitcnt lgkmcnt(2)
	v_dot4c_i32_i8_e32 v166, v94, v158
	v_dot4c_i32_i8_e32 v167, v88, v158
	;; [unrolled: 1-line block ×4, first 2 shown]
	s_waitcnt lgkmcnt(1)
	v_dot4c_i32_i8_e32 v166, v95, v162
	v_dot4c_i32_i8_e32 v167, v89, v162
	;; [unrolled: 1-line block ×28, first 2 shown]
	ds_read_b128 v[158:161], v152 offset:7168
	ds_read_b128 v[162:165], v152 offset:7184
	v_add_u32_e32 v152, 32, v152
	s_waitcnt lgkmcnt(1)
	v_dot4c_i32_i8_e32 v170, v94, v158
	s_waitcnt lgkmcnt(0)
	v_dot4c_i32_i8_e32 v170, v95, v162
	v_pk_mul_f32 v[94:95], v[86:87], v[122:123] op_sel_hi:[0,1]
	v_mov_b32_e32 v86, 0
	v_dot4c_i32_i8_e32 v86, v88, v158
	v_dot4c_i32_i8_e32 v86, v89, v162
	v_pk_mul_f32 v[88:89], v[82:83], v[122:123] op_sel_hi:[0,1]
	v_mov_b32_e32 v82, 0
	v_dot4c_i32_i8_e32 v82, v92, v158
	v_dot4c_i32_i8_e32 v82, v93, v162
	;; [unrolled: 1-line block ×16, first 2 shown]
	v_cvt_f32_i32_e32 v102, v166
	v_cvt_f32_i32_e32 v103, v170
	v_dot4c_i32_i8_e32 v86, v104, v160
	v_cvt_f32_i32_e32 v93, v82
	v_mov_b32_e32 v82, 0
	v_dot4c_i32_i8_e32 v86, v105, v164
	v_dot4c_i32_i8_e32 v82, v98, v158
	;; [unrolled: 1-line block ×6, first 2 shown]
	v_pk_fma_f32 v[8:9], v[94:95], v[102:103], v[8:9]
	v_cvt_f32_i32_e32 v94, v167
	v_cvt_f32_i32_e32 v95, v86
	v_dot4c_i32_i8_e32 v82, v107, v163
	v_cvt_f32_i32_e32 v92, v168
	v_dot4c_i32_i8_e32 v82, v116, v160
	v_dot4c_i32_i8_e32 v82, v117, v164
	;; [unrolled: 1-line block ×3, first 2 shown]
	v_pk_fma_f32 v[6:7], v[88:89], v[94:95], v[6:7]
	v_pk_mul_f32 v[88:89], v[84:85], v[122:123] op_sel_hi:[0,1]
	v_dot4c_i32_i8_e32 v82, v121, v165
	v_pk_fma_f32 v[4:5], v[88:89], v[92:93], v[4:5]
	v_cvt_f32_i32_e32 v92, v169
	v_pk_mul_f32 v[88:89], v[90:91], v[122:123] op_sel_hi:[0,1]
	v_cvt_f32_i32_e32 v93, v82
	v_add_u32_e32 v83, 4, v83
	v_pk_fma_f32 v[2:3], v[88:89], v[92:93], v[2:3]
	s_cbranch_scc1 .LBB121_10
; %bb.11:                               ;   in Loop: Header=BB121_6 Depth=1
	s_barrier
	s_branch .LBB121_5
.LBB121_12:
	v_mov_b32_e32 v32, v33
.LBB121_13:
	v_cmp_gt_u32_e32 vcc, s8, v35
	s_and_saveexec_b64 s[0:1], vcc
	s_cbranch_execz .LBB121_64
; %bb.14:
	v_add_u32_e32 v0, s6, v1
	v_mul_lo_u32 v33, v35, s10
	v_cmp_gt_u32_e32 vcc, s10, v0
	s_and_saveexec_b64 s[2:3], vcc
	s_cbranch_execz .LBB121_16
; %bb.15:
	v_add_u32_e32 v34, v0, v33
	v_mov_b32_e32 v35, 0
	v_lshlrev_b64 v[34:35], 2, v[34:35]
	s_waitcnt lgkmcnt(0)
	v_mov_b32_e32 v1, s13
	v_add_co_u32_e64 v34, s[0:1], s12, v34
	v_addc_co_u32_e64 v35, s[0:1], v1, v35, s[0:1]
	global_store_dword v[34:35], v38, off
.LBB121_16:
	s_or_b64 exec, exec, s[2:3]
	v_add_u32_e32 v1, 32, v0
	v_cmp_gt_u32_e64 s[0:1], s10, v1
	s_and_saveexec_b64 s[4:5], s[0:1]
	s_cbranch_execz .LBB121_18
; %bb.17:
	v_add_u32_e32 v34, v1, v33
	v_mov_b32_e32 v35, 0
	v_lshlrev_b64 v[34:35], 2, v[34:35]
	s_waitcnt lgkmcnt(0)
	v_mov_b32_e32 v36, s13
	v_add_co_u32_e64 v34, s[2:3], s12, v34
	v_addc_co_u32_e64 v35, s[2:3], v36, v35, s[2:3]
	global_store_dword v[34:35], v30, off
.LBB121_18:
	s_or_b64 exec, exec, s[4:5]
	v_add_u32_e32 v30, 64, v0
	v_cmp_gt_u32_e64 s[2:3], s10, v30
	s_and_saveexec_b64 s[6:7], s[2:3]
	;; [unrolled: 15-line block ×3, first 2 shown]
	s_cbranch_execz .LBB121_22
; %bb.21:
	v_add_u32_e32 v34, v28, v33
	v_mov_b32_e32 v35, 0
	v_lshlrev_b64 v[34:35], 2, v[34:35]
	s_waitcnt lgkmcnt(0)
	v_mov_b32_e32 v33, s13
	v_add_co_u32_e64 v34, s[6:7], s12, v34
	v_addc_co_u32_e64 v35, s[6:7], v33, v35, s[6:7]
	global_store_dword v[34:35], v26, off
.LBB121_22:
	s_or_b64 exec, exec, s[14:15]
	v_add3_u32 v26, v32, s11, 8
	v_cmp_gt_u32_e64 s[6:7], s8, v26
	s_and_b64 exec, exec, s[6:7]
	s_cbranch_execz .LBB121_64
; %bb.23:
	v_mul_lo_u32 v26, v26, s10
	s_and_saveexec_b64 s[14:15], vcc
	s_cbranch_execnz .LBB121_65
; %bb.24:
	s_or_b64 exec, exec, s[14:15]
	s_and_saveexec_b64 s[14:15], s[0:1]
	s_cbranch_execnz .LBB121_66
.LBB121_25:
	s_or_b64 exec, exec, s[14:15]
	s_and_saveexec_b64 s[14:15], s[2:3]
	s_cbranch_execnz .LBB121_67
.LBB121_26:
	s_or_b64 exec, exec, s[14:15]
	s_and_saveexec_b64 s[14:15], s[4:5]
	s_cbranch_execz .LBB121_28
.LBB121_27:
	v_add_u32_e32 v34, v26, v28
	v_mov_b32_e32 v35, 0
	v_lshlrev_b64 v[34:35], 2, v[34:35]
	s_waitcnt lgkmcnt(0)
	v_mov_b32_e32 v26, s13
	v_add_co_u32_e64 v34, s[6:7], s12, v34
	v_addc_co_u32_e64 v35, s[6:7], v26, v35, s[6:7]
	global_store_dword v[34:35], v27, off
.LBB121_28:
	s_or_b64 exec, exec, s[14:15]
	v_add3_u32 v26, v32, s11, 16
	v_cmp_gt_u32_e64 s[6:7], s8, v26
	s_and_b64 exec, exec, s[6:7]
	s_cbranch_execz .LBB121_64
; %bb.29:
	v_mul_lo_u32 v26, v26, s10
	s_and_saveexec_b64 s[14:15], vcc
	s_cbranch_execnz .LBB121_68
; %bb.30:
	s_or_b64 exec, exec, s[14:15]
	s_and_saveexec_b64 s[14:15], s[0:1]
	s_cbranch_execnz .LBB121_69
.LBB121_31:
	s_or_b64 exec, exec, s[14:15]
	s_and_saveexec_b64 s[14:15], s[2:3]
	s_cbranch_execnz .LBB121_70
.LBB121_32:
	s_or_b64 exec, exec, s[14:15]
	s_and_saveexec_b64 s[14:15], s[4:5]
	s_cbranch_execz .LBB121_34
.LBB121_33:
	v_add_u32_e32 v26, v26, v28
	v_mov_b32_e32 v27, 0
	v_lshlrev_b64 v[26:27], 2, v[26:27]
	s_waitcnt lgkmcnt(0)
	v_mov_b32_e32 v20, s13
	v_add_co_u32_e64 v26, s[6:7], s12, v26
	v_addc_co_u32_e64 v27, s[6:7], v20, v27, s[6:7]
	global_store_dword v[26:27], v18, off
.LBB121_34:
	s_or_b64 exec, exec, s[14:15]
	v_add3_u32 v18, v32, s11, 24
	v_cmp_gt_u32_e64 s[6:7], s8, v18
	s_and_b64 exec, exec, s[6:7]
	s_cbranch_execz .LBB121_64
; %bb.35:
	v_mul_lo_u32 v18, v18, s10
	s_and_saveexec_b64 s[14:15], vcc
	s_cbranch_execnz .LBB121_71
; %bb.36:
	s_or_b64 exec, exec, s[14:15]
	s_and_saveexec_b64 s[14:15], s[0:1]
	s_cbranch_execnz .LBB121_72
.LBB121_37:
	s_or_b64 exec, exec, s[14:15]
	s_and_saveexec_b64 s[14:15], s[2:3]
	s_cbranch_execnz .LBB121_73
.LBB121_38:
	s_or_b64 exec, exec, s[14:15]
	s_and_saveexec_b64 s[14:15], s[4:5]
	s_cbranch_execz .LBB121_40
.LBB121_39:
	v_add_u32_e32 v20, v18, v28
	v_mov_b32_e32 v21, 0
	v_lshlrev_b64 v[20:21], 2, v[20:21]
	s_waitcnt lgkmcnt(0)
	v_mov_b32_e32 v18, s13
	v_add_co_u32_e64 v20, s[6:7], s12, v20
	v_addc_co_u32_e64 v21, s[6:7], v18, v21, s[6:7]
	global_store_dword v[20:21], v19, off
.LBB121_40:
	s_or_b64 exec, exec, s[14:15]
	v_add3_u32 v18, v32, s11, 32
	v_cmp_gt_u32_e64 s[6:7], s8, v18
	s_and_b64 exec, exec, s[6:7]
	s_cbranch_execz .LBB121_64
; %bb.41:
	v_mul_lo_u32 v18, v18, s10
	s_and_saveexec_b64 s[14:15], vcc
	s_cbranch_execnz .LBB121_74
; %bb.42:
	s_or_b64 exec, exec, s[14:15]
	s_and_saveexec_b64 s[14:15], s[0:1]
	s_cbranch_execnz .LBB121_75
.LBB121_43:
	s_or_b64 exec, exec, s[14:15]
	s_and_saveexec_b64 s[14:15], s[2:3]
	s_cbranch_execnz .LBB121_76
.LBB121_44:
	s_or_b64 exec, exec, s[14:15]
	s_and_saveexec_b64 s[14:15], s[4:5]
	s_cbranch_execz .LBB121_46
.LBB121_45:
	v_add_u32_e32 v18, v18, v28
	v_mov_b32_e32 v19, 0
	v_lshlrev_b64 v[18:19], 2, v[18:19]
	s_waitcnt lgkmcnt(0)
	v_mov_b32_e32 v12, s13
	v_add_co_u32_e64 v18, s[6:7], s12, v18
	v_addc_co_u32_e64 v19, s[6:7], v12, v19, s[6:7]
	global_store_dword v[18:19], v10, off
.LBB121_46:
	s_or_b64 exec, exec, s[14:15]
	v_add3_u32 v10, v32, s11, 40
	v_cmp_gt_u32_e64 s[6:7], s8, v10
	s_and_b64 exec, exec, s[6:7]
	s_cbranch_execz .LBB121_64
; %bb.47:
	v_mul_lo_u32 v10, v10, s10
	s_and_saveexec_b64 s[14:15], vcc
	s_cbranch_execnz .LBB121_77
; %bb.48:
	s_or_b64 exec, exec, s[14:15]
	s_and_saveexec_b64 s[14:15], s[0:1]
	s_cbranch_execnz .LBB121_78
.LBB121_49:
	s_or_b64 exec, exec, s[14:15]
	s_and_saveexec_b64 s[14:15], s[2:3]
	s_cbranch_execnz .LBB121_79
.LBB121_50:
	s_or_b64 exec, exec, s[14:15]
	s_and_saveexec_b64 s[14:15], s[4:5]
	s_cbranch_execz .LBB121_52
.LBB121_51:
	v_add_u32_e32 v12, v10, v28
	v_mov_b32_e32 v13, 0
	v_lshlrev_b64 v[12:13], 2, v[12:13]
	s_waitcnt lgkmcnt(0)
	v_mov_b32_e32 v10, s13
	v_add_co_u32_e64 v12, s[6:7], s12, v12
	v_addc_co_u32_e64 v13, s[6:7], v10, v13, s[6:7]
	global_store_dword v[12:13], v11, off
.LBB121_52:
	s_or_b64 exec, exec, s[14:15]
	v_add3_u32 v10, v32, s11, 48
	v_cmp_gt_u32_e64 s[6:7], s8, v10
	s_and_b64 exec, exec, s[6:7]
	s_cbranch_execz .LBB121_64
; %bb.53:
	v_mul_lo_u32 v10, v10, s10
	s_and_saveexec_b64 s[14:15], vcc
	s_cbranch_execnz .LBB121_80
; %bb.54:
	s_or_b64 exec, exec, s[14:15]
	s_and_saveexec_b64 s[14:15], s[0:1]
	s_cbranch_execnz .LBB121_81
.LBB121_55:
	s_or_b64 exec, exec, s[14:15]
	s_and_saveexec_b64 s[14:15], s[2:3]
	s_cbranch_execnz .LBB121_82
.LBB121_56:
	s_or_b64 exec, exec, s[14:15]
	s_and_saveexec_b64 s[14:15], s[4:5]
	s_cbranch_execz .LBB121_58
.LBB121_57:
	v_add_u32_e32 v10, v10, v28
	v_mov_b32_e32 v11, 0
	v_lshlrev_b64 v[10:11], 2, v[10:11]
	s_waitcnt lgkmcnt(0)
	v_mov_b32_e32 v4, s13
	v_add_co_u32_e64 v10, s[6:7], s12, v10
	v_addc_co_u32_e64 v11, s[6:7], v4, v11, s[6:7]
	global_store_dword v[10:11], v2, off
.LBB121_58:
	s_or_b64 exec, exec, s[14:15]
	v_add3_u32 v2, v32, s11, 56
	v_cmp_gt_u32_e64 s[6:7], s8, v2
	s_and_b64 exec, exec, s[6:7]
	s_cbranch_execz .LBB121_64
; %bb.59:
	v_mul_lo_u32 v2, v2, s10
	s_and_saveexec_b64 s[6:7], vcc
	s_cbranch_execnz .LBB121_83
; %bb.60:
	s_or_b64 exec, exec, s[6:7]
	s_and_saveexec_b64 s[6:7], s[0:1]
	s_cbranch_execnz .LBB121_84
.LBB121_61:
	s_or_b64 exec, exec, s[6:7]
	s_and_saveexec_b64 s[0:1], s[2:3]
	s_cbranch_execnz .LBB121_85
.LBB121_62:
	s_or_b64 exec, exec, s[0:1]
	s_and_b64 exec, exec, s[4:5]
	s_cbranch_execz .LBB121_64
.LBB121_63:
	v_add_u32_e32 v0, v2, v28
	v_mov_b32_e32 v1, 0
	v_lshlrev_b64 v[0:1], 2, v[0:1]
	s_waitcnt lgkmcnt(0)
	v_mov_b32_e32 v2, s13
	v_add_co_u32_e32 v0, vcc, s12, v0
	v_addc_co_u32_e32 v1, vcc, v2, v1, vcc
	global_store_dword v[0:1], v3, off
.LBB121_64:
	s_endpgm
.LBB121_65:
	v_add_u32_e32 v34, v26, v0
	v_mov_b32_e32 v35, 0
	v_lshlrev_b64 v[34:35], 2, v[34:35]
	s_waitcnt lgkmcnt(0)
	v_mov_b32_e32 v33, s13
	v_add_co_u32_e64 v34, s[6:7], s12, v34
	v_addc_co_u32_e64 v35, s[6:7], v33, v35, s[6:7]
	global_store_dword v[34:35], v39, off
	s_or_b64 exec, exec, s[14:15]
	s_and_saveexec_b64 s[14:15], s[0:1]
	s_cbranch_execz .LBB121_25
.LBB121_66:
	v_add_u32_e32 v34, v26, v1
	v_mov_b32_e32 v35, 0
	v_lshlrev_b64 v[34:35], 2, v[34:35]
	s_waitcnt lgkmcnt(0)
	v_mov_b32_e32 v33, s13
	v_add_co_u32_e64 v34, s[6:7], s12, v34
	v_addc_co_u32_e64 v35, s[6:7], v33, v35, s[6:7]
	global_store_dword v[34:35], v31, off
	s_or_b64 exec, exec, s[14:15]
	s_and_saveexec_b64 s[14:15], s[2:3]
	s_cbranch_execz .LBB121_26
.LBB121_67:
	v_add_u32_e32 v34, v26, v30
	v_mov_b32_e32 v35, 0
	v_lshlrev_b64 v[34:35], 2, v[34:35]
	s_waitcnt lgkmcnt(0)
	v_mov_b32_e32 v31, s13
	v_add_co_u32_e64 v34, s[6:7], s12, v34
	v_addc_co_u32_e64 v35, s[6:7], v31, v35, s[6:7]
	global_store_dword v[34:35], v29, off
	s_or_b64 exec, exec, s[14:15]
	s_and_saveexec_b64 s[14:15], s[4:5]
	s_cbranch_execnz .LBB121_27
	s_branch .LBB121_28
.LBB121_68:
	v_add_u32_e32 v34, v26, v0
	v_mov_b32_e32 v35, 0
	v_lshlrev_b64 v[34:35], 2, v[34:35]
	s_waitcnt lgkmcnt(0)
	v_mov_b32_e32 v27, s13
	v_add_co_u32_e64 v34, s[6:7], s12, v34
	v_addc_co_u32_e64 v35, s[6:7], v27, v35, s[6:7]
	global_store_dword v[34:35], v24, off
	s_or_b64 exec, exec, s[14:15]
	s_and_saveexec_b64 s[14:15], s[0:1]
	s_cbranch_execz .LBB121_31
.LBB121_69:
	v_add_u32_e32 v34, v26, v1
	v_mov_b32_e32 v35, 0
	v_lshlrev_b64 v[34:35], 2, v[34:35]
	s_waitcnt lgkmcnt(0)
	v_mov_b32_e32 v24, s13
	v_add_co_u32_e64 v34, s[6:7], s12, v34
	v_addc_co_u32_e64 v35, s[6:7], v24, v35, s[6:7]
	global_store_dword v[34:35], v22, off
	s_or_b64 exec, exec, s[14:15]
	s_and_saveexec_b64 s[14:15], s[2:3]
	s_cbranch_execz .LBB121_32
.LBB121_70:
	v_add_u32_e32 v34, v26, v30
	v_mov_b32_e32 v35, 0
	v_lshlrev_b64 v[34:35], 2, v[34:35]
	s_waitcnt lgkmcnt(0)
	v_mov_b32_e32 v22, s13
	v_add_co_u32_e64 v34, s[6:7], s12, v34
	v_addc_co_u32_e64 v35, s[6:7], v22, v35, s[6:7]
	global_store_dword v[34:35], v20, off
	s_or_b64 exec, exec, s[14:15]
	s_and_saveexec_b64 s[14:15], s[4:5]
	s_cbranch_execnz .LBB121_33
	s_branch .LBB121_34
.LBB121_71:
	v_add_u32_e32 v26, v18, v0
	v_mov_b32_e32 v27, 0
	v_lshlrev_b64 v[26:27], 2, v[26:27]
	s_waitcnt lgkmcnt(0)
	v_mov_b32_e32 v20, s13
	v_add_co_u32_e64 v26, s[6:7], s12, v26
	v_addc_co_u32_e64 v27, s[6:7], v20, v27, s[6:7]
	global_store_dword v[26:27], v25, off
	s_or_b64 exec, exec, s[14:15]
	s_and_saveexec_b64 s[14:15], s[0:1]
	s_cbranch_execz .LBB121_37
.LBB121_72:
	v_add_u32_e32 v24, v18, v1
	v_mov_b32_e32 v25, 0
	v_lshlrev_b64 v[24:25], 2, v[24:25]
	s_waitcnt lgkmcnt(0)
	v_mov_b32_e32 v20, s13
	v_add_co_u32_e64 v24, s[6:7], s12, v24
	v_addc_co_u32_e64 v25, s[6:7], v20, v25, s[6:7]
	global_store_dword v[24:25], v23, off
	s_or_b64 exec, exec, s[14:15]
	s_and_saveexec_b64 s[14:15], s[2:3]
	s_cbranch_execz .LBB121_38
.LBB121_73:
	v_add_u32_e32 v22, v18, v30
	v_mov_b32_e32 v23, 0
	v_lshlrev_b64 v[22:23], 2, v[22:23]
	s_waitcnt lgkmcnt(0)
	v_mov_b32_e32 v20, s13
	v_add_co_u32_e64 v22, s[6:7], s12, v22
	v_addc_co_u32_e64 v23, s[6:7], v20, v23, s[6:7]
	global_store_dword v[22:23], v21, off
	s_or_b64 exec, exec, s[14:15]
	s_and_saveexec_b64 s[14:15], s[4:5]
	s_cbranch_execnz .LBB121_39
	s_branch .LBB121_40
.LBB121_74:
	v_add_u32_e32 v20, v18, v0
	v_mov_b32_e32 v21, 0
	v_lshlrev_b64 v[20:21], 2, v[20:21]
	s_waitcnt lgkmcnt(0)
	v_mov_b32_e32 v19, s13
	v_add_co_u32_e64 v20, s[6:7], s12, v20
	v_addc_co_u32_e64 v21, s[6:7], v19, v21, s[6:7]
	global_store_dword v[20:21], v16, off
	s_or_b64 exec, exec, s[14:15]
	s_and_saveexec_b64 s[14:15], s[0:1]
	s_cbranch_execz .LBB121_43
.LBB121_75:
	v_add_u32_e32 v20, v18, v1
	v_mov_b32_e32 v21, 0
	v_lshlrev_b64 v[20:21], 2, v[20:21]
	s_waitcnt lgkmcnt(0)
	v_mov_b32_e32 v16, s13
	v_add_co_u32_e64 v20, s[6:7], s12, v20
	v_addc_co_u32_e64 v21, s[6:7], v16, v21, s[6:7]
	global_store_dword v[20:21], v14, off
	s_or_b64 exec, exec, s[14:15]
	s_and_saveexec_b64 s[14:15], s[2:3]
	s_cbranch_execz .LBB121_44
.LBB121_76:
	v_add_u32_e32 v20, v18, v30
	v_mov_b32_e32 v21, 0
	v_lshlrev_b64 v[20:21], 2, v[20:21]
	s_waitcnt lgkmcnt(0)
	v_mov_b32_e32 v14, s13
	v_add_co_u32_e64 v20, s[6:7], s12, v20
	v_addc_co_u32_e64 v21, s[6:7], v14, v21, s[6:7]
	global_store_dword v[20:21], v12, off
	s_or_b64 exec, exec, s[14:15]
	s_and_saveexec_b64 s[14:15], s[4:5]
	s_cbranch_execnz .LBB121_45
	s_branch .LBB121_46
.LBB121_77:
	v_add_u32_e32 v18, v10, v0
	v_mov_b32_e32 v19, 0
	v_lshlrev_b64 v[18:19], 2, v[18:19]
	s_waitcnt lgkmcnt(0)
	v_mov_b32_e32 v12, s13
	v_add_co_u32_e64 v18, s[6:7], s12, v18
	v_addc_co_u32_e64 v19, s[6:7], v12, v19, s[6:7]
	global_store_dword v[18:19], v17, off
	s_or_b64 exec, exec, s[14:15]
	s_and_saveexec_b64 s[14:15], s[0:1]
	s_cbranch_execz .LBB121_49
.LBB121_78:
	v_add_u32_e32 v16, v10, v1
	v_mov_b32_e32 v17, 0
	v_lshlrev_b64 v[16:17], 2, v[16:17]
	s_waitcnt lgkmcnt(0)
	v_mov_b32_e32 v12, s13
	v_add_co_u32_e64 v16, s[6:7], s12, v16
	v_addc_co_u32_e64 v17, s[6:7], v12, v17, s[6:7]
	global_store_dword v[16:17], v15, off
	s_or_b64 exec, exec, s[14:15]
	s_and_saveexec_b64 s[14:15], s[2:3]
	s_cbranch_execz .LBB121_50
.LBB121_79:
	v_add_u32_e32 v14, v10, v30
	v_mov_b32_e32 v15, 0
	v_lshlrev_b64 v[14:15], 2, v[14:15]
	s_waitcnt lgkmcnt(0)
	v_mov_b32_e32 v12, s13
	v_add_co_u32_e64 v14, s[6:7], s12, v14
	v_addc_co_u32_e64 v15, s[6:7], v12, v15, s[6:7]
	global_store_dword v[14:15], v13, off
	s_or_b64 exec, exec, s[14:15]
	s_and_saveexec_b64 s[14:15], s[4:5]
	s_cbranch_execnz .LBB121_51
	s_branch .LBB121_52
.LBB121_80:
	v_add_u32_e32 v12, v10, v0
	v_mov_b32_e32 v13, 0
	v_lshlrev_b64 v[12:13], 2, v[12:13]
	s_waitcnt lgkmcnt(0)
	v_mov_b32_e32 v11, s13
	v_add_co_u32_e64 v12, s[6:7], s12, v12
	v_addc_co_u32_e64 v13, s[6:7], v11, v13, s[6:7]
	global_store_dword v[12:13], v8, off
	s_or_b64 exec, exec, s[14:15]
	s_and_saveexec_b64 s[14:15], s[0:1]
	s_cbranch_execz .LBB121_55
.LBB121_81:
	v_add_u32_e32 v12, v10, v1
	v_mov_b32_e32 v13, 0
	v_lshlrev_b64 v[12:13], 2, v[12:13]
	s_waitcnt lgkmcnt(0)
	v_mov_b32_e32 v8, s13
	v_add_co_u32_e64 v12, s[6:7], s12, v12
	v_addc_co_u32_e64 v13, s[6:7], v8, v13, s[6:7]
	global_store_dword v[12:13], v6, off
	s_or_b64 exec, exec, s[14:15]
	s_and_saveexec_b64 s[14:15], s[2:3]
	s_cbranch_execz .LBB121_56
.LBB121_82:
	v_add_u32_e32 v12, v10, v30
	v_mov_b32_e32 v13, 0
	v_lshlrev_b64 v[12:13], 2, v[12:13]
	s_waitcnt lgkmcnt(0)
	v_mov_b32_e32 v6, s13
	v_add_co_u32_e64 v12, s[6:7], s12, v12
	v_addc_co_u32_e64 v13, s[6:7], v6, v13, s[6:7]
	global_store_dword v[12:13], v4, off
	s_or_b64 exec, exec, s[14:15]
	s_and_saveexec_b64 s[14:15], s[4:5]
	s_cbranch_execnz .LBB121_57
	s_branch .LBB121_58
.LBB121_83:
	v_add_u32_e32 v10, v2, v0
	v_mov_b32_e32 v11, 0
	v_lshlrev_b64 v[10:11], 2, v[10:11]
	s_waitcnt lgkmcnt(0)
	v_mov_b32_e32 v0, s13
	v_add_co_u32_e32 v10, vcc, s12, v10
	v_addc_co_u32_e32 v11, vcc, v0, v11, vcc
	global_store_dword v[10:11], v9, off
	s_or_b64 exec, exec, s[6:7]
	s_and_saveexec_b64 s[6:7], s[0:1]
	s_cbranch_execz .LBB121_61
.LBB121_84:
	v_add_u32_e32 v0, v2, v1
	v_mov_b32_e32 v1, 0
	v_lshlrev_b64 v[0:1], 2, v[0:1]
	s_waitcnt lgkmcnt(0)
	v_mov_b32_e32 v4, s13
	v_add_co_u32_e32 v0, vcc, s12, v0
	v_addc_co_u32_e32 v1, vcc, v4, v1, vcc
	global_store_dword v[0:1], v7, off
	s_or_b64 exec, exec, s[6:7]
	s_and_saveexec_b64 s[0:1], s[2:3]
	s_cbranch_execz .LBB121_62
.LBB121_85:
	v_add_u32_e32 v0, v2, v30
	v_mov_b32_e32 v1, 0
	v_lshlrev_b64 v[0:1], 2, v[0:1]
	s_waitcnt lgkmcnt(0)
	v_mov_b32_e32 v4, s13
	v_add_co_u32_e32 v0, vcc, s12, v0
	v_addc_co_u32_e32 v1, vcc, v4, v1, vcc
	global_store_dword v[0:1], v5, off
	s_or_b64 exec, exec, s[0:1]
	s_and_b64 exec, exec, s[4:5]
	s_cbranch_execnz .LBB121_63
	s_branch .LBB121_64
	.section	.rodata,"a",@progbits
	.p2align	6, 0x0
	.amdhsa_kernel _ZL12mul_mat_q5_0IfLb0EEvPKvS1_PT_iiiii
		.amdhsa_group_segment_fixed_size 46720
		.amdhsa_private_segment_fixed_size 0
		.amdhsa_kernarg_size 44
		.amdhsa_user_sgpr_count 6
		.amdhsa_user_sgpr_private_segment_buffer 1
		.amdhsa_user_sgpr_dispatch_ptr 0
		.amdhsa_user_sgpr_queue_ptr 0
		.amdhsa_user_sgpr_kernarg_segment_ptr 1
		.amdhsa_user_sgpr_dispatch_id 0
		.amdhsa_user_sgpr_flat_scratch_init 0
		.amdhsa_user_sgpr_kernarg_preload_length 0
		.amdhsa_user_sgpr_kernarg_preload_offset 0
		.amdhsa_user_sgpr_private_segment_size 0
		.amdhsa_uses_dynamic_stack 0
		.amdhsa_system_sgpr_private_segment_wavefront_offset 0
		.amdhsa_system_sgpr_workgroup_id_x 1
		.amdhsa_system_sgpr_workgroup_id_y 1
		.amdhsa_system_sgpr_workgroup_id_z 0
		.amdhsa_system_sgpr_workgroup_info 0
		.amdhsa_system_vgpr_workitem_id 1
		.amdhsa_next_free_vgpr 175
		.amdhsa_next_free_sgpr 20
		.amdhsa_accum_offset 176
		.amdhsa_reserve_vcc 1
		.amdhsa_reserve_flat_scratch 0
		.amdhsa_float_round_mode_32 0
		.amdhsa_float_round_mode_16_64 0
		.amdhsa_float_denorm_mode_32 3
		.amdhsa_float_denorm_mode_16_64 3
		.amdhsa_dx10_clamp 1
		.amdhsa_ieee_mode 1
		.amdhsa_fp16_overflow 0
		.amdhsa_tg_split 0
		.amdhsa_exception_fp_ieee_invalid_op 0
		.amdhsa_exception_fp_denorm_src 0
		.amdhsa_exception_fp_ieee_div_zero 0
		.amdhsa_exception_fp_ieee_overflow 0
		.amdhsa_exception_fp_ieee_underflow 0
		.amdhsa_exception_fp_ieee_inexact 0
		.amdhsa_exception_int_div_zero 0
	.end_amdhsa_kernel
	.section	.text._ZL12mul_mat_q5_0IfLb0EEvPKvS1_PT_iiiii,"axG",@progbits,_ZL12mul_mat_q5_0IfLb0EEvPKvS1_PT_iiiii,comdat
.Lfunc_end121:
	.size	_ZL12mul_mat_q5_0IfLb0EEvPKvS1_PT_iiiii, .Lfunc_end121-_ZL12mul_mat_q5_0IfLb0EEvPKvS1_PT_iiiii
                                        ; -- End function
	.section	.AMDGPU.csdata,"",@progbits
; Kernel info:
; codeLenInByte = 14724
; NumSgprs: 24
; NumVgprs: 175
; NumAgprs: 0
; TotalNumVgprs: 175
; ScratchSize: 0
; MemoryBound: 0
; FloatMode: 240
; IeeeMode: 1
; LDSByteSize: 46720 bytes/workgroup (compile time only)
; SGPRBlocks: 2
; VGPRBlocks: 21
; NumSGPRsForWavesPerEU: 24
; NumVGPRsForWavesPerEU: 175
; AccumOffset: 176
; Occupancy: 1
; WaveLimiterHint : 0
; COMPUTE_PGM_RSRC2:SCRATCH_EN: 0
; COMPUTE_PGM_RSRC2:USER_SGPR: 6
; COMPUTE_PGM_RSRC2:TRAP_HANDLER: 0
; COMPUTE_PGM_RSRC2:TGID_X_EN: 1
; COMPUTE_PGM_RSRC2:TGID_Y_EN: 1
; COMPUTE_PGM_RSRC2:TGID_Z_EN: 0
; COMPUTE_PGM_RSRC2:TIDIG_COMP_CNT: 1
; COMPUTE_PGM_RSRC3_GFX90A:ACCUM_OFFSET: 43
; COMPUTE_PGM_RSRC3_GFX90A:TG_SPLIT: 0
	.section	.text._ZL12mul_mat_q5_0IfLb1EEvPKvS1_PT_iiiii,"axG",@progbits,_ZL12mul_mat_q5_0IfLb1EEvPKvS1_PT_iiiii,comdat
	.globl	_ZL12mul_mat_q5_0IfLb1EEvPKvS1_PT_iiiii ; -- Begin function _ZL12mul_mat_q5_0IfLb1EEvPKvS1_PT_iiiii
	.p2align	8
	.type	_ZL12mul_mat_q5_0IfLb1EEvPKvS1_PT_iiiii,@function
_ZL12mul_mat_q5_0IfLb1EEvPKvS1_PT_iiiii: ; @_ZL12mul_mat_q5_0IfLb1EEvPKvS1_PT_iiiii
; %bb.0:
	s_load_dwordx4 s[8:11], s[4:5], 0x18
	s_load_dword s14, s[4:5], 0x28
	s_lshl_b32 s15, s7, 6
	v_bfe_u32 v27, v0, 10, 10
	s_waitcnt lgkmcnt(0)
	s_cmp_gt_i32 s8, 31
	s_cbranch_scc1 .LBB122_2
; %bb.1:
	v_bfe_u32 v26, v0, 10, 10
	s_mov_b32 s0, 0
	v_and_b32_e32 v1, 0x3ff, v0
	v_add_u32_e32 v29, s15, v26
	s_mov_b32 s1, s0
	s_mov_b64 s[2:3], 0
	s_branch .LBB122_3
.LBB122_2:
	s_mov_b64 s[2:3], -1
                                        ; implicit-def: $sgpr0_sgpr1
                                        ; implicit-def: $vgpr26
                                        ; implicit-def: $vgpr1
                                        ; implicit-def: $vgpr29
.LBB122_3:
	s_load_dwordx2 s[12:13], s[4:5], 0x10
	s_lshl_b32 s6, s6, 7
	s_andn2_b64 vcc, exec, s[2:3]
	v_pk_mov_b32 v[2:3], s[0:1], s[0:1] op_sel:[0,1]
	v_pk_mov_b32 v[10:11], s[0:1], s[0:1] op_sel:[0,1]
	v_pk_mov_b32 v[18:19], s[0:1], s[0:1] op_sel:[0,1]
	v_pk_mov_b32 v[34:35], s[0:1], s[0:1] op_sel:[0,1]
	v_pk_mov_b32 v[4:5], s[0:1], s[0:1] op_sel:[0,1]
	v_pk_mov_b32 v[12:13], s[0:1], s[0:1] op_sel:[0,1]
	v_pk_mov_b32 v[20:21], s[0:1], s[0:1] op_sel:[0,1]
	v_pk_mov_b32 v[52:53], s[0:1], s[0:1] op_sel:[0,1]
	v_pk_mov_b32 v[6:7], s[0:1], s[0:1] op_sel:[0,1]
	v_pk_mov_b32 v[14:15], s[0:1], s[0:1] op_sel:[0,1]
	v_pk_mov_b32 v[22:23], s[0:1], s[0:1] op_sel:[0,1]
	v_pk_mov_b32 v[70:71], s[0:1], s[0:1] op_sel:[0,1]
	v_pk_mov_b32 v[8:9], s[0:1], s[0:1] op_sel:[0,1]
	v_pk_mov_b32 v[16:17], s[0:1], s[0:1] op_sel:[0,1]
	v_pk_mov_b32 v[24:25], s[0:1], s[0:1] op_sel:[0,1]
	v_pk_mov_b32 v[82:83], s[0:1], s[0:1] op_sel:[0,1]
	s_cbranch_vccnz .LBB122_13
; %bb.4:
	s_load_dwordx4 s[0:3], s[4:5], 0x0
	s_ashr_i32 s4, s8, 31
	s_lshr_b32 s4, s4, 27
	s_add_i32 s4, s8, s4
	s_ashr_i32 s7, s4, 5
	s_ashr_i32 s4, s11, 31
	s_lshr_b32 s4, s4, 27
	s_add_i32 s4, s11, s4
	s_mul_i32 s5, s7, s6
	s_ashr_i32 s4, s4, 5
	s_mul_hi_i32 s11, s5, 22
	s_mul_i32 s5, s5, 22
	s_waitcnt lgkmcnt(0)
	s_add_u32 s8, s0, s5
	s_addc_u32 s11, s1, s11
	s_not_b32 s0, s6
	s_add_i32 s5, s0, s9
	v_and_b32_e32 v1, 0x3ff, v0
	v_min_i32_e32 v3, s5, v27
	v_lshlrev_b32_e32 v4, 3, v1
	s_movk_i32 s1, 0x104
	v_add_u32_e32 v6, 8, v27
	v_mul_lo_u32 v28, v3, s7
	v_mad_u64_u32 v[30:31], s[16:17], v3, s1, v[4:5]
	v_min_i32_e32 v3, s5, v6
	v_add_u32_e32 v7, 16, v27
	v_mul_lo_u32 v32, v3, s7
	v_mad_u64_u32 v[36:37], s[16:17], v3, s1, v[4:5]
	v_min_i32_e32 v3, s5, v7
	;; [unrolled: 4-line block ×7, first 2 shown]
	v_mul_lo_u32 v60, v3, s7
	v_mad_u64_u32 v[62:63], s[16:17], v3, s1, v[4:5]
	v_add_u32_e32 v3, 64, v27
	v_min_i32_e32 v3, s5, v3
	v_mul_lo_u32 v64, v3, s7
	v_mad_u64_u32 v[66:67], s[16:17], v3, s1, v[4:5]
	v_add_u32_e32 v3, 0x48, v27
	v_min_i32_e32 v3, s5, v3
	;; [unrolled: 4-line block ×8, first 2 shown]
	v_lshrrev_b32_e32 v31, 3, v1
	v_mul_lo_u32 v96, v3, s7
	v_mad_u64_u32 v[98:99], s[16:17], v3, s1, v[4:5]
	v_lshl_add_u32 v3, v27, 2, v31
	v_min_i32_e32 v4, s5, v3
	v_ashrrev_i32_e32 v5, 31, v4
	v_lshrrev_b32_e32 v5, 30, v5
	v_and_b32_e32 v100, 7, v1
	v_mul_lo_u32 v102, v4, s7
	v_add_u32_e32 v5, v4, v5
	v_lshlrev_b32_e32 v15, 5, v4
	v_add_u32_e32 v4, 32, v3
	v_and_b32_e32 v5, -4, v5
	v_lshlrev_b32_e32 v13, 2, v100
	s_mov_b32 s9, 0xa200
	v_min_i32_e32 v4, s5, v4
	v_add3_u32 v14, v5, v13, s9
	v_ashrrev_i32_e32 v5, 31, v4
	v_lshrrev_b32_e32 v5, 30, v5
	v_mul_lo_u32 v104, v4, s7
	v_add_u32_e32 v5, v4, v5
	v_lshlrev_b32_e32 v17, 5, v4
	v_add_u32_e32 v4, 64, v3
	v_and_b32_e32 v5, -4, v5
	v_min_i32_e32 v4, s5, v4
	v_add3_u32 v16, v5, v13, s9
	v_ashrrev_i32_e32 v5, 31, v4
	v_add_u32_e32 v3, 0x60, v3
	v_lshrrev_b32_e32 v5, 30, v5
	v_min_i32_e32 v3, s5, v3
	v_mul_lo_u32 v106, v4, s7
	v_add_u32_e32 v5, v4, v5
	v_lshlrev_b32_e32 v19, 5, v4
	v_ashrrev_i32_e32 v4, 31, v3
	v_lshrrev_b32_e32 v4, 30, v4
	v_mul_lo_u32 v108, v3, s7
	v_add_u32_e32 v4, v3, v4
	v_lshlrev_b32_e32 v20, 5, v3
	v_lshlrev_b32_e32 v3, 2, v1
	v_lshrrev_b32_e32 v0, 2, v1
	v_and_b32_e32 v3, 28, v3
	v_add_co_u32_e32 v110, vcc, s2, v3
	v_lshl_add_u32 v3, v27, 3, v0
	v_mov_b32_e32 v22, s3
	v_and_b32_e32 v3, 63, v3
	v_and_b32_e32 v2, 3, v1
	s_add_i32 s5, s10, -1
	v_addc_co_u32_e32 v111, vcc, 0, v22, vcc
	v_or_b32_e32 v22, s15, v3
	v_lshlrev_b32_e32 v26, 2, v2
	v_min_i32_e32 v22, s5, v22
	v_and_b32_e32 v5, -4, v5
	v_and_b32_e32 v4, -4, v4
	v_add_u32_e32 v29, s15, v27
	v_mad_u64_u32 v[112:113], s[16:17], v22, s4, v[2:3]
	v_lshl_or_b32 v2, v3, 4, v26
	v_add3_u32 v18, v5, v13, s9
	v_add3_u32 v13, v4, v13, s9
	v_cvt_f64_i32_e32 v[4:5], s5
	v_add_u32_e32 v33, 0xb280, v2
	v_cvt_f64_u32_e32 v[2:3], v29
	v_and_b32_e32 v21, 31, v1
	v_min_f64 v[2:3], v[2:3], v[4:5]
	v_cvt_i32_f64_e32 v2, v[2:3]
	v_lshlrev_b32_e32 v21, 2, v21
	v_lshlrev_b32_e32 v22, 7, v27
	v_mul_lo_u32 v37, s4, v2
	v_or_b32_e32 v2, v22, v21
	v_add_u32_e32 v39, 0x8200, v2
	v_add_u32_e32 v2, 8, v29
	v_cvt_f64_u32_e32 v[2:3], v2
	v_min_f64 v[2:3], v[2:3], v[4:5]
	v_cvt_i32_f64_e32 v2, v[2:3]
	v_mul_lo_u32 v41, s4, v2
	v_lshl_or_b32 v2, v6, 7, v21
	v_add_u32_e32 v43, 0x8200, v2
	v_add_u32_e32 v2, 16, v29
	v_cvt_f64_u32_e32 v[2:3], v2
	v_min_f64 v[2:3], v[2:3], v[4:5]
	v_cvt_i32_f64_e32 v2, v[2:3]
	v_mul_lo_u32 v45, s4, v2
	v_lshl_or_b32 v2, v7, 7, v21
	;; [unrolled: 7-line block ×7, first 2 shown]
	v_add_u32_e32 v69, 0x8200, v2
	v_add_u32_e32 v2, 32, v1
	v_lshlrev_b32_e32 v5, 5, v1
	v_lshrrev_b32_e32 v75, 3, v2
	v_and_b32_e32 v2, 0x1fc, v2
	v_add_u32_e32 v2, v5, v2
	s_mov_b32 s0, 0
	v_add_u32_e32 v3, 64, v1
	v_add_u32_e32 v4, 0x60, v1
	;; [unrolled: 1-line block ×4, first 2 shown]
	v_mov_b32_e32 v2, 0x80
	v_and_b32_e32 v4, 0x1fc, v4
	v_and_b32_e32 v3, 0x1fc, v3
	;; [unrolled: 1-line block ×3, first 2 shown]
	v_mad_u32_u24 v99, v1, s1, v2
	s_mov_b32 s1, s0
	v_add_u32_e32 v4, v5, v4
	v_add_u32_e32 v3, v5, v3
	;; [unrolled: 1-line block ×3, first 2 shown]
	v_mov_b32_e32 v6, 0xb280
	v_pk_mov_b32 v[82:83], s[0:1], s[0:1] op_sel:[0,1]
	v_mul_u32_u24_e32 v73, 0x104, v1
	v_add_u32_e32 v77, 0xae00, v4
	v_add_u32_e32 v79, 0xaa00, v3
	;; [unrolled: 1-line block ×4, first 2 shown]
	v_lshl_add_u32 v89, v27, 4, v6
	v_add_u32_e32 v91, 0xae10, v4
	v_add_u32_e32 v93, 0xaa10, v3
	;; [unrolled: 1-line block ×3, first 2 shown]
	s_movk_i32 s1, 0x1f00
	s_movk_i32 s9, 0xf000
	;; [unrolled: 1-line block ×3, first 2 shown]
	v_add_u32_e32 v101, v14, v15
	v_add_u32_e32 v103, v16, v17
	;; [unrolled: 1-line block ×4, first 2 shown]
	v_mov_b32_e32 v109, 8
	v_pk_mov_b32 v[24:25], v[82:83], v[82:83] op_sel:[0,1]
	v_pk_mov_b32 v[16:17], v[82:83], v[82:83] op_sel:[0,1]
	;; [unrolled: 1-line block ×15, first 2 shown]
	s_branch .LBB122_6
.LBB122_5:                              ;   in Loop: Header=BB122_6 Depth=1
	s_add_i32 s0, s0, 8
	s_cmp_ge_i32 s0, s7
	s_cbranch_scc1 .LBB122_12
.LBB122_6:                              ; =>This Loop Header: Depth=1
                                        ;     Child Loop BB122_7 Depth 2
                                        ;     Child Loop BB122_10 Depth 2
	s_mul_i32 s4, s0, 22
	s_mul_hi_u32 s5, s0, 22
	s_add_u32 s4, s8, s4
	s_addc_u32 s5, s11, s5
	v_mad_u64_u32 v[114:115], s[18:19], v0, 22, s[4:5]
	v_mad_i64_i32 v[116:117], s[18:19], v28, 22, v[114:115]
	v_add_co_u32_e32 v118, vcc, v116, v26
	v_addc_co_u32_e32 v119, vcc, 0, v117, vcc
	v_mad_i64_i32 v[124:125], s[18:19], v42, 22, v[114:115]
	v_mad_i64_i32 v[120:121], s[18:19], v32, 22, v[114:115]
	;; [unrolled: 1-line block ×3, first 2 shown]
	global_load_dword v113, v[124:125], off offset:2
	global_load_dword v126, v[122:123], off offset:2
	;; [unrolled: 1-line block ×3, first 2 shown]
	s_nop 0
	global_load_dword v118, v[118:119], off offset:6
	s_nop 0
	global_load_dword v119, v[116:117], off offset:2
	v_add_co_u32_e32 v116, vcc, v120, v26
	v_addc_co_u32_e32 v117, vcc, 0, v121, vcc
	global_load_dword v120, v[116:117], off offset:6
	v_add_co_u32_e32 v116, vcc, v122, v26
	v_addc_co_u32_e32 v117, vcc, 0, v123, vcc
	;; [unrolled: 3-line block ×3, first 2 shown]
	global_load_dword v133, v[116:117], off offset:6
	v_mov_b32_e32 v156, v81
	v_mov_b32_e32 v157, v79
	;; [unrolled: 1-line block ×3, first 2 shown]
	s_waitcnt vmcnt(7)
	v_ashrrev_i32_e32 v113, v26, v113
	s_waitcnt vmcnt(4)
	v_and_b32_e32 v117, 0xf0f0f0f, v118
	s_waitcnt vmcnt(3)
	v_ashrrev_i32_e32 v116, v26, v119
	v_ashrrev_i32_e32 v119, v26, v127
	v_lshlrev_b32_e32 v122, 4, v116
	v_lshlrev_b32_e32 v123, 11, v116
	;; [unrolled: 1-line block ×4, first 2 shown]
	v_lshrrev_b32_e32 v127, 12, v116
	v_lshrrev_b32_e32 v128, 5, v116
	v_lshlrev_b32_e32 v129, 2, v116
	v_lshrrev_b32_e32 v118, 4, v118
	v_lshlrev_b32_e32 v116, 9, v116
	v_and_b32_e32 v122, 16, v122
	v_and_b32_e32 v123, 0x1000, v123
	;; [unrolled: 1-line block ×9, first 2 shown]
	v_or3_b32 v122, v122, v117, v123
	v_or3_b32 v117, v117, v124, v125
	;; [unrolled: 1-line block ×3, first 2 shown]
	v_and_b32_e32 v125, 0x1f00, v122
	v_lshlrev_b16_e32 v122, 8, v122
	v_and_b32_sdwa v127, v117, s1 dst_sel:DWORD dst_unused:UNUSED_PAD src0_sel:WORD_1 src1_sel:DWORD
	v_lshlrev_b16_sdwa v117, v109, v117 dst_sel:DWORD dst_unused:UNUSED_PAD src0_sel:DWORD src1_sel:WORD_1
	v_or3_b32 v116, v123, v116, v118
	v_add_u16_e32 v118, 0xf000, v122
	v_add_u16_e32 v117, 0xf000, v117
	v_lshlrev_b16_e32 v123, 8, v116
	v_and_b32_sdwa v128, v116, s16 dst_sel:DWORD dst_unused:UNUSED_PAD src0_sel:WORD_1 src1_sel:DWORD
	v_lshlrev_b32_e32 v130, 4, v119
	v_lshlrev_b32_e32 v131, 11, v119
	v_and_b32_e32 v122, 0x1f00, v116
	v_lshlrev_b16_sdwa v116, v109, v116 dst_sel:DWORD dst_unused:UNUSED_PAD src0_sel:DWORD src1_sel:WORD_1
	v_or_b32_sdwa v118, v125, v118 dst_sel:DWORD dst_unused:UNUSED_PAD src0_sel:DWORD src1_sel:BYTE_1
	v_or_b32_sdwa v117, v127, v117 dst_sel:DWORD dst_unused:UNUSED_PAD src0_sel:DWORD src1_sel:BYTE_1
	v_add_i16 v123, v123, s9 clamp
	v_add_i16 v125, v128, s9 clamp
	s_waitcnt vmcnt(2)
	v_and_b32_e32 v121, 0xf0f0f0f, v120
	v_and_b32_e32 v130, 16, v130
	;; [unrolled: 1-line block ×3, first 2 shown]
	v_add_i16 v116, v116, s9 clamp
	v_add_u16_e32 v118, 0xf000, v118
	v_add_u16_sdwa v117, v117, s9 dst_sel:WORD_1 dst_unused:UNUSED_PAD src0_sel:DWORD src1_sel:DWORD
	v_or_b32_sdwa v122, v122, v123 dst_sel:DWORD dst_unused:UNUSED_PAD src0_sel:DWORD src1_sel:BYTE_1
	v_and_b32_e32 v123, 0xffffff00, v125
	v_lshlrev_b32_e32 v134, 18, v119
	v_lshlrev_b32_e32 v135, 25, v119
	v_or3_b32 v124, v130, v121, v131
	v_or_b32_e32 v117, v118, v117
	v_add_u16_e32 v118, 0xf000, v122
	v_or_b32_sdwa v116, v116, v123 dst_sel:WORD_1 dst_unused:UNUSED_PAD src0_sel:BYTE_1 src1_sel:DWORD
	v_and_b32_e32 v134, 0x100000, v134
	v_and_b32_e32 v135, 0x10000000, v135
	v_or_b32_e32 v116, v118, v116
	v_lshlrev_b16_e32 v118, 8, v124
	ds_write2_b32 v30, v117, v116 offset1:1
	v_or3_b32 v116, v121, v134, v135
	v_and_b32_e32 v117, 0x1f00, v124
	v_add_u16_e32 v118, 0xf000, v118
	v_or_b32_sdwa v117, v117, v118 dst_sel:DWORD dst_unused:UNUSED_PAD src0_sel:DWORD src1_sel:BYTE_1
	v_and_b32_sdwa v118, v116, s1 dst_sel:DWORD dst_unused:UNUSED_PAD src0_sel:WORD_1 src1_sel:DWORD
	v_lshlrev_b16_sdwa v116, v109, v116 dst_sel:DWORD dst_unused:UNUSED_PAD src0_sel:DWORD src1_sel:WORD_1
	v_add_u16_e32 v116, 0xf000, v116
	v_or_b32_sdwa v116, v118, v116 dst_sel:DWORD dst_unused:UNUSED_PAD src0_sel:DWORD src1_sel:BYTE_1
	v_add_u16_e32 v117, 0xf000, v117
	v_add_u16_sdwa v116, v116, s9 dst_sel:WORD_1 dst_unused:UNUSED_PAD src0_sel:DWORD src1_sel:DWORD
	v_or_b32_e32 v116, v117, v116
	v_lshrrev_b32_e32 v117, 4, v120
	v_lshrrev_b32_e32 v118, 12, v119
	;; [unrolled: 1-line block ×3, first 2 shown]
	v_lshlrev_b32_e32 v121, 2, v119
	v_and_b32_e32 v118, 16, v118
	v_and_b32_e32 v120, 0x1000, v120
	;; [unrolled: 1-line block ×3, first 2 shown]
	v_lshlrev_b32_e32 v119, 9, v119
	v_and_b32_e32 v117, 0xf0f0f0f, v117
	v_and_b32_e32 v119, 0x10000000, v119
	v_or3_b32 v118, v120, v118, v121
	v_or3_b32 v117, v118, v119, v117
	v_lshlrev_b16_e32 v119, 8, v117
	v_and_b32_e32 v118, 0x1f00, v117
	v_add_i16 v119, v119, s9 clamp
	v_or_b32_sdwa v118, v118, v119 dst_sel:DWORD dst_unused:UNUSED_PAD src0_sel:DWORD src1_sel:BYTE_1
	v_and_b32_sdwa v119, v117, s16 dst_sel:DWORD dst_unused:UNUSED_PAD src0_sel:WORD_1 src1_sel:DWORD
	v_add_i16 v119, v119, s9 clamp
	v_lshlrev_b16_sdwa v117, v109, v117 dst_sel:DWORD dst_unused:UNUSED_PAD src0_sel:DWORD src1_sel:WORD_1
	v_and_b32_e32 v119, 0xffffff00, v119
	v_add_i16 v117, v117, s9 clamp
	v_add_u16_e32 v118, 0xf000, v118
	v_or_b32_sdwa v117, v117, v119 dst_sel:WORD_1 dst_unused:UNUSED_PAD src0_sel:BYTE_1 src1_sel:DWORD
	v_or_b32_e32 v117, v118, v117
	v_ashrrev_i32_e32 v134, v26, v126
	ds_write2_b32 v36, v116, v117 offset1:1
	v_lshlrev_b32_e32 v117, 4, v134
	v_lshlrev_b32_e32 v118, 11, v134
	s_waitcnt vmcnt(1)
	v_and_b32_e32 v116, 0xf0f0f0f, v132
	v_and_b32_e32 v117, 16, v117
	;; [unrolled: 1-line block ×3, first 2 shown]
	v_or3_b32 v117, v117, v116, v118
	v_lshlrev_b32_e32 v118, 18, v134
	v_lshlrev_b32_e32 v119, 25, v134
	v_and_b32_e32 v118, 0x100000, v118
	v_and_b32_e32 v119, 0x10000000, v119
	v_or3_b32 v135, v116, v118, v119
	v_and_b32_e32 v116, 0x1f00, v117
	v_lshlrev_b16_e32 v117, 8, v117
	v_add_u16_e32 v117, 0xf000, v117
	v_or_b32_sdwa v116, v116, v117 dst_sel:DWORD dst_unused:UNUSED_PAD src0_sel:DWORD src1_sel:BYTE_1
	v_add_u16_e32 v136, 0xf000, v116
	v_mad_i64_i32 v[116:117], s[18:19], v46, 22, v[114:115]
	v_add_co_u32_e32 v118, vcc, v116, v26
	v_addc_co_u32_e32 v119, vcc, 0, v117, vcc
	v_mad_i64_i32 v[120:121], s[18:19], v50, 22, v[114:115]
	v_add_co_u32_e32 v122, vcc, v120, v26
	v_addc_co_u32_e32 v123, vcc, 0, v121, vcc
	v_mad_i64_i32 v[124:125], s[18:19], v56, 22, v[114:115]
	v_add_co_u32_e32 v126, vcc, v124, v26
	v_addc_co_u32_e32 v127, vcc, 0, v125, vcc
	v_mad_i64_i32 v[128:129], s[18:19], v60, 22, v[114:115]
	v_add_co_u32_e32 v130, vcc, v128, v26
	v_addc_co_u32_e32 v131, vcc, 0, v129, vcc
	global_load_dword v137, v[130:131], off offset:6
	global_load_dword v138, v[128:129], off offset:2
	;; [unrolled: 1-line block ×3, first 2 shown]
	s_nop 0
	global_load_dword v124, v[124:125], off offset:2
	s_nop 0
	global_load_dword v122, v[122:123], off offset:6
	;; [unrolled: 2-line block ×5, first 2 shown]
	v_lshlrev_b16_sdwa v119, v109, v135 dst_sel:DWORD dst_unused:UNUSED_PAD src0_sel:DWORD src1_sel:WORD_1
	v_and_b32_sdwa v117, v135, s1 dst_sel:DWORD dst_unused:UNUSED_PAD src0_sel:WORD_1 src1_sel:DWORD
	v_add_u16_e32 v119, 0xf000, v119
	v_lshrrev_b32_e32 v121, 12, v134
	v_lshrrev_b32_e32 v123, 5, v134
	v_lshlrev_b32_e32 v125, 2, v134
	v_or_b32_sdwa v117, v117, v119 dst_sel:DWORD dst_unused:UNUSED_PAD src0_sel:DWORD src1_sel:BYTE_1
	v_lshrrev_b32_e32 v119, 4, v132
	v_and_b32_e32 v121, 16, v121
	v_and_b32_e32 v123, 0x1000, v123
	;; [unrolled: 1-line block ×3, first 2 shown]
	v_lshlrev_b32_e32 v126, 9, v134
	v_and_b32_e32 v119, 0xf0f0f0f, v119
	v_and_b32_e32 v126, 0x10000000, v126
	v_or3_b32 v121, v123, v121, v125
	v_or3_b32 v119, v121, v126, v119
	v_lshlrev_b16_e32 v123, 8, v119
	v_and_b32_e32 v121, 0x1f00, v119
	v_add_i16 v123, v123, s9 clamp
	v_or_b32_sdwa v121, v121, v123 dst_sel:DWORD dst_unused:UNUSED_PAD src0_sel:DWORD src1_sel:BYTE_1
	v_and_b32_sdwa v123, v119, s16 dst_sel:DWORD dst_unused:UNUSED_PAD src0_sel:WORD_1 src1_sel:DWORD
	v_add_i16 v123, v123, s9 clamp
	v_lshlrev_b16_sdwa v119, v109, v119 dst_sel:DWORD dst_unused:UNUSED_PAD src0_sel:DWORD src1_sel:WORD_1
	v_and_b32_e32 v123, 0xffffff00, v123
	v_add_i16 v119, v119, s9 clamp
	v_add_u16_sdwa v117, v117, s9 dst_sel:WORD_1 dst_unused:UNUSED_PAD src0_sel:DWORD src1_sel:DWORD
	v_add_u16_e32 v121, 0xf000, v121
	v_or_b32_sdwa v119, v119, v123 dst_sel:WORD_1 dst_unused:UNUSED_PAD src0_sel:BYTE_1 src1_sel:DWORD
	v_or_b32_e32 v117, v136, v117
	v_or_b32_e32 v119, v121, v119
	ds_write2_b32 v40, v117, v119 offset1:1
	v_lshlrev_b32_e32 v119, 4, v113
	v_lshlrev_b32_e32 v121, 11, v113
	s_waitcnt vmcnt(8)
	v_and_b32_e32 v117, 0xf0f0f0f, v133
	v_and_b32_e32 v119, 16, v119
	;; [unrolled: 1-line block ×3, first 2 shown]
	v_or3_b32 v119, v119, v117, v121
	v_lshlrev_b32_e32 v121, 18, v113
	v_lshlrev_b32_e32 v123, 25, v113
	v_and_b32_e32 v121, 0x100000, v121
	v_and_b32_e32 v123, 0x10000000, v123
	v_or3_b32 v117, v117, v121, v123
	v_and_b32_e32 v121, 0x1f00, v119
	v_lshlrev_b16_e32 v119, 8, v119
	v_add_u16_e32 v119, 0xf000, v119
	v_or_b32_sdwa v119, v121, v119 dst_sel:DWORD dst_unused:UNUSED_PAD src0_sel:DWORD src1_sel:BYTE_1
	v_and_b32_sdwa v121, v117, s1 dst_sel:DWORD dst_unused:UNUSED_PAD src0_sel:WORD_1 src1_sel:DWORD
	v_lshlrev_b16_sdwa v117, v109, v117 dst_sel:DWORD dst_unused:UNUSED_PAD src0_sel:DWORD src1_sel:WORD_1
	v_add_u16_e32 v117, 0xf000, v117
	v_or_b32_sdwa v117, v121, v117 dst_sel:DWORD dst_unused:UNUSED_PAD src0_sel:DWORD src1_sel:BYTE_1
	v_add_u16_e32 v119, 0xf000, v119
	v_add_u16_sdwa v117, v117, s9 dst_sel:WORD_1 dst_unused:UNUSED_PAD src0_sel:DWORD src1_sel:DWORD
	v_lshrrev_b32_e32 v121, 12, v113
	v_lshrrev_b32_e32 v123, 5, v113
	v_lshlrev_b32_e32 v125, 2, v113
	v_or_b32_e32 v117, v119, v117
	v_lshrrev_b32_e32 v119, 4, v133
	v_and_b32_e32 v121, 16, v121
	v_and_b32_e32 v123, 0x1000, v123
	v_and_b32_e32 v125, 0x100000, v125
	v_lshlrev_b32_e32 v113, 9, v113
	v_and_b32_e32 v119, 0xf0f0f0f, v119
	v_and_b32_e32 v113, 0x10000000, v113
	v_or3_b32 v121, v123, v121, v125
	v_or3_b32 v113, v121, v113, v119
	v_lshlrev_b16_e32 v121, 8, v113
	v_and_b32_e32 v119, 0x1f00, v113
	v_add_i16 v121, v121, s9 clamp
	v_or_b32_sdwa v119, v119, v121 dst_sel:DWORD dst_unused:UNUSED_PAD src0_sel:DWORD src1_sel:BYTE_1
	v_and_b32_sdwa v121, v113, s16 dst_sel:DWORD dst_unused:UNUSED_PAD src0_sel:WORD_1 src1_sel:DWORD
	v_add_i16 v121, v121, s9 clamp
	v_lshlrev_b16_sdwa v113, v109, v113 dst_sel:DWORD dst_unused:UNUSED_PAD src0_sel:DWORD src1_sel:WORD_1
	v_and_b32_e32 v121, 0xffffff00, v121
	v_add_i16 v113, v113, s9 clamp
	v_add_u16_e32 v119, 0xf000, v119
	v_or_b32_sdwa v113, v113, v121 dst_sel:WORD_1 dst_unused:UNUSED_PAD src0_sel:BYTE_1 src1_sel:DWORD
	v_or_b32_e32 v113, v119, v113
	ds_write2_b32 v44, v117, v113 offset1:1
	v_mad_i64_i32 v[128:129], s[18:19], v78, 22, v[114:115]
	s_waitcnt vmcnt(0)
	v_ashrrev_i32_e32 v113, v26, v116
	v_lshlrev_b32_e32 v117, 4, v113
	v_lshlrev_b32_e32 v119, 11, v113
	v_and_b32_e32 v116, 0xf0f0f0f, v118
	v_and_b32_e32 v117, 16, v117
	;; [unrolled: 1-line block ×3, first 2 shown]
	v_or3_b32 v117, v117, v116, v119
	v_lshlrev_b32_e32 v119, 18, v113
	v_lshlrev_b32_e32 v121, 25, v113
	v_and_b32_e32 v119, 0x100000, v119
	v_and_b32_e32 v121, 0x10000000, v121
	v_or3_b32 v116, v116, v119, v121
	v_and_b32_e32 v119, 0x1f00, v117
	v_lshlrev_b16_e32 v117, 8, v117
	v_add_u16_e32 v117, 0xf000, v117
	v_or_b32_sdwa v117, v119, v117 dst_sel:DWORD dst_unused:UNUSED_PAD src0_sel:DWORD src1_sel:BYTE_1
	v_and_b32_sdwa v119, v116, s1 dst_sel:DWORD dst_unused:UNUSED_PAD src0_sel:WORD_1 src1_sel:DWORD
	v_lshlrev_b16_sdwa v116, v109, v116 dst_sel:DWORD dst_unused:UNUSED_PAD src0_sel:DWORD src1_sel:WORD_1
	v_add_u16_e32 v116, 0xf000, v116
	v_or_b32_sdwa v116, v119, v116 dst_sel:DWORD dst_unused:UNUSED_PAD src0_sel:DWORD src1_sel:BYTE_1
	v_add_u16_e32 v117, 0xf000, v117
	v_add_u16_sdwa v116, v116, s9 dst_sel:WORD_1 dst_unused:UNUSED_PAD src0_sel:DWORD src1_sel:DWORD
	v_or_b32_e32 v116, v117, v116
	v_lshrrev_b32_e32 v117, 4, v118
	v_lshrrev_b32_e32 v118, 12, v113
	;; [unrolled: 1-line block ×3, first 2 shown]
	v_lshlrev_b32_e32 v121, 2, v113
	v_and_b32_e32 v118, 16, v118
	v_and_b32_e32 v119, 0x1000, v119
	;; [unrolled: 1-line block ×3, first 2 shown]
	v_lshlrev_b32_e32 v113, 9, v113
	v_and_b32_e32 v117, 0xf0f0f0f, v117
	v_and_b32_e32 v113, 0x10000000, v113
	v_or3_b32 v118, v119, v118, v121
	v_or3_b32 v113, v118, v113, v117
	v_lshlrev_b16_e32 v118, 8, v113
	v_and_b32_e32 v117, 0x1f00, v113
	v_add_i16 v118, v118, s9 clamp
	v_or_b32_sdwa v117, v117, v118 dst_sel:DWORD dst_unused:UNUSED_PAD src0_sel:DWORD src1_sel:BYTE_1
	v_and_b32_sdwa v118, v113, s16 dst_sel:DWORD dst_unused:UNUSED_PAD src0_sel:WORD_1 src1_sel:DWORD
	v_add_i16 v118, v118, s9 clamp
	v_lshlrev_b16_sdwa v113, v109, v113 dst_sel:DWORD dst_unused:UNUSED_PAD src0_sel:DWORD src1_sel:WORD_1
	v_and_b32_e32 v118, 0xffffff00, v118
	v_add_i16 v113, v113, s9 clamp
	v_add_u16_e32 v117, 0xf000, v117
	v_or_b32_sdwa v113, v113, v118 dst_sel:WORD_1 dst_unused:UNUSED_PAD src0_sel:BYTE_1 src1_sel:DWORD
	v_or_b32_e32 v113, v117, v113
	ds_write2_b32 v48, v116, v113 offset1:1
	v_ashrrev_i32_e32 v113, v26, v120
	v_lshlrev_b32_e32 v117, 4, v113
	v_lshlrev_b32_e32 v118, 11, v113
	v_and_b32_e32 v116, 0xf0f0f0f, v122
	v_and_b32_e32 v117, 16, v117
	;; [unrolled: 1-line block ×3, first 2 shown]
	v_or3_b32 v117, v117, v116, v118
	v_lshlrev_b32_e32 v118, 18, v113
	v_lshlrev_b32_e32 v119, 25, v113
	v_and_b32_e32 v118, 0x100000, v118
	v_and_b32_e32 v119, 0x10000000, v119
	v_or3_b32 v116, v116, v118, v119
	v_and_b32_e32 v118, 0x1f00, v117
	v_lshlrev_b16_e32 v117, 8, v117
	v_add_u16_e32 v117, 0xf000, v117
	v_or_b32_sdwa v117, v118, v117 dst_sel:DWORD dst_unused:UNUSED_PAD src0_sel:DWORD src1_sel:BYTE_1
	v_and_b32_sdwa v118, v116, s1 dst_sel:DWORD dst_unused:UNUSED_PAD src0_sel:WORD_1 src1_sel:DWORD
	v_lshlrev_b16_sdwa v116, v109, v116 dst_sel:DWORD dst_unused:UNUSED_PAD src0_sel:DWORD src1_sel:WORD_1
	v_add_u16_e32 v116, 0xf000, v116
	v_or_b32_sdwa v116, v118, v116 dst_sel:DWORD dst_unused:UNUSED_PAD src0_sel:DWORD src1_sel:BYTE_1
	v_add_u16_e32 v117, 0xf000, v117
	v_add_u16_sdwa v116, v116, s9 dst_sel:WORD_1 dst_unused:UNUSED_PAD src0_sel:DWORD src1_sel:DWORD
	v_lshrrev_b32_e32 v118, 12, v113
	v_lshrrev_b32_e32 v119, 5, v113
	v_lshlrev_b32_e32 v120, 2, v113
	v_or_b32_e32 v116, v117, v116
	v_lshrrev_b32_e32 v117, 4, v122
	v_and_b32_e32 v118, 16, v118
	v_and_b32_e32 v119, 0x1000, v119
	;; [unrolled: 1-line block ×3, first 2 shown]
	v_lshlrev_b32_e32 v113, 9, v113
	v_and_b32_e32 v117, 0xf0f0f0f, v117
	v_and_b32_e32 v113, 0x10000000, v113
	v_or3_b32 v118, v119, v118, v120
	v_or3_b32 v113, v118, v113, v117
	v_lshlrev_b16_e32 v118, 8, v113
	v_and_b32_e32 v117, 0x1f00, v113
	v_add_i16 v118, v118, s9 clamp
	v_or_b32_sdwa v117, v117, v118 dst_sel:DWORD dst_unused:UNUSED_PAD src0_sel:DWORD src1_sel:BYTE_1
	v_and_b32_sdwa v118, v113, s16 dst_sel:DWORD dst_unused:UNUSED_PAD src0_sel:WORD_1 src1_sel:DWORD
	v_add_i16 v118, v118, s9 clamp
	v_lshlrev_b16_sdwa v113, v109, v113 dst_sel:DWORD dst_unused:UNUSED_PAD src0_sel:DWORD src1_sel:WORD_1
	v_and_b32_e32 v118, 0xffffff00, v118
	v_add_i16 v113, v113, s9 clamp
	v_add_u16_e32 v117, 0xf000, v117
	v_or_b32_sdwa v113, v113, v118 dst_sel:WORD_1 dst_unused:UNUSED_PAD src0_sel:BYTE_1 src1_sel:DWORD
	v_or_b32_e32 v113, v117, v113
	ds_write2_b32 v54, v116, v113 offset1:1
	v_ashrrev_i32_e32 v113, v26, v124
	v_lshlrev_b32_e32 v117, 4, v113
	v_lshlrev_b32_e32 v118, 11, v113
	v_and_b32_e32 v116, 0xf0f0f0f, v139
	v_and_b32_e32 v117, 16, v117
	;; [unrolled: 1-line block ×3, first 2 shown]
	v_or3_b32 v117, v117, v116, v118
	v_lshlrev_b32_e32 v118, 18, v113
	v_lshlrev_b32_e32 v119, 25, v113
	v_and_b32_e32 v118, 0x100000, v118
	v_and_b32_e32 v119, 0x10000000, v119
	v_or3_b32 v132, v116, v118, v119
	v_and_b32_e32 v116, 0x1f00, v117
	v_lshlrev_b16_e32 v117, 8, v117
	v_add_u16_e32 v117, 0xf000, v117
	v_or_b32_sdwa v116, v116, v117 dst_sel:DWORD dst_unused:UNUSED_PAD src0_sel:DWORD src1_sel:BYTE_1
	v_add_u16_e32 v133, 0xf000, v116
	v_mad_i64_i32 v[116:117], s[18:19], v64, 22, v[114:115]
	v_add_co_u32_e32 v118, vcc, v116, v26
	v_addc_co_u32_e32 v119, vcc, 0, v117, vcc
	v_mad_i64_i32 v[120:121], s[18:19], v68, 22, v[114:115]
	v_add_co_u32_e32 v122, vcc, v120, v26
	v_addc_co_u32_e32 v123, vcc, 0, v121, vcc
	;; [unrolled: 3-line block ×3, first 2 shown]
	v_add_co_u32_e32 v130, vcc, v128, v26
	v_addc_co_u32_e32 v131, vcc, 0, v129, vcc
	global_load_dword v130, v[130:131], off offset:6
	s_nop 0
	global_load_dword v131, v[128:129], off offset:2
	global_load_dword v134, v[126:127], off offset:6
	s_nop 0
	global_load_dword v124, v[124:125], off offset:2
	s_nop 0
	;; [unrolled: 2-line block ×5, first 2 shown]
	global_load_dword v116, v[116:117], off offset:2
	v_lshlrev_b16_sdwa v119, v109, v132 dst_sel:DWORD dst_unused:UNUSED_PAD src0_sel:DWORD src1_sel:WORD_1
	v_and_b32_sdwa v117, v132, s1 dst_sel:DWORD dst_unused:UNUSED_PAD src0_sel:WORD_1 src1_sel:DWORD
	v_add_u16_e32 v119, 0xf000, v119
	v_lshrrev_b32_e32 v121, 12, v113
	v_lshrrev_b32_e32 v123, 5, v113
	v_lshlrev_b32_e32 v125, 2, v113
	v_or_b32_sdwa v117, v117, v119 dst_sel:DWORD dst_unused:UNUSED_PAD src0_sel:DWORD src1_sel:BYTE_1
	v_lshrrev_b32_e32 v119, 4, v139
	v_and_b32_e32 v121, 16, v121
	v_and_b32_e32 v123, 0x1000, v123
	;; [unrolled: 1-line block ×3, first 2 shown]
	v_lshlrev_b32_e32 v113, 9, v113
	v_and_b32_e32 v119, 0xf0f0f0f, v119
	v_and_b32_e32 v113, 0x10000000, v113
	v_or3_b32 v121, v123, v121, v125
	v_or3_b32 v113, v121, v113, v119
	v_lshlrev_b16_e32 v121, 8, v113
	v_and_b32_e32 v119, 0x1f00, v113
	v_add_i16 v121, v121, s9 clamp
	v_or_b32_sdwa v119, v119, v121 dst_sel:DWORD dst_unused:UNUSED_PAD src0_sel:DWORD src1_sel:BYTE_1
	v_and_b32_sdwa v121, v113, s16 dst_sel:DWORD dst_unused:UNUSED_PAD src0_sel:WORD_1 src1_sel:DWORD
	v_add_i16 v121, v121, s9 clamp
	v_lshlrev_b16_sdwa v113, v109, v113 dst_sel:DWORD dst_unused:UNUSED_PAD src0_sel:DWORD src1_sel:WORD_1
	v_and_b32_e32 v121, 0xffffff00, v121
	v_add_i16 v113, v113, s9 clamp
	v_add_u16_sdwa v117, v117, s9 dst_sel:WORD_1 dst_unused:UNUSED_PAD src0_sel:DWORD src1_sel:DWORD
	v_add_u16_e32 v119, 0xf000, v119
	v_or_b32_sdwa v113, v113, v121 dst_sel:WORD_1 dst_unused:UNUSED_PAD src0_sel:BYTE_1 src1_sel:DWORD
	v_or_b32_e32 v117, v133, v117
	v_or_b32_e32 v113, v119, v113
	ds_write2_b32 v58, v117, v113 offset1:1
	v_ashrrev_i32_e32 v113, v26, v138
	v_lshlrev_b32_e32 v119, 4, v113
	v_lshlrev_b32_e32 v121, 11, v113
	v_and_b32_e32 v117, 0xf0f0f0f, v137
	v_and_b32_e32 v119, 16, v119
	;; [unrolled: 1-line block ×3, first 2 shown]
	v_or3_b32 v119, v119, v117, v121
	v_lshlrev_b32_e32 v121, 18, v113
	v_lshlrev_b32_e32 v123, 25, v113
	v_and_b32_e32 v121, 0x100000, v121
	v_and_b32_e32 v123, 0x10000000, v123
	v_or3_b32 v117, v117, v121, v123
	v_and_b32_e32 v121, 0x1f00, v119
	v_lshlrev_b16_e32 v119, 8, v119
	v_add_u16_e32 v119, 0xf000, v119
	v_or_b32_sdwa v119, v121, v119 dst_sel:DWORD dst_unused:UNUSED_PAD src0_sel:DWORD src1_sel:BYTE_1
	v_and_b32_sdwa v121, v117, s1 dst_sel:DWORD dst_unused:UNUSED_PAD src0_sel:WORD_1 src1_sel:DWORD
	v_lshlrev_b16_sdwa v117, v109, v117 dst_sel:DWORD dst_unused:UNUSED_PAD src0_sel:DWORD src1_sel:WORD_1
	v_add_u16_e32 v117, 0xf000, v117
	v_or_b32_sdwa v117, v121, v117 dst_sel:DWORD dst_unused:UNUSED_PAD src0_sel:DWORD src1_sel:BYTE_1
	v_add_u16_e32 v119, 0xf000, v119
	v_add_u16_sdwa v117, v117, s9 dst_sel:WORD_1 dst_unused:UNUSED_PAD src0_sel:DWORD src1_sel:DWORD
	v_lshrrev_b32_e32 v121, 12, v113
	v_lshrrev_b32_e32 v123, 5, v113
	v_lshlrev_b32_e32 v125, 2, v113
	v_or_b32_e32 v117, v119, v117
	v_lshrrev_b32_e32 v119, 4, v137
	v_and_b32_e32 v121, 16, v121
	v_and_b32_e32 v123, 0x1000, v123
	;; [unrolled: 1-line block ×3, first 2 shown]
	v_lshlrev_b32_e32 v113, 9, v113
	v_and_b32_e32 v119, 0xf0f0f0f, v119
	v_and_b32_e32 v113, 0x10000000, v113
	v_or3_b32 v121, v123, v121, v125
	v_or3_b32 v113, v121, v113, v119
	v_lshlrev_b16_e32 v121, 8, v113
	v_and_b32_e32 v119, 0x1f00, v113
	v_add_i16 v121, v121, s9 clamp
	v_or_b32_sdwa v119, v119, v121 dst_sel:DWORD dst_unused:UNUSED_PAD src0_sel:DWORD src1_sel:BYTE_1
	v_and_b32_sdwa v121, v113, s16 dst_sel:DWORD dst_unused:UNUSED_PAD src0_sel:WORD_1 src1_sel:DWORD
	v_add_i16 v121, v121, s9 clamp
	v_lshlrev_b16_sdwa v113, v109, v113 dst_sel:DWORD dst_unused:UNUSED_PAD src0_sel:DWORD src1_sel:WORD_1
	v_and_b32_e32 v121, 0xffffff00, v121
	v_add_i16 v113, v113, s9 clamp
	v_add_u16_e32 v119, 0xf000, v119
	v_or_b32_sdwa v113, v113, v121 dst_sel:WORD_1 dst_unused:UNUSED_PAD src0_sel:BYTE_1 src1_sel:DWORD
	v_or_b32_e32 v113, v119, v113
	ds_write2_b32 v62, v117, v113 offset1:1
	s_waitcnt vmcnt(0)
	v_ashrrev_i32_e32 v113, v26, v116
	v_lshlrev_b32_e32 v117, 4, v113
	v_lshlrev_b32_e32 v119, 11, v113
	v_and_b32_e32 v116, 0xf0f0f0f, v118
	v_and_b32_e32 v117, 16, v117
	v_and_b32_e32 v119, 0x1000, v119
	v_or3_b32 v117, v117, v116, v119
	v_lshlrev_b32_e32 v119, 18, v113
	v_lshlrev_b32_e32 v121, 25, v113
	v_and_b32_e32 v119, 0x100000, v119
	v_and_b32_e32 v121, 0x10000000, v121
	v_or3_b32 v116, v116, v119, v121
	v_and_b32_e32 v119, 0x1f00, v117
	v_lshlrev_b16_e32 v117, 8, v117
	v_add_u16_e32 v117, 0xf000, v117
	v_or_b32_sdwa v117, v119, v117 dst_sel:DWORD dst_unused:UNUSED_PAD src0_sel:DWORD src1_sel:BYTE_1
	v_and_b32_sdwa v119, v116, s1 dst_sel:DWORD dst_unused:UNUSED_PAD src0_sel:WORD_1 src1_sel:DWORD
	v_lshlrev_b16_sdwa v116, v109, v116 dst_sel:DWORD dst_unused:UNUSED_PAD src0_sel:DWORD src1_sel:WORD_1
	v_add_u16_e32 v116, 0xf000, v116
	v_or_b32_sdwa v116, v119, v116 dst_sel:DWORD dst_unused:UNUSED_PAD src0_sel:DWORD src1_sel:BYTE_1
	v_add_u16_e32 v117, 0xf000, v117
	v_add_u16_sdwa v116, v116, s9 dst_sel:WORD_1 dst_unused:UNUSED_PAD src0_sel:DWORD src1_sel:DWORD
	v_or_b32_e32 v116, v117, v116
	v_lshrrev_b32_e32 v117, 4, v118
	v_lshrrev_b32_e32 v118, 12, v113
	;; [unrolled: 1-line block ×3, first 2 shown]
	v_lshlrev_b32_e32 v121, 2, v113
	v_and_b32_e32 v118, 16, v118
	v_and_b32_e32 v119, 0x1000, v119
	v_and_b32_e32 v121, 0x100000, v121
	v_lshlrev_b32_e32 v113, 9, v113
	v_and_b32_e32 v117, 0xf0f0f0f, v117
	v_and_b32_e32 v113, 0x10000000, v113
	v_or3_b32 v118, v119, v118, v121
	v_or3_b32 v113, v118, v113, v117
	v_lshlrev_b16_e32 v118, 8, v113
	v_and_b32_e32 v117, 0x1f00, v113
	v_add_i16 v118, v118, s9 clamp
	v_or_b32_sdwa v117, v117, v118 dst_sel:DWORD dst_unused:UNUSED_PAD src0_sel:DWORD src1_sel:BYTE_1
	v_and_b32_sdwa v118, v113, s16 dst_sel:DWORD dst_unused:UNUSED_PAD src0_sel:WORD_1 src1_sel:DWORD
	v_add_i16 v118, v118, s9 clamp
	v_lshlrev_b16_sdwa v113, v109, v113 dst_sel:DWORD dst_unused:UNUSED_PAD src0_sel:DWORD src1_sel:WORD_1
	v_and_b32_e32 v118, 0xffffff00, v118
	v_add_i16 v113, v113, s9 clamp
	v_add_u16_e32 v117, 0xf000, v117
	v_or_b32_sdwa v113, v113, v118 dst_sel:WORD_1 dst_unused:UNUSED_PAD src0_sel:BYTE_1 src1_sel:DWORD
	v_or_b32_e32 v113, v117, v113
	ds_write2_b32 v66, v116, v113 offset1:1
	v_ashrrev_i32_e32 v113, v26, v120
	v_lshlrev_b32_e32 v117, 4, v113
	v_lshlrev_b32_e32 v118, 11, v113
	v_and_b32_e32 v116, 0xf0f0f0f, v122
	v_and_b32_e32 v117, 16, v117
	;; [unrolled: 1-line block ×3, first 2 shown]
	v_or3_b32 v117, v117, v116, v118
	v_lshlrev_b32_e32 v118, 18, v113
	v_lshlrev_b32_e32 v119, 25, v113
	v_and_b32_e32 v118, 0x100000, v118
	v_and_b32_e32 v119, 0x10000000, v119
	v_or3_b32 v116, v116, v118, v119
	v_and_b32_e32 v118, 0x1f00, v117
	v_lshlrev_b16_e32 v117, 8, v117
	v_add_u16_e32 v117, 0xf000, v117
	v_or_b32_sdwa v117, v118, v117 dst_sel:DWORD dst_unused:UNUSED_PAD src0_sel:DWORD src1_sel:BYTE_1
	v_and_b32_sdwa v118, v116, s1 dst_sel:DWORD dst_unused:UNUSED_PAD src0_sel:WORD_1 src1_sel:DWORD
	v_lshlrev_b16_sdwa v116, v109, v116 dst_sel:DWORD dst_unused:UNUSED_PAD src0_sel:DWORD src1_sel:WORD_1
	v_add_u16_e32 v116, 0xf000, v116
	v_or_b32_sdwa v116, v118, v116 dst_sel:DWORD dst_unused:UNUSED_PAD src0_sel:DWORD src1_sel:BYTE_1
	v_add_u16_e32 v117, 0xf000, v117
	v_add_u16_sdwa v116, v116, s9 dst_sel:WORD_1 dst_unused:UNUSED_PAD src0_sel:DWORD src1_sel:DWORD
	v_lshrrev_b32_e32 v118, 12, v113
	v_lshrrev_b32_e32 v119, 5, v113
	v_lshlrev_b32_e32 v120, 2, v113
	v_or_b32_e32 v116, v117, v116
	v_lshrrev_b32_e32 v117, 4, v122
	v_and_b32_e32 v118, 16, v118
	v_and_b32_e32 v119, 0x1000, v119
	;; [unrolled: 1-line block ×3, first 2 shown]
	v_lshlrev_b32_e32 v113, 9, v113
	v_and_b32_e32 v117, 0xf0f0f0f, v117
	v_and_b32_e32 v113, 0x10000000, v113
	v_or3_b32 v118, v119, v118, v120
	v_or3_b32 v113, v118, v113, v117
	v_lshlrev_b16_e32 v118, 8, v113
	v_and_b32_e32 v117, 0x1f00, v113
	v_add_i16 v118, v118, s9 clamp
	v_or_b32_sdwa v117, v117, v118 dst_sel:DWORD dst_unused:UNUSED_PAD src0_sel:DWORD src1_sel:BYTE_1
	v_and_b32_sdwa v118, v113, s16 dst_sel:DWORD dst_unused:UNUSED_PAD src0_sel:WORD_1 src1_sel:DWORD
	v_add_i16 v118, v118, s9 clamp
	v_lshlrev_b16_sdwa v113, v109, v113 dst_sel:DWORD dst_unused:UNUSED_PAD src0_sel:DWORD src1_sel:WORD_1
	v_and_b32_e32 v118, 0xffffff00, v118
	v_add_i16 v113, v113, s9 clamp
	v_add_u16_e32 v117, 0xf000, v117
	v_or_b32_sdwa v113, v113, v118 dst_sel:WORD_1 dst_unused:UNUSED_PAD src0_sel:BYTE_1 src1_sel:DWORD
	v_or_b32_e32 v113, v117, v113
	ds_write2_b32 v72, v116, v113 offset1:1
	v_ashrrev_i32_e32 v113, v26, v124
	v_lshlrev_b32_e32 v117, 4, v113
	v_lshlrev_b32_e32 v118, 11, v113
	v_and_b32_e32 v116, 0xf0f0f0f, v134
	v_and_b32_e32 v117, 16, v117
	v_and_b32_e32 v118, 0x1000, v118
	v_or3_b32 v117, v117, v116, v118
	v_lshlrev_b32_e32 v118, 18, v113
	v_lshlrev_b32_e32 v119, 25, v113
	v_and_b32_e32 v118, 0x100000, v118
	v_and_b32_e32 v119, 0x10000000, v119
	v_or3_b32 v132, v116, v118, v119
	v_and_b32_e32 v116, 0x1f00, v117
	v_lshlrev_b16_e32 v117, 8, v117
	v_add_u16_e32 v117, 0xf000, v117
	v_or_b32_sdwa v116, v116, v117 dst_sel:DWORD dst_unused:UNUSED_PAD src0_sel:DWORD src1_sel:BYTE_1
	v_add_u16_e32 v133, 0xf000, v116
	v_mad_i64_i32 v[116:117], s[18:19], v84, 22, v[114:115]
	v_add_co_u32_e32 v118, vcc, v116, v26
	v_addc_co_u32_e32 v119, vcc, 0, v117, vcc
	v_mad_i64_i32 v[120:121], s[18:19], v88, 22, v[114:115]
	v_add_co_u32_e32 v122, vcc, v120, v26
	v_addc_co_u32_e32 v123, vcc, 0, v121, vcc
	v_mad_i64_i32 v[124:125], s[18:19], v92, 22, v[114:115]
	v_add_co_u32_e32 v126, vcc, v124, v26
	v_addc_co_u32_e32 v127, vcc, 0, v125, vcc
	v_mad_i64_i32 v[114:115], s[18:19], v96, 22, v[114:115]
	v_add_co_u32_e32 v128, vcc, v114, v26
	v_addc_co_u32_e32 v129, vcc, 0, v115, vcc
	global_load_dword v135, v[128:129], off offset:6
	global_load_dword v136, v[114:115], off offset:2
	s_nop 0
	global_load_dword v114, v[126:127], off offset:6
	global_load_dword v115, v[124:125], off offset:2
	s_nop 0
	global_load_dword v122, v[122:123], off offset:6
	s_nop 0
	;; [unrolled: 2-line block ×4, first 2 shown]
	global_load_dword v116, v[116:117], off offset:2
	v_lshlrev_b16_sdwa v119, v109, v132 dst_sel:DWORD dst_unused:UNUSED_PAD src0_sel:DWORD src1_sel:WORD_1
	v_and_b32_sdwa v117, v132, s1 dst_sel:DWORD dst_unused:UNUSED_PAD src0_sel:WORD_1 src1_sel:DWORD
	v_add_u16_e32 v119, 0xf000, v119
	v_lshrrev_b32_e32 v121, 12, v113
	v_lshrrev_b32_e32 v123, 5, v113
	v_lshlrev_b32_e32 v124, 2, v113
	v_or_b32_sdwa v117, v117, v119 dst_sel:DWORD dst_unused:UNUSED_PAD src0_sel:DWORD src1_sel:BYTE_1
	v_lshrrev_b32_e32 v119, 4, v134
	v_and_b32_e32 v121, 16, v121
	v_and_b32_e32 v123, 0x1000, v123
	;; [unrolled: 1-line block ×3, first 2 shown]
	v_lshlrev_b32_e32 v113, 9, v113
	v_and_b32_e32 v119, 0xf0f0f0f, v119
	v_and_b32_e32 v113, 0x10000000, v113
	v_or3_b32 v121, v123, v121, v124
	v_or3_b32 v113, v121, v113, v119
	v_lshlrev_b16_e32 v121, 8, v113
	v_and_b32_e32 v119, 0x1f00, v113
	v_add_i16 v121, v121, s9 clamp
	v_or_b32_sdwa v119, v119, v121 dst_sel:DWORD dst_unused:UNUSED_PAD src0_sel:DWORD src1_sel:BYTE_1
	v_and_b32_sdwa v121, v113, s16 dst_sel:DWORD dst_unused:UNUSED_PAD src0_sel:WORD_1 src1_sel:DWORD
	v_add_i16 v121, v121, s9 clamp
	v_lshlrev_b16_sdwa v113, v109, v113 dst_sel:DWORD dst_unused:UNUSED_PAD src0_sel:DWORD src1_sel:WORD_1
	v_and_b32_e32 v121, 0xffffff00, v121
	v_add_i16 v113, v113, s9 clamp
	v_add_u16_sdwa v117, v117, s9 dst_sel:WORD_1 dst_unused:UNUSED_PAD src0_sel:DWORD src1_sel:DWORD
	v_add_u16_e32 v119, 0xf000, v119
	v_or_b32_sdwa v113, v113, v121 dst_sel:WORD_1 dst_unused:UNUSED_PAD src0_sel:BYTE_1 src1_sel:DWORD
	v_or_b32_e32 v117, v133, v117
	v_or_b32_e32 v113, v119, v113
	ds_write2_b32 v76, v117, v113 offset1:1
	v_ashrrev_i32_e32 v113, v26, v131
	v_lshlrev_b32_e32 v119, 4, v113
	v_lshlrev_b32_e32 v121, 11, v113
	v_and_b32_e32 v117, 0xf0f0f0f, v130
	v_and_b32_e32 v119, 16, v119
	;; [unrolled: 1-line block ×3, first 2 shown]
	v_or3_b32 v119, v119, v117, v121
	v_lshlrev_b32_e32 v121, 18, v113
	v_lshlrev_b32_e32 v123, 25, v113
	v_and_b32_e32 v121, 0x100000, v121
	v_and_b32_e32 v123, 0x10000000, v123
	v_or3_b32 v117, v117, v121, v123
	v_and_b32_e32 v121, 0x1f00, v119
	v_lshlrev_b16_e32 v119, 8, v119
	v_add_u16_e32 v119, 0xf000, v119
	v_or_b32_sdwa v119, v121, v119 dst_sel:DWORD dst_unused:UNUSED_PAD src0_sel:DWORD src1_sel:BYTE_1
	v_and_b32_sdwa v121, v117, s1 dst_sel:DWORD dst_unused:UNUSED_PAD src0_sel:WORD_1 src1_sel:DWORD
	v_lshlrev_b16_sdwa v117, v109, v117 dst_sel:DWORD dst_unused:UNUSED_PAD src0_sel:DWORD src1_sel:WORD_1
	v_add_u16_e32 v117, 0xf000, v117
	v_or_b32_sdwa v117, v121, v117 dst_sel:DWORD dst_unused:UNUSED_PAD src0_sel:DWORD src1_sel:BYTE_1
	v_add_u16_e32 v119, 0xf000, v119
	v_add_u16_sdwa v117, v117, s9 dst_sel:WORD_1 dst_unused:UNUSED_PAD src0_sel:DWORD src1_sel:DWORD
	v_lshrrev_b32_e32 v121, 12, v113
	v_lshrrev_b32_e32 v123, 5, v113
	v_lshlrev_b32_e32 v124, 2, v113
	v_or_b32_e32 v117, v119, v117
	v_lshrrev_b32_e32 v119, 4, v130
	v_and_b32_e32 v121, 16, v121
	v_and_b32_e32 v123, 0x1000, v123
	v_and_b32_e32 v124, 0x100000, v124
	v_lshlrev_b32_e32 v113, 9, v113
	v_and_b32_e32 v119, 0xf0f0f0f, v119
	v_and_b32_e32 v113, 0x10000000, v113
	v_or3_b32 v121, v123, v121, v124
	v_or3_b32 v113, v121, v113, v119
	v_lshlrev_b16_e32 v121, 8, v113
	v_and_b32_e32 v119, 0x1f00, v113
	v_add_i16 v121, v121, s9 clamp
	v_or_b32_sdwa v119, v119, v121 dst_sel:DWORD dst_unused:UNUSED_PAD src0_sel:DWORD src1_sel:BYTE_1
	v_and_b32_sdwa v121, v113, s16 dst_sel:DWORD dst_unused:UNUSED_PAD src0_sel:WORD_1 src1_sel:DWORD
	v_add_i16 v121, v121, s9 clamp
	v_lshlrev_b16_sdwa v113, v109, v113 dst_sel:DWORD dst_unused:UNUSED_PAD src0_sel:DWORD src1_sel:WORD_1
	v_and_b32_e32 v121, 0xffffff00, v121
	v_add_i16 v113, v113, s9 clamp
	v_add_u16_e32 v119, 0xf000, v119
	v_or_b32_sdwa v113, v113, v121 dst_sel:WORD_1 dst_unused:UNUSED_PAD src0_sel:BYTE_1 src1_sel:DWORD
	v_or_b32_e32 v113, v119, v113
	ds_write2_b32 v80, v117, v113 offset1:1
	s_waitcnt vmcnt(0)
	v_ashrrev_i32_e32 v113, v26, v116
	v_lshlrev_b32_e32 v117, 4, v113
	v_lshlrev_b32_e32 v119, 11, v113
	v_and_b32_e32 v116, 0xf0f0f0f, v118
	v_and_b32_e32 v117, 16, v117
	;; [unrolled: 1-line block ×3, first 2 shown]
	v_or3_b32 v117, v117, v116, v119
	v_lshlrev_b32_e32 v119, 18, v113
	v_lshlrev_b32_e32 v121, 25, v113
	v_and_b32_e32 v119, 0x100000, v119
	v_and_b32_e32 v121, 0x10000000, v121
	v_or3_b32 v116, v116, v119, v121
	v_and_b32_e32 v119, 0x1f00, v117
	v_lshlrev_b16_e32 v117, 8, v117
	v_add_u16_e32 v117, 0xf000, v117
	v_or_b32_sdwa v117, v119, v117 dst_sel:DWORD dst_unused:UNUSED_PAD src0_sel:DWORD src1_sel:BYTE_1
	v_and_b32_sdwa v119, v116, s1 dst_sel:DWORD dst_unused:UNUSED_PAD src0_sel:WORD_1 src1_sel:DWORD
	v_lshlrev_b16_sdwa v116, v109, v116 dst_sel:DWORD dst_unused:UNUSED_PAD src0_sel:DWORD src1_sel:WORD_1
	v_add_u16_e32 v116, 0xf000, v116
	v_or_b32_sdwa v116, v119, v116 dst_sel:DWORD dst_unused:UNUSED_PAD src0_sel:DWORD src1_sel:BYTE_1
	v_add_u16_e32 v117, 0xf000, v117
	v_add_u16_sdwa v116, v116, s9 dst_sel:WORD_1 dst_unused:UNUSED_PAD src0_sel:DWORD src1_sel:DWORD
	v_or_b32_e32 v116, v117, v116
	v_lshrrev_b32_e32 v117, 4, v118
	v_lshrrev_b32_e32 v118, 12, v113
	;; [unrolled: 1-line block ×3, first 2 shown]
	v_lshlrev_b32_e32 v121, 2, v113
	v_and_b32_e32 v118, 16, v118
	v_and_b32_e32 v119, 0x1000, v119
	;; [unrolled: 1-line block ×3, first 2 shown]
	v_lshlrev_b32_e32 v113, 9, v113
	v_and_b32_e32 v117, 0xf0f0f0f, v117
	v_and_b32_e32 v113, 0x10000000, v113
	v_or3_b32 v118, v119, v118, v121
	v_or3_b32 v113, v118, v113, v117
	v_lshlrev_b16_e32 v118, 8, v113
	v_and_b32_e32 v117, 0x1f00, v113
	v_add_i16 v118, v118, s9 clamp
	v_or_b32_sdwa v117, v117, v118 dst_sel:DWORD dst_unused:UNUSED_PAD src0_sel:DWORD src1_sel:BYTE_1
	v_and_b32_sdwa v118, v113, s16 dst_sel:DWORD dst_unused:UNUSED_PAD src0_sel:WORD_1 src1_sel:DWORD
	v_add_i16 v118, v118, s9 clamp
	v_lshlrev_b16_sdwa v113, v109, v113 dst_sel:DWORD dst_unused:UNUSED_PAD src0_sel:DWORD src1_sel:WORD_1
	v_and_b32_e32 v118, 0xffffff00, v118
	v_add_i16 v113, v113, s9 clamp
	v_add_u16_e32 v117, 0xf000, v117
	v_or_b32_sdwa v113, v113, v118 dst_sel:WORD_1 dst_unused:UNUSED_PAD src0_sel:BYTE_1 src1_sel:DWORD
	v_or_b32_e32 v113, v117, v113
	ds_write2_b32 v86, v116, v113 offset1:1
	v_ashrrev_i32_e32 v113, v26, v120
	v_lshlrev_b32_e32 v117, 4, v113
	v_lshlrev_b32_e32 v118, 11, v113
	v_and_b32_e32 v116, 0xf0f0f0f, v122
	v_and_b32_e32 v117, 16, v117
	;; [unrolled: 1-line block ×3, first 2 shown]
	v_or3_b32 v117, v117, v116, v118
	v_lshlrev_b32_e32 v118, 18, v113
	v_lshlrev_b32_e32 v119, 25, v113
	v_and_b32_e32 v118, 0x100000, v118
	v_and_b32_e32 v119, 0x10000000, v119
	v_or3_b32 v116, v116, v118, v119
	v_and_b32_e32 v118, 0x1f00, v117
	v_lshlrev_b16_e32 v117, 8, v117
	v_add_u16_e32 v117, 0xf000, v117
	v_or_b32_sdwa v117, v118, v117 dst_sel:DWORD dst_unused:UNUSED_PAD src0_sel:DWORD src1_sel:BYTE_1
	v_and_b32_sdwa v118, v116, s1 dst_sel:DWORD dst_unused:UNUSED_PAD src0_sel:WORD_1 src1_sel:DWORD
	v_lshlrev_b16_sdwa v116, v109, v116 dst_sel:DWORD dst_unused:UNUSED_PAD src0_sel:DWORD src1_sel:WORD_1
	v_add_u16_e32 v116, 0xf000, v116
	v_or_b32_sdwa v116, v118, v116 dst_sel:DWORD dst_unused:UNUSED_PAD src0_sel:DWORD src1_sel:BYTE_1
	v_add_u16_e32 v117, 0xf000, v117
	v_add_u16_sdwa v116, v116, s9 dst_sel:WORD_1 dst_unused:UNUSED_PAD src0_sel:DWORD src1_sel:DWORD
	v_lshrrev_b32_e32 v118, 12, v113
	v_lshrrev_b32_e32 v119, 5, v113
	v_lshlrev_b32_e32 v120, 2, v113
	v_or_b32_e32 v116, v117, v116
	v_lshrrev_b32_e32 v117, 4, v122
	v_and_b32_e32 v118, 16, v118
	v_and_b32_e32 v119, 0x1000, v119
	;; [unrolled: 1-line block ×3, first 2 shown]
	v_lshlrev_b32_e32 v113, 9, v113
	v_and_b32_e32 v117, 0xf0f0f0f, v117
	v_and_b32_e32 v113, 0x10000000, v113
	v_or3_b32 v118, v119, v118, v120
	v_or3_b32 v113, v118, v113, v117
	v_lshlrev_b16_e32 v118, 8, v113
	v_and_b32_e32 v117, 0x1f00, v113
	v_add_i16 v118, v118, s9 clamp
	v_or_b32_sdwa v117, v117, v118 dst_sel:DWORD dst_unused:UNUSED_PAD src0_sel:DWORD src1_sel:BYTE_1
	v_and_b32_sdwa v118, v113, s16 dst_sel:DWORD dst_unused:UNUSED_PAD src0_sel:WORD_1 src1_sel:DWORD
	v_add_i16 v118, v118, s9 clamp
	v_lshlrev_b16_sdwa v113, v109, v113 dst_sel:DWORD dst_unused:UNUSED_PAD src0_sel:DWORD src1_sel:WORD_1
	v_and_b32_e32 v118, 0xffffff00, v118
	v_add_i16 v113, v113, s9 clamp
	v_add_u16_e32 v117, 0xf000, v117
	v_or_b32_sdwa v113, v113, v118 dst_sel:WORD_1 dst_unused:UNUSED_PAD src0_sel:BYTE_1 src1_sel:DWORD
	v_or_b32_e32 v113, v117, v113
	ds_write2_b32 v90, v116, v113 offset1:1
	v_ashrrev_i32_e32 v113, v26, v115
	v_lshlrev_b32_e32 v116, 4, v113
	v_lshlrev_b32_e32 v117, 11, v113
	v_and_b32_e32 v115, 0xf0f0f0f, v114
	v_and_b32_e32 v116, 16, v116
	;; [unrolled: 1-line block ×3, first 2 shown]
	v_or3_b32 v116, v116, v115, v117
	v_lshlrev_b32_e32 v117, 18, v113
	v_lshlrev_b32_e32 v118, 25, v113
	v_and_b32_e32 v117, 0x100000, v117
	v_and_b32_e32 v118, 0x10000000, v118
	v_or3_b32 v115, v115, v117, v118
	v_and_b32_e32 v117, 0x1f00, v116
	v_lshlrev_b16_e32 v116, 8, v116
	v_add_u16_e32 v116, 0xf000, v116
	v_or_b32_sdwa v116, v117, v116 dst_sel:DWORD dst_unused:UNUSED_PAD src0_sel:DWORD src1_sel:BYTE_1
	v_and_b32_sdwa v117, v115, s1 dst_sel:DWORD dst_unused:UNUSED_PAD src0_sel:WORD_1 src1_sel:DWORD
	v_lshlrev_b16_sdwa v115, v109, v115 dst_sel:DWORD dst_unused:UNUSED_PAD src0_sel:DWORD src1_sel:WORD_1
	v_lshrrev_b32_e32 v114, 4, v114
	v_add_u16_e32 v115, 0xf000, v115
	v_and_b32_e32 v133, 0xf0f0f0f, v114
	v_lshrrev_b32_e32 v114, 12, v113
	v_or_b32_sdwa v115, v117, v115 dst_sel:DWORD dst_unused:UNUSED_PAD src0_sel:DWORD src1_sel:BYTE_1
	v_and_b32_e32 v134, 16, v114
	v_lshrrev_b32_e32 v114, 5, v113
	v_add_u16_e32 v116, 0xf000, v116
	v_add_u16_sdwa v115, v115, s9 dst_sel:WORD_1 dst_unused:UNUSED_PAD src0_sel:DWORD src1_sel:DWORD
	v_and_b32_e32 v137, 0x1000, v114
	v_lshlrev_b32_e32 v114, 2, v113
	v_or_b32_e32 v132, v116, v115
	v_and_b32_e32 v138, 0x100000, v114
	v_mad_u64_u32 v[114:115], s[4:5], v100, 22, s[4:5]
	v_mad_i64_i32 v[116:117], s[4:5], v102, 22, v[114:115]
	v_mad_i64_i32 v[118:119], s[4:5], v104, 22, v[114:115]
	;; [unrolled: 1-line block ×4, first 2 shown]
	v_add_u32_e32 v128, s0, v31
	v_lshlrev_b32_e32 v113, 9, v113
	global_load_ushort v140, v[116:117], off
	global_load_ushort v141, v[118:119], off
	;; [unrolled: 1-line block ×4, first 2 shown]
	v_add_u32_e32 v114, v128, v37
	v_add_u32_e32 v116, v128, v41
	;; [unrolled: 1-line block ×5, first 2 shown]
	v_and_b32_e32 v139, 0x10000000, v113
	v_add_u32_e32 v113, s0, v112
	v_mad_i64_i32 v[114:115], s[4:5], v114, 36, v[110:111]
	v_mad_i64_i32 v[116:117], s[4:5], v116, 36, v[110:111]
	;; [unrolled: 1-line block ×5, first 2 shown]
	v_add_u32_e32 v124, v128, v59
	v_add_u32_e32 v126, v128, v63
	;; [unrolled: 1-line block ×3, first 2 shown]
	v_mad_i64_i32 v[124:125], s[4:5], v124, 36, v[110:111]
	v_mad_i64_i32 v[126:127], s[4:5], v126, 36, v[110:111]
	v_mad_i64_i32 v[128:129], s[4:5], v128, 36, v[110:111]
	v_mad_u64_u32 v[130:131], s[4:5], v113, 36, s[2:3]
	global_load_dword v114, v[114:115], off offset:4
	s_nop 0
	global_load_dword v115, v[116:117], off offset:4
	s_nop 0
	global_load_dword v116, v[118:119], off offset:4
	global_load_dword v117, v[120:121], off offset:4
	s_nop 0
	global_load_dword v118, v[122:123], off offset:4
	global_load_dword v119, v[130:131], off
	global_load_dword v120, v[124:125], off offset:4
	global_load_dword v121, v[126:127], off offset:4
	s_nop 0
	global_load_dword v122, v[128:129], off offset:4
	v_or3_b32 v123, v137, v134, v138
	v_or3_b32 v123, v123, v139, v133
	v_lshlrev_b16_e32 v125, 8, v123
	v_and_b32_e32 v124, 0x1f00, v123
	v_add_i16 v125, v125, s9 clamp
	v_or_b32_sdwa v124, v124, v125 dst_sel:DWORD dst_unused:UNUSED_PAD src0_sel:DWORD src1_sel:BYTE_1
	v_and_b32_sdwa v125, v123, s16 dst_sel:DWORD dst_unused:UNUSED_PAD src0_sel:WORD_1 src1_sel:DWORD
	v_add_i16 v125, v125, s9 clamp
	v_lshlrev_b16_sdwa v123, v109, v123 dst_sel:DWORD dst_unused:UNUSED_PAD src0_sel:DWORD src1_sel:WORD_1
	v_and_b32_e32 v125, 0xffffff00, v125
	v_add_i16 v123, v123, s9 clamp
	v_add_u16_e32 v124, 0xf000, v124
	v_or_b32_sdwa v123, v123, v125 dst_sel:WORD_1 dst_unused:UNUSED_PAD src0_sel:BYTE_1 src1_sel:DWORD
	v_or_b32_e32 v123, v124, v123
	ds_write2_b32 v94, v132, v123 offset1:1
	v_ashrrev_i32_e32 v123, v26, v136
	v_lshlrev_b32_e32 v125, 4, v123
	v_lshlrev_b32_e32 v126, 11, v123
	v_and_b32_e32 v124, 0xf0f0f0f, v135
	v_and_b32_e32 v125, 16, v125
	;; [unrolled: 1-line block ×3, first 2 shown]
	v_or3_b32 v125, v125, v124, v126
	v_lshlrev_b32_e32 v126, 18, v123
	v_lshlrev_b32_e32 v127, 25, v123
	v_and_b32_e32 v126, 0x100000, v126
	v_and_b32_e32 v127, 0x10000000, v127
	v_or3_b32 v124, v124, v126, v127
	v_and_b32_e32 v126, 0x1f00, v125
	v_lshlrev_b16_e32 v125, 8, v125
	v_add_u16_e32 v125, 0xf000, v125
	v_or_b32_sdwa v125, v126, v125 dst_sel:DWORD dst_unused:UNUSED_PAD src0_sel:DWORD src1_sel:BYTE_1
	v_and_b32_sdwa v126, v124, s1 dst_sel:DWORD dst_unused:UNUSED_PAD src0_sel:WORD_1 src1_sel:DWORD
	v_lshlrev_b16_sdwa v124, v109, v124 dst_sel:DWORD dst_unused:UNUSED_PAD src0_sel:DWORD src1_sel:WORD_1
	v_add_u16_e32 v124, 0xf000, v124
	v_or_b32_sdwa v124, v126, v124 dst_sel:DWORD dst_unused:UNUSED_PAD src0_sel:DWORD src1_sel:BYTE_1
	v_add_u16_e32 v125, 0xf000, v125
	v_add_u16_sdwa v124, v124, s9 dst_sel:WORD_1 dst_unused:UNUSED_PAD src0_sel:DWORD src1_sel:DWORD
	v_lshrrev_b32_e32 v126, 12, v123
	v_lshrrev_b32_e32 v127, 5, v123
	v_lshlrev_b32_e32 v128, 2, v123
	v_or_b32_e32 v124, v125, v124
	v_lshrrev_b32_e32 v125, 4, v135
	v_and_b32_e32 v126, 16, v126
	v_and_b32_e32 v127, 0x1000, v127
	;; [unrolled: 1-line block ×3, first 2 shown]
	v_lshlrev_b32_e32 v123, 9, v123
	v_and_b32_e32 v125, 0xf0f0f0f, v125
	v_and_b32_e32 v123, 0x10000000, v123
	v_or3_b32 v126, v127, v126, v128
	v_or3_b32 v123, v126, v123, v125
	v_lshlrev_b16_e32 v126, 8, v123
	v_and_b32_e32 v125, 0x1f00, v123
	v_add_i16 v126, v126, s9 clamp
	v_or_b32_sdwa v125, v125, v126 dst_sel:DWORD dst_unused:UNUSED_PAD src0_sel:DWORD src1_sel:BYTE_1
	v_and_b32_sdwa v126, v123, s16 dst_sel:DWORD dst_unused:UNUSED_PAD src0_sel:WORD_1 src1_sel:DWORD
	v_add_i16 v126, v126, s9 clamp
	v_lshlrev_b16_sdwa v123, v109, v123 dst_sel:DWORD dst_unused:UNUSED_PAD src0_sel:DWORD src1_sel:WORD_1
	v_and_b32_e32 v126, 0xffffff00, v126
	v_add_i16 v123, v123, s9 clamp
	v_add_u16_e32 v125, 0xf000, v125
	v_or_b32_sdwa v123, v123, v126 dst_sel:WORD_1 dst_unused:UNUSED_PAD src0_sel:BYTE_1 src1_sel:DWORD
	v_or_b32_e32 v123, v125, v123
	ds_write2_b32 v98, v124, v123 offset1:1
	s_waitcnt vmcnt(12)
	v_cvt_f32_f16_e32 v123, v140
	s_waitcnt vmcnt(11)
	v_cvt_f32_f16_e32 v124, v141
	;; [unrolled: 2-line block ×4, first 2 shown]
	ds_write_b32 v101, v123
	ds_write_b32 v103, v124
	ds_write_b32 v105, v125
	ds_write_b32 v107, v126
	s_waitcnt vmcnt(8)
	ds_write_b32 v39, v114
	s_waitcnt vmcnt(7)
	ds_write_b32 v43, v115
	;; [unrolled: 2-line block ×5, first 2 shown]
	s_waitcnt vmcnt(3)
	v_cvt_f32_f16_e32 v114, v119
	v_mov_b32_e32 v115, v89
	v_mov_b32_e32 v117, v87
	;; [unrolled: 1-line block ×3, first 2 shown]
	s_mov_b32 s4, -4
	v_mov_b32_e32 v123, v85
	s_waitcnt vmcnt(2)
	ds_write_b32 v61, v120
	s_waitcnt vmcnt(1)
	ds_write_b32 v65, v121
	s_waitcnt vmcnt(0)
	ds_write_b32 v69, v122
	ds_write_b32 v33, v114
	s_waitcnt lgkmcnt(0)
	s_barrier
.LBB122_7:                              ;   Parent Loop BB122_6 Depth=1
                                        ; =>  This Inner Loop Header: Depth=2
	v_add_u32_e32 v116, 0x2080, v119
	ds_read_b128 v[160:163], v117
	ds_read_b128 v[164:167], v117 offset:16
	ds_read2_b32 v[154:155], v115 offset1:32
	ds_read_b32 v118, v123
	ds_read2_b32 v[126:127], v119 offset1:1
	ds_read2_b32 v[134:135], v119 offset0:2 offset1:3
	ds_read2_b32 v[140:141], v119 offset0:4 offset1:5
	;; [unrolled: 1-line block ×3, first 2 shown]
	ds_read_b32 v114, v156
	ds_read2_b32 v[120:121], v116 offset1:1
	v_add_u32_e32 v116, 0x2088, v119
	ds_read2_b32 v[128:129], v116 offset1:1
	v_add_u32_e32 v116, 0x2090, v119
	;; [unrolled: 2-line block ×3, first 2 shown]
	v_add_u32_e32 v122, 0x4100, v119
	ds_read2_b32 v[146:147], v116 offset1:1
	ds_read_b32 v116, v157
	ds_read2_b32 v[124:125], v122 offset1:1
	v_add_u32_e32 v122, 0x4108, v119
	ds_read2_b32 v[132:133], v122 offset1:1
	v_add_u32_e32 v122, 0x4110, v119
	;; [unrolled: 2-line block ×3, first 2 shown]
	v_add_u32_e32 v130, 0x6180, v119
	ds_read2_b32 v[150:151], v122 offset1:1
	ds_read_b32 v122, v158
	ds_read2_b32 v[130:131], v130 offset1:1
	v_add_u32_e32 v138, 0x6188, v119
	ds_read2_b32 v[138:139], v138 offset1:1
	v_add_u32_e32 v148, 0x6190, v119
	ds_read2_b32 v[148:149], v148 offset1:1
	v_mov_b32_e32 v159, 0
	v_mov_b32_e32 v172, 0
	;; [unrolled: 1-line block ×4, first 2 shown]
	s_waitcnt lgkmcnt(14)
	v_dot4c_i32_i8_e32 v159, v126, v160
	s_waitcnt lgkmcnt(12)
	v_dot4c_i32_i8_e32 v172, v120, v160
	;; [unrolled: 2-line block ×4, first 2 shown]
	v_add_u32_e32 v152, 0x6198, v119
	ds_read2_b32 v[152:153], v152 offset1:1
	v_dot4c_i32_i8_e32 v159, v127, v164
	v_dot4c_i32_i8_e32 v172, v121, v164
	v_dot4c_i32_i8_e32 v173, v125, v164
	v_dot4c_i32_i8_e32 v174, v131, v164
	v_dot4c_i32_i8_e32 v159, v134, v161
	v_dot4c_i32_i8_e32 v172, v128, v161
	v_dot4c_i32_i8_e32 v173, v132, v161
	s_waitcnt lgkmcnt(2)
	v_dot4c_i32_i8_e32 v174, v138, v161
	v_dot4c_i32_i8_e32 v159, v135, v165
	v_dot4c_i32_i8_e32 v172, v129, v165
	v_dot4c_i32_i8_e32 v173, v133, v165
	v_dot4c_i32_i8_e32 v174, v139, v165
	v_dot4c_i32_i8_e32 v159, v140, v162
	v_dot4c_i32_i8_e32 v172, v136, v162
	v_dot4c_i32_i8_e32 v173, v142, v162
	s_waitcnt lgkmcnt(1)
	v_dot4c_i32_i8_e32 v174, v148, v162
	;; [unrolled: 9-line block ×3, first 2 shown]
	v_dot4c_i32_i8_e32 v159, v145, v167
	v_dot4c_i32_i8_e32 v172, v147, v167
	;; [unrolled: 1-line block ×4, first 2 shown]
	ds_read_b128 v[160:163], v117 offset:1024
	ds_read_b128 v[164:167], v117 offset:1040
	v_mov_b32_e32 v170, 0
	v_pk_mul_f32 v[168:169], v[118:119], v[154:155] op_sel_hi:[0,1]
	s_add_i32 s4, s4, 4
	s_waitcnt lgkmcnt(1)
	v_dot4c_i32_i8_e32 v170, v126, v160
	s_waitcnt lgkmcnt(0)
	v_dot4c_i32_i8_e32 v170, v127, v164
	v_dot4c_i32_i8_e32 v170, v134, v161
	;; [unrolled: 1-line block ×7, first 2 shown]
	v_add_u32_e32 v158, 4, v158
	v_add_u32_e32 v157, 4, v157
	;; [unrolled: 1-line block ×3, first 2 shown]
	v_cvt_f32_i32_e32 v171, v170
	v_cvt_f32_i32_e32 v170, v159
	v_mov_b32_e32 v159, 0
	v_dot4c_i32_i8_e32 v159, v120, v160
	v_dot4c_i32_i8_e32 v159, v121, v164
	;; [unrolled: 1-line block ×8, first 2 shown]
	v_pk_fma_f32 v[82:83], v[168:169], v[170:171], v[82:83]
	v_cvt_f32_i32_e32 v170, v172
	v_pk_mul_f32 v[168:169], v[114:115], v[154:155] op_sel_hi:[0,1]
	v_cvt_f32_i32_e32 v171, v159
	v_mov_b32_e32 v159, 0
	v_dot4c_i32_i8_e32 v159, v124, v160
	v_dot4c_i32_i8_e32 v159, v125, v164
	;; [unrolled: 1-line block ×8, first 2 shown]
	v_pk_fma_f32 v[70:71], v[168:169], v[170:171], v[70:71]
	v_pk_mul_f32 v[168:169], v[116:117], v[154:155] op_sel_hi:[0,1]
	v_pk_mul_f32 v[154:155], v[122:123], v[154:155] op_sel_hi:[0,1]
	v_cvt_f32_i32_e32 v171, v159
	v_mov_b32_e32 v159, 0
	v_dot4c_i32_i8_e32 v159, v130, v160
	v_dot4c_i32_i8_e32 v159, v131, v164
	v_dot4c_i32_i8_e32 v159, v138, v161
	v_dot4c_i32_i8_e32 v159, v139, v165
	v_dot4c_i32_i8_e32 v159, v148, v162
	v_dot4c_i32_i8_e32 v159, v149, v166
	v_dot4c_i32_i8_e32 v159, v152, v163
	v_dot4c_i32_i8_e32 v159, v153, v167
	v_cvt_f32_i32_e32 v160, v174
	v_cvt_f32_i32_e32 v170, v173
	v_mov_b32_e32 v172, 0
	v_cvt_f32_i32_e32 v161, v159
	v_mov_b32_e32 v159, 0
	v_mov_b32_e32 v173, 0
	v_mov_b32_e32 v174, 0
	v_pk_fma_f32 v[34:35], v[154:155], v[160:161], v[34:35]
	ds_read_b128 v[160:163], v117 offset:2048
	ds_read_b128 v[164:167], v117 offset:2064
	ds_read2_b32 v[154:155], v115 offset0:64 offset1:96
	v_pk_fma_f32 v[52:53], v[168:169], v[170:171], v[52:53]
	v_mov_b32_e32 v170, 0
	s_waitcnt lgkmcnt(2)
	v_dot4c_i32_i8_e32 v159, v126, v160
	v_dot4c_i32_i8_e32 v172, v120, v160
	;; [unrolled: 1-line block ×4, first 2 shown]
	s_waitcnt lgkmcnt(1)
	v_dot4c_i32_i8_e32 v159, v127, v164
	v_dot4c_i32_i8_e32 v172, v121, v164
	;; [unrolled: 1-line block ×28, first 2 shown]
	ds_read_b128 v[160:163], v117 offset:3072
	ds_read_b128 v[164:167], v117 offset:3088
	s_waitcnt lgkmcnt(2)
	v_pk_mul_f32 v[168:169], v[118:119], v[154:155] op_sel_hi:[0,1]
	s_cmp_lt_u32 s4, 12
	s_waitcnt lgkmcnt(1)
	v_dot4c_i32_i8_e32 v170, v126, v160
	s_waitcnt lgkmcnt(0)
	v_dot4c_i32_i8_e32 v170, v127, v164
	v_dot4c_i32_i8_e32 v170, v134, v161
	;; [unrolled: 1-line block ×7, first 2 shown]
	s_nop 2
	v_cvt_f32_i32_e32 v171, v170
	v_cvt_f32_i32_e32 v170, v159
	v_mov_b32_e32 v159, 0
	v_dot4c_i32_i8_e32 v159, v120, v160
	v_dot4c_i32_i8_e32 v159, v121, v164
	;; [unrolled: 1-line block ×8, first 2 shown]
	v_pk_fma_f32 v[24:25], v[168:169], v[170:171], v[24:25]
	v_cvt_f32_i32_e32 v170, v172
	v_pk_mul_f32 v[168:169], v[114:115], v[154:155] op_sel_hi:[0,1]
	v_cvt_f32_i32_e32 v171, v159
	v_mov_b32_e32 v159, 0
	v_dot4c_i32_i8_e32 v159, v124, v160
	v_dot4c_i32_i8_e32 v159, v125, v164
	;; [unrolled: 1-line block ×8, first 2 shown]
	v_pk_fma_f32 v[22:23], v[168:169], v[170:171], v[22:23]
	v_pk_mul_f32 v[168:169], v[116:117], v[154:155] op_sel_hi:[0,1]
	v_pk_mul_f32 v[154:155], v[122:123], v[154:155] op_sel_hi:[0,1]
	v_cvt_f32_i32_e32 v171, v159
	v_mov_b32_e32 v159, 0
	v_dot4c_i32_i8_e32 v159, v130, v160
	v_dot4c_i32_i8_e32 v159, v131, v164
	;; [unrolled: 1-line block ×8, first 2 shown]
	v_cvt_f32_i32_e32 v160, v174
	v_cvt_f32_i32_e32 v170, v173
	v_mov_b32_e32 v172, 0
	v_cvt_f32_i32_e32 v161, v159
	v_mov_b32_e32 v159, 0
	v_mov_b32_e32 v173, 0
	;; [unrolled: 1-line block ×3, first 2 shown]
	v_pk_fma_f32 v[18:19], v[154:155], v[160:161], v[18:19]
	ds_read_b128 v[160:163], v117 offset:4096
	ds_read_b128 v[164:167], v117 offset:4112
	ds_read2_b32 v[154:155], v115 offset0:128 offset1:160
	v_pk_fma_f32 v[20:21], v[168:169], v[170:171], v[20:21]
	v_mov_b32_e32 v170, 0
	s_waitcnt lgkmcnt(2)
	v_dot4c_i32_i8_e32 v159, v126, v160
	v_dot4c_i32_i8_e32 v172, v120, v160
	;; [unrolled: 1-line block ×4, first 2 shown]
	s_waitcnt lgkmcnt(1)
	v_dot4c_i32_i8_e32 v159, v127, v164
	v_dot4c_i32_i8_e32 v172, v121, v164
	;; [unrolled: 1-line block ×28, first 2 shown]
	ds_read_b128 v[160:163], v117 offset:5120
	ds_read_b128 v[164:167], v117 offset:5136
	s_waitcnt lgkmcnt(2)
	v_pk_mul_f32 v[168:169], v[118:119], v[154:155] op_sel_hi:[0,1]
	s_waitcnt lgkmcnt(1)
	v_dot4c_i32_i8_e32 v170, v126, v160
	s_waitcnt lgkmcnt(0)
	v_dot4c_i32_i8_e32 v170, v127, v164
	v_dot4c_i32_i8_e32 v170, v134, v161
	;; [unrolled: 1-line block ×7, first 2 shown]
	s_nop 2
	v_cvt_f32_i32_e32 v171, v170
	v_cvt_f32_i32_e32 v170, v159
	v_mov_b32_e32 v159, 0
	v_dot4c_i32_i8_e32 v159, v120, v160
	v_dot4c_i32_i8_e32 v159, v121, v164
	;; [unrolled: 1-line block ×8, first 2 shown]
	v_pk_fma_f32 v[16:17], v[168:169], v[170:171], v[16:17]
	v_cvt_f32_i32_e32 v170, v172
	v_pk_mul_f32 v[168:169], v[114:115], v[154:155] op_sel_hi:[0,1]
	v_cvt_f32_i32_e32 v171, v159
	v_mov_b32_e32 v159, 0
	v_dot4c_i32_i8_e32 v159, v124, v160
	v_dot4c_i32_i8_e32 v159, v125, v164
	;; [unrolled: 1-line block ×8, first 2 shown]
	v_pk_fma_f32 v[14:15], v[168:169], v[170:171], v[14:15]
	v_cvt_f32_i32_e32 v170, v173
	v_pk_mul_f32 v[168:169], v[116:117], v[154:155] op_sel_hi:[0,1]
	v_cvt_f32_i32_e32 v171, v159
	v_mov_b32_e32 v159, 0
	v_dot4c_i32_i8_e32 v159, v130, v160
	v_dot4c_i32_i8_e32 v159, v131, v164
	;; [unrolled: 1-line block ×8, first 2 shown]
	v_cvt_f32_i32_e32 v160, v174
	v_pk_mul_f32 v[154:155], v[122:123], v[154:155] op_sel_hi:[0,1]
	v_pk_fma_f32 v[12:13], v[168:169], v[170:171], v[12:13]
	v_cvt_f32_i32_e32 v161, v159
	v_mov_b32_e32 v159, 0
	v_mov_b32_e32 v168, 0
	v_mov_b32_e32 v169, 0
	v_pk_fma_f32 v[10:11], v[154:155], v[160:161], v[10:11]
	ds_read_b128 v[160:163], v117 offset:6144
	ds_read_b128 v[164:167], v117 offset:6160
	ds_read2_b32 v[154:155], v115 offset0:192 offset1:224
	v_mov_b32_e32 v170, 0
	v_mov_b32_e32 v171, 0
	s_waitcnt lgkmcnt(2)
	v_dot4c_i32_i8_e32 v159, v126, v160
	v_dot4c_i32_i8_e32 v168, v120, v160
	v_dot4c_i32_i8_e32 v169, v124, v160
	v_dot4c_i32_i8_e32 v170, v130, v160
	s_waitcnt lgkmcnt(1)
	v_dot4c_i32_i8_e32 v159, v127, v164
	v_dot4c_i32_i8_e32 v168, v121, v164
	;; [unrolled: 1-line block ×28, first 2 shown]
	ds_read_b128 v[160:163], v117 offset:7168
	ds_read_b128 v[164:167], v117 offset:7184
	s_waitcnt lgkmcnt(1)
	v_dot4c_i32_i8_e32 v171, v126, v160
	s_waitcnt lgkmcnt(0)
	v_dot4c_i32_i8_e32 v171, v127, v164
	v_pk_mul_f32 v[126:127], v[118:119], v[154:155] op_sel_hi:[0,1]
	v_mov_b32_e32 v118, 0
	v_dot4c_i32_i8_e32 v118, v120, v160
	v_dot4c_i32_i8_e32 v118, v121, v164
	v_pk_mul_f32 v[120:121], v[114:115], v[154:155] op_sel_hi:[0,1]
	v_mov_b32_e32 v114, 0
	v_dot4c_i32_i8_e32 v114, v124, v160
	v_dot4c_i32_i8_e32 v114, v125, v164
	v_dot4c_i32_i8_e32 v171, v134, v161
	v_dot4c_i32_i8_e32 v114, v132, v161
	v_dot4c_i32_i8_e32 v171, v135, v165
	v_dot4c_i32_i8_e32 v114, v133, v165
	v_dot4c_i32_i8_e32 v171, v140, v162
	v_dot4c_i32_i8_e32 v114, v142, v162
	v_dot4c_i32_i8_e32 v171, v141, v166
	v_dot4c_i32_i8_e32 v114, v143, v166
	v_dot4c_i32_i8_e32 v171, v144, v163
	v_dot4c_i32_i8_e32 v118, v128, v161
	v_dot4c_i32_i8_e32 v114, v150, v163
	v_dot4c_i32_i8_e32 v171, v145, v167
	v_dot4c_i32_i8_e32 v118, v129, v165
	v_dot4c_i32_i8_e32 v114, v151, v167
	v_cvt_f32_i32_e32 v134, v159
	v_cvt_f32_i32_e32 v135, v171
	v_dot4c_i32_i8_e32 v118, v136, v162
	v_cvt_f32_i32_e32 v125, v114
	v_mov_b32_e32 v114, 0
	v_dot4c_i32_i8_e32 v118, v137, v166
	v_dot4c_i32_i8_e32 v114, v130, v160
	;; [unrolled: 1-line block ×6, first 2 shown]
	v_pk_fma_f32 v[8:9], v[126:127], v[134:135], v[8:9]
	v_cvt_f32_i32_e32 v126, v168
	v_cvt_f32_i32_e32 v127, v118
	v_dot4c_i32_i8_e32 v114, v139, v165
	v_cvt_f32_i32_e32 v124, v169
	v_dot4c_i32_i8_e32 v114, v148, v162
	v_dot4c_i32_i8_e32 v114, v149, v166
	;; [unrolled: 1-line block ×3, first 2 shown]
	v_pk_fma_f32 v[6:7], v[120:121], v[126:127], v[6:7]
	v_pk_mul_f32 v[120:121], v[116:117], v[154:155] op_sel_hi:[0,1]
	v_dot4c_i32_i8_e32 v114, v153, v167
	v_pk_fma_f32 v[4:5], v[120:121], v[124:125], v[4:5]
	v_cvt_f32_i32_e32 v124, v170
	v_pk_mul_f32 v[120:121], v[122:123], v[154:155] op_sel_hi:[0,1]
	v_cvt_f32_i32_e32 v125, v114
	v_add_u32_e32 v123, 4, v123
	v_add_u32_e32 v119, 32, v119
	;; [unrolled: 1-line block ×3, first 2 shown]
	v_pk_fma_f32 v[2:3], v[120:121], v[124:125], v[2:3]
	v_add_u32_e32 v115, 4, v115
	s_cbranch_scc1 .LBB122_7
; %bb.8:                                ;   in Loop: Header=BB122_6 Depth=1
	s_or_b32 s4, s0, 4
	s_cmp_ge_i32 s4, s7
	s_barrier
	s_cbranch_scc1 .LBB122_5
; %bb.9:                                ;   in Loop: Header=BB122_6 Depth=1
	v_add_u32_e32 v128, s0, v75
	v_add_u32_e32 v114, v128, v37
	;; [unrolled: 1-line block ×8, first 2 shown]
	v_mad_i64_i32 v[114:115], s[4:5], v114, 36, v[110:111]
	v_mad_i64_i32 v[116:117], s[4:5], v116, 36, v[110:111]
	;; [unrolled: 1-line block ×6, first 2 shown]
	v_add_u32_e32 v126, v128, v63
	v_add_u32_e32 v128, v128, v67
	v_mad_u64_u32 v[130:131], s[4:5], v113, 36, s[2:3]
	v_mad_i64_i32 v[126:127], s[4:5], v126, 36, v[110:111]
	v_mad_i64_i32 v[128:129], s[4:5], v128, 36, v[110:111]
	global_load_dword v130, v[130:131], off
	s_nop 0
	global_load_dword v114, v[114:115], off offset:4
	s_nop 0
	global_load_dword v116, v[116:117], off offset:4
	;; [unrolled: 2-line block ×5, first 2 shown]
	global_load_dword v131, v[124:125], off offset:4
                                        ; kill: killed $vgpr124_vgpr125
                                        ; kill: killed $vgpr122_vgpr123
	s_nop 0
	global_load_dword v122, v[126:127], off offset:4
	global_load_dword v124, v[128:129], off offset:4
	s_mov_b32 s4, 12
	v_mov_b32_e32 v113, v89
	v_mov_b32_e32 v115, v87
	;; [unrolled: 1-line block ×7, first 2 shown]
	s_waitcnt vmcnt(8)
	v_cvt_f32_f16_e32 v125, v130
	s_waitcnt vmcnt(7)
	ds_write_b32 v39, v114
	s_waitcnt vmcnt(6)
	ds_write_b32 v43, v116
	;; [unrolled: 2-line block ×8, first 2 shown]
	ds_write_b32 v33, v125
	s_waitcnt lgkmcnt(0)
	s_barrier
.LBB122_10:                             ;   Parent Loop BB122_6 Depth=1
                                        ; =>  This Inner Loop Header: Depth=2
	v_add_u32_e32 v116, 0x2080, v117
	ds_read_b128 v[158:161], v115
	ds_read_b128 v[162:165], v115 offset:16
	ds_read2_b32 v[154:155], v113 offset1:32
	ds_read_b32 v118, v119
	ds_read2_b32 v[126:127], v117 offset1:1
	ds_read2_b32 v[134:135], v117 offset0:2 offset1:3
	ds_read2_b32 v[140:141], v117 offset0:4 offset1:5
	;; [unrolled: 1-line block ×3, first 2 shown]
	ds_read_b32 v114, v123
	ds_read2_b32 v[120:121], v116 offset1:1
	v_add_u32_e32 v116, 0x2088, v117
	ds_read2_b32 v[128:129], v116 offset1:1
	v_add_u32_e32 v116, 0x2090, v117
	;; [unrolled: 2-line block ×3, first 2 shown]
	v_add_u32_e32 v122, 0x4100, v117
	ds_read2_b32 v[146:147], v116 offset1:1
	ds_read_b32 v116, v156
	ds_read2_b32 v[124:125], v122 offset1:1
	v_add_u32_e32 v122, 0x4108, v117
	ds_read2_b32 v[132:133], v122 offset1:1
	v_add_u32_e32 v122, 0x4110, v117
	;; [unrolled: 2-line block ×3, first 2 shown]
	v_add_u32_e32 v130, 0x6180, v117
	ds_read2_b32 v[150:151], v122 offset1:1
	ds_read_b32 v122, v157
	ds_read2_b32 v[130:131], v130 offset1:1
	v_add_u32_e32 v138, 0x6188, v117
	ds_read2_b32 v[138:139], v138 offset1:1
	v_add_u32_e32 v148, 0x6190, v117
	ds_read2_b32 v[148:149], v148 offset1:1
	v_mov_b32_e32 v168, 0
	v_mov_b32_e32 v170, 0
	v_mov_b32_e32 v171, 0
	v_mov_b32_e32 v172, 0
	s_waitcnt lgkmcnt(14)
	v_dot4c_i32_i8_e32 v168, v126, v158
	s_waitcnt lgkmcnt(12)
	v_dot4c_i32_i8_e32 v170, v120, v158
	;; [unrolled: 2-line block ×4, first 2 shown]
	v_add_u32_e32 v152, 0x6198, v117
	ds_read2_b32 v[152:153], v152 offset1:1
	v_dot4c_i32_i8_e32 v168, v127, v162
	v_dot4c_i32_i8_e32 v170, v121, v162
	v_dot4c_i32_i8_e32 v171, v125, v162
	v_dot4c_i32_i8_e32 v172, v131, v162
	v_dot4c_i32_i8_e32 v168, v134, v159
	v_dot4c_i32_i8_e32 v170, v128, v159
	v_dot4c_i32_i8_e32 v171, v132, v159
	s_waitcnt lgkmcnt(2)
	v_dot4c_i32_i8_e32 v172, v138, v159
	v_dot4c_i32_i8_e32 v168, v135, v163
	v_dot4c_i32_i8_e32 v170, v129, v163
	v_dot4c_i32_i8_e32 v171, v133, v163
	v_dot4c_i32_i8_e32 v172, v139, v163
	v_dot4c_i32_i8_e32 v168, v140, v160
	v_dot4c_i32_i8_e32 v170, v136, v160
	v_dot4c_i32_i8_e32 v171, v142, v160
	s_waitcnt lgkmcnt(1)
	v_dot4c_i32_i8_e32 v172, v148, v160
	;; [unrolled: 9-line block ×3, first 2 shown]
	v_dot4c_i32_i8_e32 v168, v145, v165
	v_dot4c_i32_i8_e32 v170, v147, v165
	;; [unrolled: 1-line block ×4, first 2 shown]
	ds_read_b128 v[158:161], v115 offset:1024
	ds_read_b128 v[162:165], v115 offset:1040
	v_mov_b32_e32 v169, 0
	v_cvt_f32_i32_e32 v168, v168
	v_pk_mul_f32 v[166:167], v[118:119], v[154:155] op_sel_hi:[0,1]
	s_waitcnt lgkmcnt(1)
	v_dot4c_i32_i8_e32 v169, v126, v158
	s_waitcnt lgkmcnt(0)
	v_dot4c_i32_i8_e32 v169, v127, v162
	v_dot4c_i32_i8_e32 v169, v134, v159
	;; [unrolled: 1-line block ×7, first 2 shown]
	s_add_i32 s4, s4, 4
	v_add_u32_e32 v157, 4, v157
	v_add_u32_e32 v156, 4, v156
	v_cvt_f32_i32_e32 v169, v169
	s_cmp_lt_u32 s4, 28
	v_pk_fma_f32 v[82:83], v[166:167], v[168:169], v[82:83]
	v_mov_b32_e32 v168, 0
	v_dot4c_i32_i8_e32 v168, v120, v158
	v_dot4c_i32_i8_e32 v168, v121, v162
	;; [unrolled: 1-line block ×8, first 2 shown]
	v_pk_mul_f32 v[166:167], v[114:115], v[154:155] op_sel_hi:[0,1]
	s_nop 1
	v_cvt_f32_i32_e32 v169, v168
	v_cvt_f32_i32_e32 v168, v170
	v_mov_b32_e32 v170, 0
	v_pk_fma_f32 v[70:71], v[166:167], v[168:169], v[70:71]
	v_mov_b32_e32 v168, 0
	v_dot4c_i32_i8_e32 v168, v124, v158
	v_dot4c_i32_i8_e32 v168, v125, v162
	;; [unrolled: 1-line block ×8, first 2 shown]
	v_pk_mul_f32 v[166:167], v[116:117], v[154:155] op_sel_hi:[0,1]
	v_pk_mul_f32 v[154:155], v[122:123], v[154:155] op_sel_hi:[0,1]
	s_nop 0
	v_cvt_f32_i32_e32 v169, v168
	v_cvt_f32_i32_e32 v168, v171
	v_mov_b32_e32 v171, 0
	v_pk_fma_f32 v[52:53], v[166:167], v[168:169], v[52:53]
	v_mov_b32_e32 v166, 0
	v_dot4c_i32_i8_e32 v166, v130, v158
	v_dot4c_i32_i8_e32 v166, v131, v162
	;; [unrolled: 1-line block ×8, first 2 shown]
	v_cvt_f32_i32_e32 v158, v172
	v_mov_b32_e32 v168, 0
	v_mov_b32_e32 v172, 0
	v_cvt_f32_i32_e32 v159, v166
	v_mov_b32_e32 v169, 0
	v_pk_fma_f32 v[34:35], v[154:155], v[158:159], v[34:35]
	ds_read_b128 v[158:161], v115 offset:2048
	ds_read_b128 v[162:165], v115 offset:2064
	ds_read2_b32 v[154:155], v113 offset0:64 offset1:96
	s_waitcnt lgkmcnt(2)
	v_dot4c_i32_i8_e32 v168, v126, v158
	v_dot4c_i32_i8_e32 v170, v120, v158
	;; [unrolled: 1-line block ×4, first 2 shown]
	s_waitcnt lgkmcnt(1)
	v_dot4c_i32_i8_e32 v168, v127, v162
	v_dot4c_i32_i8_e32 v170, v121, v162
	;; [unrolled: 1-line block ×28, first 2 shown]
	ds_read_b128 v[158:161], v115 offset:3072
	ds_read_b128 v[162:165], v115 offset:3088
	v_cvt_f32_i32_e32 v168, v168
	s_waitcnt lgkmcnt(2)
	v_pk_mul_f32 v[166:167], v[118:119], v[154:155] op_sel_hi:[0,1]
	s_waitcnt lgkmcnt(1)
	v_dot4c_i32_i8_e32 v169, v126, v158
	s_waitcnt lgkmcnt(0)
	v_dot4c_i32_i8_e32 v169, v127, v162
	v_dot4c_i32_i8_e32 v169, v134, v159
	;; [unrolled: 1-line block ×7, first 2 shown]
	s_nop 2
	v_cvt_f32_i32_e32 v169, v169
	v_pk_fma_f32 v[24:25], v[166:167], v[168:169], v[24:25]
	v_mov_b32_e32 v168, 0
	v_dot4c_i32_i8_e32 v168, v120, v158
	v_dot4c_i32_i8_e32 v168, v121, v162
	;; [unrolled: 1-line block ×8, first 2 shown]
	v_pk_mul_f32 v[166:167], v[114:115], v[154:155] op_sel_hi:[0,1]
	s_nop 1
	v_cvt_f32_i32_e32 v169, v168
	v_cvt_f32_i32_e32 v168, v170
	v_mov_b32_e32 v170, 0
	v_pk_fma_f32 v[22:23], v[166:167], v[168:169], v[22:23]
	v_mov_b32_e32 v168, 0
	v_dot4c_i32_i8_e32 v168, v124, v158
	v_dot4c_i32_i8_e32 v168, v125, v162
	;; [unrolled: 1-line block ×8, first 2 shown]
	v_pk_mul_f32 v[166:167], v[116:117], v[154:155] op_sel_hi:[0,1]
	v_pk_mul_f32 v[154:155], v[122:123], v[154:155] op_sel_hi:[0,1]
	s_nop 0
	v_cvt_f32_i32_e32 v169, v168
	v_cvt_f32_i32_e32 v168, v171
	v_mov_b32_e32 v171, 0
	v_pk_fma_f32 v[20:21], v[166:167], v[168:169], v[20:21]
	v_mov_b32_e32 v166, 0
	v_dot4c_i32_i8_e32 v166, v130, v158
	v_dot4c_i32_i8_e32 v166, v131, v162
	;; [unrolled: 1-line block ×8, first 2 shown]
	v_cvt_f32_i32_e32 v158, v172
	v_mov_b32_e32 v168, 0
	v_mov_b32_e32 v172, 0
	v_cvt_f32_i32_e32 v159, v166
	v_mov_b32_e32 v169, 0
	v_pk_fma_f32 v[18:19], v[154:155], v[158:159], v[18:19]
	ds_read_b128 v[158:161], v115 offset:4096
	ds_read_b128 v[162:165], v115 offset:4112
	ds_read2_b32 v[154:155], v113 offset0:128 offset1:160
	s_waitcnt lgkmcnt(2)
	v_dot4c_i32_i8_e32 v168, v126, v158
	v_dot4c_i32_i8_e32 v170, v120, v158
	;; [unrolled: 1-line block ×4, first 2 shown]
	s_waitcnt lgkmcnt(1)
	v_dot4c_i32_i8_e32 v168, v127, v162
	v_dot4c_i32_i8_e32 v170, v121, v162
	v_dot4c_i32_i8_e32 v171, v125, v162
	v_dot4c_i32_i8_e32 v172, v131, v162
	v_dot4c_i32_i8_e32 v168, v134, v159
	v_dot4c_i32_i8_e32 v170, v128, v159
	v_dot4c_i32_i8_e32 v171, v132, v159
	v_dot4c_i32_i8_e32 v172, v138, v159
	v_dot4c_i32_i8_e32 v168, v135, v163
	v_dot4c_i32_i8_e32 v170, v129, v163
	v_dot4c_i32_i8_e32 v171, v133, v163
	v_dot4c_i32_i8_e32 v172, v139, v163
	v_dot4c_i32_i8_e32 v168, v140, v160
	v_dot4c_i32_i8_e32 v170, v136, v160
	v_dot4c_i32_i8_e32 v171, v142, v160
	v_dot4c_i32_i8_e32 v172, v148, v160
	v_dot4c_i32_i8_e32 v168, v141, v164
	v_dot4c_i32_i8_e32 v170, v137, v164
	v_dot4c_i32_i8_e32 v171, v143, v164
	v_dot4c_i32_i8_e32 v172, v149, v164
	v_dot4c_i32_i8_e32 v168, v144, v161
	v_dot4c_i32_i8_e32 v170, v146, v161
	v_dot4c_i32_i8_e32 v171, v150, v161
	v_dot4c_i32_i8_e32 v172, v152, v161
	v_dot4c_i32_i8_e32 v168, v145, v165
	v_dot4c_i32_i8_e32 v170, v147, v165
	v_dot4c_i32_i8_e32 v171, v151, v165
	v_dot4c_i32_i8_e32 v172, v153, v165
	ds_read_b128 v[158:161], v115 offset:5120
	ds_read_b128 v[162:165], v115 offset:5136
	v_cvt_f32_i32_e32 v168, v168
	s_waitcnt lgkmcnt(2)
	v_pk_mul_f32 v[166:167], v[118:119], v[154:155] op_sel_hi:[0,1]
	s_waitcnt lgkmcnt(1)
	v_dot4c_i32_i8_e32 v169, v126, v158
	s_waitcnt lgkmcnt(0)
	v_dot4c_i32_i8_e32 v169, v127, v162
	v_dot4c_i32_i8_e32 v169, v134, v159
	;; [unrolled: 1-line block ×7, first 2 shown]
	s_nop 2
	v_cvt_f32_i32_e32 v169, v169
	v_pk_fma_f32 v[16:17], v[166:167], v[168:169], v[16:17]
	v_mov_b32_e32 v168, 0
	v_dot4c_i32_i8_e32 v168, v120, v158
	v_dot4c_i32_i8_e32 v168, v121, v162
	;; [unrolled: 1-line block ×8, first 2 shown]
	v_pk_mul_f32 v[166:167], v[114:115], v[154:155] op_sel_hi:[0,1]
	s_nop 1
	v_cvt_f32_i32_e32 v169, v168
	v_cvt_f32_i32_e32 v168, v170
	v_mov_b32_e32 v170, 0
	v_pk_fma_f32 v[14:15], v[166:167], v[168:169], v[14:15]
	v_mov_b32_e32 v168, 0
	v_dot4c_i32_i8_e32 v168, v124, v158
	v_dot4c_i32_i8_e32 v168, v125, v162
	;; [unrolled: 1-line block ×8, first 2 shown]
	v_pk_mul_f32 v[166:167], v[116:117], v[154:155] op_sel_hi:[0,1]
	v_pk_mul_f32 v[154:155], v[122:123], v[154:155] op_sel_hi:[0,1]
	s_nop 0
	v_cvt_f32_i32_e32 v169, v168
	v_cvt_f32_i32_e32 v168, v171
	v_pk_fma_f32 v[12:13], v[166:167], v[168:169], v[12:13]
	v_mov_b32_e32 v166, 0
	v_dot4c_i32_i8_e32 v166, v130, v158
	v_dot4c_i32_i8_e32 v166, v131, v162
	;; [unrolled: 1-line block ×8, first 2 shown]
	v_cvt_f32_i32_e32 v158, v172
	v_mov_b32_e32 v167, 0
	v_mov_b32_e32 v168, 0
	v_cvt_f32_i32_e32 v159, v166
	v_mov_b32_e32 v166, 0
	v_mov_b32_e32 v169, 0
	v_pk_fma_f32 v[10:11], v[154:155], v[158:159], v[10:11]
	ds_read_b128 v[158:161], v115 offset:6144
	ds_read_b128 v[162:165], v115 offset:6160
	ds_read2_b32 v[154:155], v113 offset0:192 offset1:224
	v_add_u32_e32 v113, 4, v113
	s_waitcnt lgkmcnt(2)
	v_dot4c_i32_i8_e32 v166, v126, v158
	v_dot4c_i32_i8_e32 v167, v120, v158
	;; [unrolled: 1-line block ×4, first 2 shown]
	s_waitcnt lgkmcnt(1)
	v_dot4c_i32_i8_e32 v166, v127, v162
	v_dot4c_i32_i8_e32 v167, v121, v162
	;; [unrolled: 1-line block ×28, first 2 shown]
	ds_read_b128 v[158:161], v115 offset:7168
	ds_read_b128 v[162:165], v115 offset:7184
	s_waitcnt lgkmcnt(1)
	v_dot4c_i32_i8_e32 v170, v126, v158
	s_waitcnt lgkmcnt(0)
	v_dot4c_i32_i8_e32 v170, v127, v162
	v_pk_mul_f32 v[126:127], v[118:119], v[154:155] op_sel_hi:[0,1]
	v_mov_b32_e32 v118, 0
	v_dot4c_i32_i8_e32 v118, v120, v158
	v_dot4c_i32_i8_e32 v118, v121, v162
	v_pk_mul_f32 v[120:121], v[114:115], v[154:155] op_sel_hi:[0,1]
	v_mov_b32_e32 v114, 0
	v_dot4c_i32_i8_e32 v114, v124, v158
	v_dot4c_i32_i8_e32 v114, v125, v162
	;; [unrolled: 1-line block ×16, first 2 shown]
	v_cvt_f32_i32_e32 v134, v166
	v_cvt_f32_i32_e32 v135, v170
	v_dot4c_i32_i8_e32 v118, v136, v160
	v_cvt_f32_i32_e32 v125, v114
	v_mov_b32_e32 v114, 0
	v_dot4c_i32_i8_e32 v118, v137, v164
	v_dot4c_i32_i8_e32 v114, v130, v158
	;; [unrolled: 1-line block ×6, first 2 shown]
	v_pk_fma_f32 v[8:9], v[126:127], v[134:135], v[8:9]
	v_cvt_f32_i32_e32 v126, v167
	v_cvt_f32_i32_e32 v127, v118
	v_dot4c_i32_i8_e32 v114, v139, v163
	v_cvt_f32_i32_e32 v124, v168
	v_dot4c_i32_i8_e32 v114, v148, v160
	v_dot4c_i32_i8_e32 v114, v149, v164
	;; [unrolled: 1-line block ×3, first 2 shown]
	v_pk_fma_f32 v[6:7], v[120:121], v[126:127], v[6:7]
	v_pk_mul_f32 v[120:121], v[116:117], v[154:155] op_sel_hi:[0,1]
	v_dot4c_i32_i8_e32 v114, v153, v165
	v_pk_fma_f32 v[4:5], v[120:121], v[124:125], v[4:5]
	v_cvt_f32_i32_e32 v124, v169
	v_pk_mul_f32 v[120:121], v[122:123], v[154:155] op_sel_hi:[0,1]
	v_cvt_f32_i32_e32 v125, v114
	v_add_u32_e32 v123, 4, v123
	v_add_u32_e32 v119, 4, v119
	;; [unrolled: 1-line block ×3, first 2 shown]
	v_pk_fma_f32 v[2:3], v[120:121], v[124:125], v[2:3]
	v_add_u32_e32 v115, 32, v115
	s_cbranch_scc1 .LBB122_10
; %bb.11:                               ;   in Loop: Header=BB122_6 Depth=1
	s_barrier
	s_branch .LBB122_5
.LBB122_12:
	v_mov_b32_e32 v26, v27
.LBB122_13:
	v_cmp_gt_u32_e32 vcc, s10, v29
	s_and_saveexec_b64 s[0:1], vcc
	s_cbranch_execz .LBB122_64
; %bb.14:
	v_add_u32_e32 v0, s6, v1
	v_mul_lo_u32 v29, v29, s14
	v_cmp_gt_u32_e32 vcc, s14, v0
	s_and_saveexec_b64 s[2:3], vcc
	s_cbranch_execz .LBB122_16
; %bb.15:
	v_add_u32_e32 v30, v0, v29
	v_mov_b32_e32 v31, 0
	v_lshlrev_b64 v[30:31], 2, v[30:31]
	s_waitcnt lgkmcnt(0)
	v_mov_b32_e32 v1, s13
	v_add_co_u32_e64 v30, s[0:1], s12, v30
	v_addc_co_u32_e64 v31, s[0:1], v1, v31, s[0:1]
	global_store_dword v[30:31], v82, off
.LBB122_16:
	s_or_b64 exec, exec, s[2:3]
	v_add_u32_e32 v1, 32, v0
	v_cmp_gt_u32_e64 s[0:1], s14, v1
	s_and_saveexec_b64 s[4:5], s[0:1]
	s_cbranch_execz .LBB122_18
; %bb.17:
	v_add_u32_e32 v30, v1, v29
	v_mov_b32_e32 v31, 0
	v_lshlrev_b64 v[30:31], 2, v[30:31]
	s_waitcnt lgkmcnt(0)
	v_mov_b32_e32 v27, s13
	v_add_co_u32_e64 v30, s[2:3], s12, v30
	v_addc_co_u32_e64 v31, s[2:3], v27, v31, s[2:3]
	global_store_dword v[30:31], v70, off
.LBB122_18:
	s_or_b64 exec, exec, s[4:5]
	v_add_u32_e32 v27, 64, v0
	v_cmp_gt_u32_e64 s[2:3], s14, v27
	s_and_saveexec_b64 s[6:7], s[2:3]
	s_cbranch_execz .LBB122_20
; %bb.19:
	v_add_u32_e32 v30, v27, v29
	v_mov_b32_e32 v31, 0
	v_lshlrev_b64 v[30:31], 2, v[30:31]
	s_waitcnt lgkmcnt(0)
	v_mov_b32_e32 v28, s13
	v_add_co_u32_e64 v30, s[4:5], s12, v30
	v_addc_co_u32_e64 v31, s[4:5], v28, v31, s[4:5]
	global_store_dword v[30:31], v52, off
.LBB122_20:
	s_or_b64 exec, exec, s[6:7]
	v_add_u32_e32 v28, 0x60, v0
	v_cmp_gt_u32_e64 s[4:5], s14, v28
	s_and_saveexec_b64 s[8:9], s[4:5]
	s_cbranch_execz .LBB122_22
; %bb.21:
	v_add_u32_e32 v30, v28, v29
	v_mov_b32_e32 v31, 0
	v_lshlrev_b64 v[30:31], 2, v[30:31]
	s_waitcnt lgkmcnt(0)
	v_mov_b32_e32 v29, s13
	v_add_co_u32_e64 v30, s[6:7], s12, v30
	v_addc_co_u32_e64 v31, s[6:7], v29, v31, s[6:7]
	global_store_dword v[30:31], v34, off
.LBB122_22:
	s_or_b64 exec, exec, s[8:9]
	v_add3_u32 v29, v26, s15, 8
	v_cmp_gt_u32_e64 s[6:7], s10, v29
	s_and_b64 exec, exec, s[6:7]
	s_cbranch_execz .LBB122_64
; %bb.23:
	v_mul_lo_u32 v29, v29, s14
	s_and_saveexec_b64 s[8:9], vcc
	s_cbranch_execnz .LBB122_65
; %bb.24:
	s_or_b64 exec, exec, s[8:9]
	s_and_saveexec_b64 s[8:9], s[0:1]
	s_cbranch_execnz .LBB122_66
.LBB122_25:
	s_or_b64 exec, exec, s[8:9]
	s_and_saveexec_b64 s[8:9], s[2:3]
	s_cbranch_execnz .LBB122_67
.LBB122_26:
	s_or_b64 exec, exec, s[8:9]
	s_and_saveexec_b64 s[8:9], s[4:5]
	s_cbranch_execz .LBB122_28
.LBB122_27:
	v_add_u32_e32 v30, v29, v28
	v_mov_b32_e32 v31, 0
	v_lshlrev_b64 v[30:31], 2, v[30:31]
	s_waitcnt lgkmcnt(0)
	v_mov_b32_e32 v29, s13
	v_add_co_u32_e64 v30, s[6:7], s12, v30
	v_addc_co_u32_e64 v31, s[6:7], v29, v31, s[6:7]
	global_store_dword v[30:31], v35, off
.LBB122_28:
	s_or_b64 exec, exec, s[8:9]
	v_add3_u32 v29, v26, s15, 16
	v_cmp_gt_u32_e64 s[6:7], s10, v29
	s_and_b64 exec, exec, s[6:7]
	s_cbranch_execz .LBB122_64
; %bb.29:
	v_mul_lo_u32 v29, v29, s14
	s_and_saveexec_b64 s[8:9], vcc
	s_cbranch_execnz .LBB122_68
; %bb.30:
	s_or_b64 exec, exec, s[8:9]
	s_and_saveexec_b64 s[8:9], s[0:1]
	s_cbranch_execnz .LBB122_69
.LBB122_31:
	s_or_b64 exec, exec, s[8:9]
	s_and_saveexec_b64 s[8:9], s[2:3]
	s_cbranch_execnz .LBB122_70
.LBB122_32:
	s_or_b64 exec, exec, s[8:9]
	s_and_saveexec_b64 s[8:9], s[4:5]
	s_cbranch_execz .LBB122_34
.LBB122_33:
	v_add_u32_e32 v30, v29, v28
	v_mov_b32_e32 v31, 0
	v_lshlrev_b64 v[30:31], 2, v[30:31]
	s_waitcnt lgkmcnt(0)
	v_mov_b32_e32 v20, s13
	v_add_co_u32_e64 v30, s[6:7], s12, v30
	v_addc_co_u32_e64 v31, s[6:7], v20, v31, s[6:7]
	global_store_dword v[30:31], v18, off
.LBB122_34:
	s_or_b64 exec, exec, s[8:9]
	v_add3_u32 v18, v26, s15, 24
	v_cmp_gt_u32_e64 s[6:7], s10, v18
	s_and_b64 exec, exec, s[6:7]
	s_cbranch_execz .LBB122_64
; %bb.35:
	v_mul_lo_u32 v18, v18, s14
	s_and_saveexec_b64 s[8:9], vcc
	s_cbranch_execnz .LBB122_71
; %bb.36:
	s_or_b64 exec, exec, s[8:9]
	s_and_saveexec_b64 s[8:9], s[0:1]
	s_cbranch_execnz .LBB122_72
.LBB122_37:
	s_or_b64 exec, exec, s[8:9]
	s_and_saveexec_b64 s[8:9], s[2:3]
	s_cbranch_execnz .LBB122_73
.LBB122_38:
	s_or_b64 exec, exec, s[8:9]
	s_and_saveexec_b64 s[8:9], s[4:5]
	s_cbranch_execz .LBB122_40
.LBB122_39:
	v_add_u32_e32 v20, v18, v28
	v_mov_b32_e32 v21, 0
	v_lshlrev_b64 v[20:21], 2, v[20:21]
	s_waitcnt lgkmcnt(0)
	v_mov_b32_e32 v18, s13
	v_add_co_u32_e64 v20, s[6:7], s12, v20
	v_addc_co_u32_e64 v21, s[6:7], v18, v21, s[6:7]
	global_store_dword v[20:21], v19, off
.LBB122_40:
	s_or_b64 exec, exec, s[8:9]
	v_add3_u32 v18, v26, s15, 32
	v_cmp_gt_u32_e64 s[6:7], s10, v18
	s_and_b64 exec, exec, s[6:7]
	s_cbranch_execz .LBB122_64
; %bb.41:
	v_mul_lo_u32 v18, v18, s14
	s_and_saveexec_b64 s[8:9], vcc
	s_cbranch_execnz .LBB122_74
; %bb.42:
	s_or_b64 exec, exec, s[8:9]
	s_and_saveexec_b64 s[8:9], s[0:1]
	s_cbranch_execnz .LBB122_75
.LBB122_43:
	s_or_b64 exec, exec, s[8:9]
	s_and_saveexec_b64 s[8:9], s[2:3]
	s_cbranch_execnz .LBB122_76
.LBB122_44:
	s_or_b64 exec, exec, s[8:9]
	s_and_saveexec_b64 s[8:9], s[4:5]
	s_cbranch_execz .LBB122_46
.LBB122_45:
	v_add_u32_e32 v18, v18, v28
	v_mov_b32_e32 v19, 0
	v_lshlrev_b64 v[18:19], 2, v[18:19]
	s_waitcnt lgkmcnt(0)
	v_mov_b32_e32 v12, s13
	v_add_co_u32_e64 v18, s[6:7], s12, v18
	v_addc_co_u32_e64 v19, s[6:7], v12, v19, s[6:7]
	global_store_dword v[18:19], v10, off
.LBB122_46:
	s_or_b64 exec, exec, s[8:9]
	v_add3_u32 v10, v26, s15, 40
	v_cmp_gt_u32_e64 s[6:7], s10, v10
	s_and_b64 exec, exec, s[6:7]
	s_cbranch_execz .LBB122_64
; %bb.47:
	v_mul_lo_u32 v10, v10, s14
	s_and_saveexec_b64 s[8:9], vcc
	s_cbranch_execnz .LBB122_77
; %bb.48:
	s_or_b64 exec, exec, s[8:9]
	s_and_saveexec_b64 s[8:9], s[0:1]
	s_cbranch_execnz .LBB122_78
.LBB122_49:
	s_or_b64 exec, exec, s[8:9]
	s_and_saveexec_b64 s[8:9], s[2:3]
	s_cbranch_execnz .LBB122_79
.LBB122_50:
	s_or_b64 exec, exec, s[8:9]
	s_and_saveexec_b64 s[8:9], s[4:5]
	s_cbranch_execz .LBB122_52
.LBB122_51:
	v_add_u32_e32 v12, v10, v28
	v_mov_b32_e32 v13, 0
	v_lshlrev_b64 v[12:13], 2, v[12:13]
	s_waitcnt lgkmcnt(0)
	v_mov_b32_e32 v10, s13
	v_add_co_u32_e64 v12, s[6:7], s12, v12
	v_addc_co_u32_e64 v13, s[6:7], v10, v13, s[6:7]
	global_store_dword v[12:13], v11, off
.LBB122_52:
	s_or_b64 exec, exec, s[8:9]
	v_add3_u32 v10, v26, s15, 48
	v_cmp_gt_u32_e64 s[6:7], s10, v10
	s_and_b64 exec, exec, s[6:7]
	s_cbranch_execz .LBB122_64
; %bb.53:
	v_mul_lo_u32 v10, v10, s14
	s_and_saveexec_b64 s[8:9], vcc
	s_cbranch_execnz .LBB122_80
; %bb.54:
	s_or_b64 exec, exec, s[8:9]
	s_and_saveexec_b64 s[8:9], s[0:1]
	s_cbranch_execnz .LBB122_81
.LBB122_55:
	s_or_b64 exec, exec, s[8:9]
	s_and_saveexec_b64 s[8:9], s[2:3]
	s_cbranch_execnz .LBB122_82
.LBB122_56:
	s_or_b64 exec, exec, s[8:9]
	s_and_saveexec_b64 s[8:9], s[4:5]
	s_cbranch_execz .LBB122_58
.LBB122_57:
	v_add_u32_e32 v10, v10, v28
	v_mov_b32_e32 v11, 0
	v_lshlrev_b64 v[10:11], 2, v[10:11]
	s_waitcnt lgkmcnt(0)
	v_mov_b32_e32 v4, s13
	v_add_co_u32_e64 v10, s[6:7], s12, v10
	v_addc_co_u32_e64 v11, s[6:7], v4, v11, s[6:7]
	global_store_dword v[10:11], v2, off
.LBB122_58:
	s_or_b64 exec, exec, s[8:9]
	v_add3_u32 v2, v26, s15, 56
	v_cmp_gt_u32_e64 s[6:7], s10, v2
	s_and_b64 exec, exec, s[6:7]
	s_cbranch_execz .LBB122_64
; %bb.59:
	v_mul_lo_u32 v2, v2, s14
	s_and_saveexec_b64 s[6:7], vcc
	s_cbranch_execnz .LBB122_83
; %bb.60:
	s_or_b64 exec, exec, s[6:7]
	s_and_saveexec_b64 s[6:7], s[0:1]
	s_cbranch_execnz .LBB122_84
.LBB122_61:
	s_or_b64 exec, exec, s[6:7]
	s_and_saveexec_b64 s[0:1], s[2:3]
	s_cbranch_execnz .LBB122_85
.LBB122_62:
	s_or_b64 exec, exec, s[0:1]
	s_and_b64 exec, exec, s[4:5]
	s_cbranch_execz .LBB122_64
.LBB122_63:
	v_add_u32_e32 v0, v2, v28
	v_mov_b32_e32 v1, 0
	v_lshlrev_b64 v[0:1], 2, v[0:1]
	s_waitcnt lgkmcnt(0)
	v_mov_b32_e32 v2, s13
	v_add_co_u32_e32 v0, vcc, s12, v0
	v_addc_co_u32_e32 v1, vcc, v2, v1, vcc
	global_store_dword v[0:1], v3, off
.LBB122_64:
	s_endpgm
.LBB122_65:
	v_add_u32_e32 v30, v29, v0
	v_mov_b32_e32 v31, 0
	v_lshlrev_b64 v[30:31], 2, v[30:31]
	s_waitcnt lgkmcnt(0)
	v_mov_b32_e32 v32, s13
	v_add_co_u32_e64 v30, s[6:7], s12, v30
	v_addc_co_u32_e64 v31, s[6:7], v32, v31, s[6:7]
	global_store_dword v[30:31], v83, off
	s_or_b64 exec, exec, s[8:9]
	s_and_saveexec_b64 s[8:9], s[0:1]
	s_cbranch_execz .LBB122_25
.LBB122_66:
	v_add_u32_e32 v30, v29, v1
	v_mov_b32_e32 v31, 0
	v_lshlrev_b64 v[30:31], 2, v[30:31]
	s_waitcnt lgkmcnt(0)
	v_mov_b32_e32 v32, s13
	v_add_co_u32_e64 v30, s[6:7], s12, v30
	v_addc_co_u32_e64 v31, s[6:7], v32, v31, s[6:7]
	global_store_dword v[30:31], v71, off
	s_or_b64 exec, exec, s[8:9]
	s_and_saveexec_b64 s[8:9], s[2:3]
	s_cbranch_execz .LBB122_26
.LBB122_67:
	v_add_u32_e32 v30, v29, v27
	v_mov_b32_e32 v31, 0
	v_lshlrev_b64 v[30:31], 2, v[30:31]
	s_waitcnt lgkmcnt(0)
	v_mov_b32_e32 v32, s13
	v_add_co_u32_e64 v30, s[6:7], s12, v30
	v_addc_co_u32_e64 v31, s[6:7], v32, v31, s[6:7]
	global_store_dword v[30:31], v53, off
	s_or_b64 exec, exec, s[8:9]
	s_and_saveexec_b64 s[8:9], s[4:5]
	s_cbranch_execnz .LBB122_27
	s_branch .LBB122_28
.LBB122_68:
	v_add_u32_e32 v30, v29, v0
	v_mov_b32_e32 v31, 0
	v_lshlrev_b64 v[30:31], 2, v[30:31]
	s_waitcnt lgkmcnt(0)
	v_mov_b32_e32 v32, s13
	v_add_co_u32_e64 v30, s[6:7], s12, v30
	v_addc_co_u32_e64 v31, s[6:7], v32, v31, s[6:7]
	global_store_dword v[30:31], v24, off
	s_or_b64 exec, exec, s[8:9]
	s_and_saveexec_b64 s[8:9], s[0:1]
	s_cbranch_execz .LBB122_31
.LBB122_69:
	v_add_u32_e32 v30, v29, v1
	v_mov_b32_e32 v31, 0
	v_lshlrev_b64 v[30:31], 2, v[30:31]
	s_waitcnt lgkmcnt(0)
	v_mov_b32_e32 v24, s13
	v_add_co_u32_e64 v30, s[6:7], s12, v30
	v_addc_co_u32_e64 v31, s[6:7], v24, v31, s[6:7]
	global_store_dword v[30:31], v22, off
	s_or_b64 exec, exec, s[8:9]
	s_and_saveexec_b64 s[8:9], s[2:3]
	s_cbranch_execz .LBB122_32
.LBB122_70:
	v_add_u32_e32 v30, v29, v27
	v_mov_b32_e32 v31, 0
	v_lshlrev_b64 v[30:31], 2, v[30:31]
	s_waitcnt lgkmcnt(0)
	v_mov_b32_e32 v22, s13
	v_add_co_u32_e64 v30, s[6:7], s12, v30
	v_addc_co_u32_e64 v31, s[6:7], v22, v31, s[6:7]
	global_store_dword v[30:31], v20, off
	s_or_b64 exec, exec, s[8:9]
	s_and_saveexec_b64 s[8:9], s[4:5]
	s_cbranch_execnz .LBB122_33
	s_branch .LBB122_34
.LBB122_71:
	v_add_u32_e32 v30, v18, v0
	v_mov_b32_e32 v31, 0
	v_lshlrev_b64 v[30:31], 2, v[30:31]
	s_waitcnt lgkmcnt(0)
	v_mov_b32_e32 v20, s13
	v_add_co_u32_e64 v30, s[6:7], s12, v30
	v_addc_co_u32_e64 v31, s[6:7], v20, v31, s[6:7]
	global_store_dword v[30:31], v25, off
	s_or_b64 exec, exec, s[8:9]
	s_and_saveexec_b64 s[8:9], s[0:1]
	s_cbranch_execz .LBB122_37
.LBB122_72:
	v_add_u32_e32 v24, v18, v1
	v_mov_b32_e32 v25, 0
	v_lshlrev_b64 v[24:25], 2, v[24:25]
	s_waitcnt lgkmcnt(0)
	v_mov_b32_e32 v20, s13
	v_add_co_u32_e64 v24, s[6:7], s12, v24
	v_addc_co_u32_e64 v25, s[6:7], v20, v25, s[6:7]
	global_store_dword v[24:25], v23, off
	s_or_b64 exec, exec, s[8:9]
	s_and_saveexec_b64 s[8:9], s[2:3]
	s_cbranch_execz .LBB122_38
.LBB122_73:
	v_add_u32_e32 v22, v18, v27
	v_mov_b32_e32 v23, 0
	v_lshlrev_b64 v[22:23], 2, v[22:23]
	s_waitcnt lgkmcnt(0)
	v_mov_b32_e32 v20, s13
	v_add_co_u32_e64 v22, s[6:7], s12, v22
	v_addc_co_u32_e64 v23, s[6:7], v20, v23, s[6:7]
	global_store_dword v[22:23], v21, off
	s_or_b64 exec, exec, s[8:9]
	s_and_saveexec_b64 s[8:9], s[4:5]
	s_cbranch_execnz .LBB122_39
	s_branch .LBB122_40
.LBB122_74:
	v_add_u32_e32 v20, v18, v0
	v_mov_b32_e32 v21, 0
	v_lshlrev_b64 v[20:21], 2, v[20:21]
	s_waitcnt lgkmcnt(0)
	v_mov_b32_e32 v19, s13
	v_add_co_u32_e64 v20, s[6:7], s12, v20
	v_addc_co_u32_e64 v21, s[6:7], v19, v21, s[6:7]
	global_store_dword v[20:21], v16, off
	s_or_b64 exec, exec, s[8:9]
	s_and_saveexec_b64 s[8:9], s[0:1]
	s_cbranch_execz .LBB122_43
.LBB122_75:
	v_add_u32_e32 v20, v18, v1
	v_mov_b32_e32 v21, 0
	v_lshlrev_b64 v[20:21], 2, v[20:21]
	s_waitcnt lgkmcnt(0)
	v_mov_b32_e32 v16, s13
	v_add_co_u32_e64 v20, s[6:7], s12, v20
	v_addc_co_u32_e64 v21, s[6:7], v16, v21, s[6:7]
	global_store_dword v[20:21], v14, off
	s_or_b64 exec, exec, s[8:9]
	s_and_saveexec_b64 s[8:9], s[2:3]
	s_cbranch_execz .LBB122_44
.LBB122_76:
	v_add_u32_e32 v20, v18, v27
	v_mov_b32_e32 v21, 0
	v_lshlrev_b64 v[20:21], 2, v[20:21]
	s_waitcnt lgkmcnt(0)
	v_mov_b32_e32 v14, s13
	v_add_co_u32_e64 v20, s[6:7], s12, v20
	v_addc_co_u32_e64 v21, s[6:7], v14, v21, s[6:7]
	global_store_dword v[20:21], v12, off
	s_or_b64 exec, exec, s[8:9]
	s_and_saveexec_b64 s[8:9], s[4:5]
	s_cbranch_execnz .LBB122_45
	s_branch .LBB122_46
.LBB122_77:
	v_add_u32_e32 v18, v10, v0
	v_mov_b32_e32 v19, 0
	v_lshlrev_b64 v[18:19], 2, v[18:19]
	s_waitcnt lgkmcnt(0)
	v_mov_b32_e32 v12, s13
	v_add_co_u32_e64 v18, s[6:7], s12, v18
	v_addc_co_u32_e64 v19, s[6:7], v12, v19, s[6:7]
	global_store_dword v[18:19], v17, off
	s_or_b64 exec, exec, s[8:9]
	s_and_saveexec_b64 s[8:9], s[0:1]
	s_cbranch_execz .LBB122_49
.LBB122_78:
	v_add_u32_e32 v16, v10, v1
	v_mov_b32_e32 v17, 0
	v_lshlrev_b64 v[16:17], 2, v[16:17]
	s_waitcnt lgkmcnt(0)
	v_mov_b32_e32 v12, s13
	v_add_co_u32_e64 v16, s[6:7], s12, v16
	v_addc_co_u32_e64 v17, s[6:7], v12, v17, s[6:7]
	global_store_dword v[16:17], v15, off
	s_or_b64 exec, exec, s[8:9]
	s_and_saveexec_b64 s[8:9], s[2:3]
	s_cbranch_execz .LBB122_50
.LBB122_79:
	v_add_u32_e32 v14, v10, v27
	v_mov_b32_e32 v15, 0
	v_lshlrev_b64 v[14:15], 2, v[14:15]
	s_waitcnt lgkmcnt(0)
	v_mov_b32_e32 v12, s13
	v_add_co_u32_e64 v14, s[6:7], s12, v14
	v_addc_co_u32_e64 v15, s[6:7], v12, v15, s[6:7]
	global_store_dword v[14:15], v13, off
	s_or_b64 exec, exec, s[8:9]
	s_and_saveexec_b64 s[8:9], s[4:5]
	s_cbranch_execnz .LBB122_51
	s_branch .LBB122_52
.LBB122_80:
	v_add_u32_e32 v12, v10, v0
	v_mov_b32_e32 v13, 0
	v_lshlrev_b64 v[12:13], 2, v[12:13]
	s_waitcnt lgkmcnt(0)
	v_mov_b32_e32 v11, s13
	v_add_co_u32_e64 v12, s[6:7], s12, v12
	v_addc_co_u32_e64 v13, s[6:7], v11, v13, s[6:7]
	global_store_dword v[12:13], v8, off
	s_or_b64 exec, exec, s[8:9]
	s_and_saveexec_b64 s[8:9], s[0:1]
	s_cbranch_execz .LBB122_55
.LBB122_81:
	v_add_u32_e32 v12, v10, v1
	v_mov_b32_e32 v13, 0
	v_lshlrev_b64 v[12:13], 2, v[12:13]
	s_waitcnt lgkmcnt(0)
	v_mov_b32_e32 v8, s13
	v_add_co_u32_e64 v12, s[6:7], s12, v12
	v_addc_co_u32_e64 v13, s[6:7], v8, v13, s[6:7]
	global_store_dword v[12:13], v6, off
	s_or_b64 exec, exec, s[8:9]
	s_and_saveexec_b64 s[8:9], s[2:3]
	s_cbranch_execz .LBB122_56
.LBB122_82:
	v_add_u32_e32 v12, v10, v27
	v_mov_b32_e32 v13, 0
	v_lshlrev_b64 v[12:13], 2, v[12:13]
	s_waitcnt lgkmcnt(0)
	v_mov_b32_e32 v6, s13
	v_add_co_u32_e64 v12, s[6:7], s12, v12
	v_addc_co_u32_e64 v13, s[6:7], v6, v13, s[6:7]
	global_store_dword v[12:13], v4, off
	s_or_b64 exec, exec, s[8:9]
	s_and_saveexec_b64 s[8:9], s[4:5]
	s_cbranch_execnz .LBB122_57
	s_branch .LBB122_58
.LBB122_83:
	v_add_u32_e32 v10, v2, v0
	v_mov_b32_e32 v11, 0
	v_lshlrev_b64 v[10:11], 2, v[10:11]
	s_waitcnt lgkmcnt(0)
	v_mov_b32_e32 v0, s13
	v_add_co_u32_e32 v10, vcc, s12, v10
	v_addc_co_u32_e32 v11, vcc, v0, v11, vcc
	global_store_dword v[10:11], v9, off
	s_or_b64 exec, exec, s[6:7]
	s_and_saveexec_b64 s[6:7], s[0:1]
	s_cbranch_execz .LBB122_61
.LBB122_84:
	v_add_u32_e32 v0, v2, v1
	v_mov_b32_e32 v1, 0
	v_lshlrev_b64 v[0:1], 2, v[0:1]
	s_waitcnt lgkmcnt(0)
	v_mov_b32_e32 v4, s13
	v_add_co_u32_e32 v0, vcc, s12, v0
	v_addc_co_u32_e32 v1, vcc, v4, v1, vcc
	global_store_dword v[0:1], v7, off
	s_or_b64 exec, exec, s[6:7]
	s_and_saveexec_b64 s[0:1], s[2:3]
	s_cbranch_execz .LBB122_62
.LBB122_85:
	v_add_u32_e32 v0, v2, v27
	v_mov_b32_e32 v1, 0
	v_lshlrev_b64 v[0:1], 2, v[0:1]
	s_waitcnt lgkmcnt(0)
	v_mov_b32_e32 v4, s13
	v_add_co_u32_e32 v0, vcc, s12, v0
	v_addc_co_u32_e32 v1, vcc, v4, v1, vcc
	global_store_dword v[0:1], v5, off
	s_or_b64 exec, exec, s[0:1]
	s_and_b64 exec, exec, s[4:5]
	s_cbranch_execnz .LBB122_63
	s_branch .LBB122_64
	.section	.rodata,"a",@progbits
	.p2align	6, 0x0
	.amdhsa_kernel _ZL12mul_mat_q5_0IfLb1EEvPKvS1_PT_iiiii
		.amdhsa_group_segment_fixed_size 46720
		.amdhsa_private_segment_fixed_size 0
		.amdhsa_kernarg_size 44
		.amdhsa_user_sgpr_count 6
		.amdhsa_user_sgpr_private_segment_buffer 1
		.amdhsa_user_sgpr_dispatch_ptr 0
		.amdhsa_user_sgpr_queue_ptr 0
		.amdhsa_user_sgpr_kernarg_segment_ptr 1
		.amdhsa_user_sgpr_dispatch_id 0
		.amdhsa_user_sgpr_flat_scratch_init 0
		.amdhsa_user_sgpr_kernarg_preload_length 0
		.amdhsa_user_sgpr_kernarg_preload_offset 0
		.amdhsa_user_sgpr_private_segment_size 0
		.amdhsa_uses_dynamic_stack 0
		.amdhsa_system_sgpr_private_segment_wavefront_offset 0
		.amdhsa_system_sgpr_workgroup_id_x 1
		.amdhsa_system_sgpr_workgroup_id_y 1
		.amdhsa_system_sgpr_workgroup_id_z 0
		.amdhsa_system_sgpr_workgroup_info 0
		.amdhsa_system_vgpr_workitem_id 1
		.amdhsa_next_free_vgpr 175
		.amdhsa_next_free_sgpr 20
		.amdhsa_accum_offset 176
		.amdhsa_reserve_vcc 1
		.amdhsa_reserve_flat_scratch 0
		.amdhsa_float_round_mode_32 0
		.amdhsa_float_round_mode_16_64 0
		.amdhsa_float_denorm_mode_32 3
		.amdhsa_float_denorm_mode_16_64 3
		.amdhsa_dx10_clamp 1
		.amdhsa_ieee_mode 1
		.amdhsa_fp16_overflow 0
		.amdhsa_tg_split 0
		.amdhsa_exception_fp_ieee_invalid_op 0
		.amdhsa_exception_fp_denorm_src 0
		.amdhsa_exception_fp_ieee_div_zero 0
		.amdhsa_exception_fp_ieee_overflow 0
		.amdhsa_exception_fp_ieee_underflow 0
		.amdhsa_exception_fp_ieee_inexact 0
		.amdhsa_exception_int_div_zero 0
	.end_amdhsa_kernel
	.section	.text._ZL12mul_mat_q5_0IfLb1EEvPKvS1_PT_iiiii,"axG",@progbits,_ZL12mul_mat_q5_0IfLb1EEvPKvS1_PT_iiiii,comdat
.Lfunc_end122:
	.size	_ZL12mul_mat_q5_0IfLb1EEvPKvS1_PT_iiiii, .Lfunc_end122-_ZL12mul_mat_q5_0IfLb1EEvPKvS1_PT_iiiii
                                        ; -- End function
	.section	.AMDGPU.csdata,"",@progbits
; Kernel info:
; codeLenInByte = 15048
; NumSgprs: 24
; NumVgprs: 175
; NumAgprs: 0
; TotalNumVgprs: 175
; ScratchSize: 0
; MemoryBound: 0
; FloatMode: 240
; IeeeMode: 1
; LDSByteSize: 46720 bytes/workgroup (compile time only)
; SGPRBlocks: 2
; VGPRBlocks: 21
; NumSGPRsForWavesPerEU: 24
; NumVGPRsForWavesPerEU: 175
; AccumOffset: 176
; Occupancy: 1
; WaveLimiterHint : 0
; COMPUTE_PGM_RSRC2:SCRATCH_EN: 0
; COMPUTE_PGM_RSRC2:USER_SGPR: 6
; COMPUTE_PGM_RSRC2:TRAP_HANDLER: 0
; COMPUTE_PGM_RSRC2:TGID_X_EN: 1
; COMPUTE_PGM_RSRC2:TGID_Y_EN: 1
; COMPUTE_PGM_RSRC2:TGID_Z_EN: 0
; COMPUTE_PGM_RSRC2:TIDIG_COMP_CNT: 1
; COMPUTE_PGM_RSRC3_GFX90A:ACCUM_OFFSET: 43
; COMPUTE_PGM_RSRC3_GFX90A:TG_SPLIT: 0
	.section	.text._ZL12mul_mat_q5_1IfLb0EEvPKvS1_PT_iiiii,"axG",@progbits,_ZL12mul_mat_q5_1IfLb0EEvPKvS1_PT_iiiii,comdat
	.globl	_ZL12mul_mat_q5_1IfLb0EEvPKvS1_PT_iiiii ; -- Begin function _ZL12mul_mat_q5_1IfLb0EEvPKvS1_PT_iiiii
	.p2align	8
	.type	_ZL12mul_mat_q5_1IfLb0EEvPKvS1_PT_iiiii,@function
_ZL12mul_mat_q5_1IfLb0EEvPKvS1_PT_iiiii: ; @_ZL12mul_mat_q5_1IfLb0EEvPKvS1_PT_iiiii
; %bb.0:
	s_load_dword s14, s[4:5], 0x18
	s_load_dwordx4 s[8:11], s[4:5], 0x20
	s_waitcnt lgkmcnt(0)
	s_lshl_b32 s11, s7, 6
	v_bfe_u32 v84, v0, 10, 10
	s_cmp_gt_i32 s14, 31
	s_cbranch_scc1 .LBB123_2
; %bb.1:
	v_bfe_u32 v2, v0, 10, 10
	v_and_b32_e32 v45, 0x3ff, v0
	v_add_u32_e32 v89, s11, v2
	s_mov_b64 s[0:1], 0
	s_mov_b32 s2, 0
	s_branch .LBB123_3
.LBB123_2:
	s_mov_b64 s[0:1], -1
                                        ; implicit-def: $sgpr2
                                        ; implicit-def: $vgpr2
                                        ; implicit-def: $vgpr45
                                        ; implicit-def: $vgpr89
.LBB123_3:
	s_load_dwordx2 s[12:13], s[4:5], 0x10
	s_lshl_b32 s6, s6, 7
	s_andn2_b64 vcc, exec, s[0:1]
	v_mov_b32_e32 v1, s2
	v_mov_b32_e32 v9, s2
	v_mov_b32_e32 v17, s2
	v_mov_b32_e32 v25, s2
	v_mov_b32_e32 v33, s2
	v_mov_b32_e32 v41, s2
	v_mov_b32_e32 v87, s2
	v_mov_b32_e32 v93, s2
	v_mov_b32_e32 v3, s2
	v_mov_b32_e32 v11, s2
	v_mov_b32_e32 v19, s2
	v_mov_b32_e32 v27, s2
	v_mov_b32_e32 v35, s2
	v_mov_b32_e32 v43, s2
	v_mov_b32_e32 v88, s2
	v_mov_b32_e32 v101, s2
	v_mov_b32_e32 v5, s2
	v_mov_b32_e32 v13, s2
	v_mov_b32_e32 v21, s2
	v_mov_b32_e32 v29, s2
	v_mov_b32_e32 v37, s2
	v_mov_b32_e32 v49, s2
	v_mov_b32_e32 v90, s2
	v_mov_b32_e32 v109, s2
	v_mov_b32_e32 v7, s2
	v_mov_b32_e32 v15, s2
	v_mov_b32_e32 v23, s2
	v_mov_b32_e32 v31, s2
	v_mov_b32_e32 v39, s2
	v_mov_b32_e32 v85, s2
	v_mov_b32_e32 v91, s2
	v_mov_b32_e32 v86, s2
	s_cbranch_vccnz .LBB123_13
; %bb.4:
	s_load_dwordx4 s[0:3], s[4:5], 0x0
	s_ashr_i32 s4, s14, 31
	s_lshr_b32 s4, s4, 27
	s_ashr_i32 s5, s9, 31
	s_add_i32 s14, s14, s4
	s_lshr_b32 s5, s5, 27
	s_ashr_i32 s4, s14, 5
	s_add_i32 s5, s9, s5
	s_ashr_i32 s15, s5, 5
	s_mul_i32 s5, s4, s6
	s_mul_hi_i32 s7, s5, 24
	s_mul_i32 s5, s5, 24
	s_waitcnt lgkmcnt(0)
	s_add_u32 s5, s0, s5
	s_addc_u32 s7, s1, s7
	v_mul_lo_u32 v4, s4, v84
	s_lshl_b32 s0, s4, 3
	v_add_u32_e32 v6, s0, v4
	v_add_u32_e32 v8, s0, v6
	;; [unrolled: 1-line block ×10, first 2 shown]
	v_and_b32_e32 v45, 0x3ff, v0
	v_add_u32_e32 v26, s0, v24
	v_lshlrev_b32_e32 v1, 3, v45
	s_movk_i32 s16, 0x104
	v_add_u32_e32 v28, s0, v26
	v_lshrrev_b32_e32 v111, 3, v45
	v_lshlrev_b32_e32 v19, 2, v45
	v_lshrrev_b32_e32 v0, 2, v45
	v_mad_u32_u24 v92, v84, s16, v1
	v_add_u32_e32 v30, s0, v28
	v_lshl_add_u32 v1, v84, 2, v111
	v_and_b32_e32 v19, 28, v19
	v_add_u32_e32 v32, s0, v30
	v_and_b32_e32 v36, 7, v45
	v_mul_lo_u32 v38, s4, v1
	v_and_b32_e32 v3, 0x7fc, v1
	v_lshlrev_b32_e32 v7, 5, v1
	v_add_u32_e32 v9, 32, v1
	v_add_u32_e32 v13, 64, v1
	;; [unrolled: 1-line block ×3, first 2 shown]
	v_add_co_u32_e32 v46, vcc, s2, v19
	v_lshl_add_u32 v19, v84, 3, v0
	v_add_u32_e32 v34, s0, v32
	v_lshlrev_b32_e32 v5, 2, v36
	s_mov_b32 s0, 0xa200
	v_and_b32_e32 v11, 0xffc, v9
	v_and_b32_e32 v15, 0xffc, v13
	;; [unrolled: 1-line block ×3, first 2 shown]
	v_mov_b32_e32 v21, s3
	v_and_b32_e32 v19, 63, v19
	v_and_b32_e32 v48, 3, v45
	v_add3_u32 v3, v3, v5, s0
	v_add3_u32 v11, v11, v5, s0
	;; [unrolled: 1-line block ×4, first 2 shown]
	v_add_u32_e32 v89, s11, v84
	s_add_i32 s0, s8, -1
	v_addc_co_u32_e32 v47, vcc, 0, v21, vcc
	v_or_b32_e32 v21, s11, v19
	v_lshlrev_b32_e32 v2, 2, v48
	v_cvt_f64_i32_e32 v[50:51], s0
	v_min_i32_e32 v21, s0, v21
	v_cvt_f64_u32_e32 v[52:53], v89
	v_mad_u64_u32 v[48:49], s[0:1], v21, s15, v[48:49]
	v_lshl_or_b32 v19, v19, 4, v2
	v_min_f64 v[52:53], v[52:53], v[50:51]
	v_add_u32_e32 v21, 8, v89
	v_add_u32_e32 v112, 0xb280, v19
	v_cvt_i32_f64_e32 v19, v[52:53]
	v_cvt_f64_u32_e32 v[52:53], v21
	v_min_f64 v[52:53], v[52:53], v[50:51]
	v_cvt_i32_f64_e32 v21, v[52:53]
	v_mul_lo_u32 v115, s15, v21
	v_add_u32_e32 v21, 16, v89
	v_cvt_f64_u32_e32 v[52:53], v21
	v_min_f64 v[52:53], v[52:53], v[50:51]
	v_cvt_i32_f64_e32 v21, v[52:53]
	v_mul_lo_u32 v117, s15, v21
	v_add_u32_e32 v21, 24, v89
	;; [unrolled: 5-line block ×6, first 2 shown]
	v_and_b32_e32 v17, 31, v45
	v_mul_lo_u32 v113, s15, v19
	v_lshlrev_b32_e32 v19, 7, v84
	v_cvt_f64_u32_e32 v[52:53], v21
	v_lshl_or_b32 v17, v17, 2, v19
	v_min_f64 v[50:51], v[52:53], v[50:51]
	v_add_u32_e32 v114, 0x8200, v17
	v_add_u32_e32 v116, 0x8600, v17
	;; [unrolled: 1-line block ×7, first 2 shown]
	v_cvt_i32_f64_e32 v21, v[50:51]
	v_add_u32_e32 v128, 0x9e00, v17
	v_add_u32_e32 v17, 32, v45
	s_andn2_b32 s14, s14, 31
	v_mul_lo_u32 v127, s15, v21
	v_add_u32_e32 v21, 64, v45
	v_add_u32_e32 v23, 0x60, v45
	v_lshlrev_b32_e32 v25, 5, v45
	v_lshrrev_b32_e32 v130, 3, v17
	v_and_b32_e32 v17, 0x1fc, v17
	v_add_u32_e32 v40, s14, v38
	v_and_b32_e32 v23, 0x1fc, v23
	v_and_b32_e32 v21, 0x1fc, v21
	v_add_u32_e32 v17, v25, v17
	v_and_b32_e32 v27, 0xfc, v45
	v_lshlrev_b32_e32 v9, 5, v9
	v_add_u32_e32 v42, s14, v40
	v_lshlrev_b32_e32 v13, 5, v13
	v_lshlrev_b32_e32 v1, 5, v1
	v_add_u32_e32 v23, v25, v23
	v_add_u32_e32 v21, v25, v21
	;; [unrolled: 1-line block ×5, first 2 shown]
	v_mov_b32_e32 v19, 0xb280
	v_add_u32_e32 v139, 0xa610, v17
	v_mov_b32_e32 v17, 0x80
	s_mov_b32 s9, 0
	v_mov_b32_e32 v86, 0
	v_add_u32_e32 v94, 0x820, v92
	v_add_u32_e32 v95, 0x1040, v92
	;; [unrolled: 1-line block ×16, first 2 shown]
	v_mul_u32_u24_e32 v129, 0x104, v45
	v_add_u32_e32 v131, 0xae00, v23
	v_add_u32_e32 v132, 0xaa00, v21
	;; [unrolled: 1-line block ×3, first 2 shown]
	v_lshl_add_u32 v136, v84, 4, v19
	v_add_u32_e32 v137, 0xae10, v23
	v_add_u32_e32 v138, 0xaa10, v21
	;; [unrolled: 1-line block ×3, first 2 shown]
	v_mad_u32_u24 v141, v45, s16, v17
	v_add_u32_e32 v142, v3, v7
	v_add_u32_e32 v143, v11, v9
	;; [unrolled: 1-line block ×4, first 2 shown]
	v_mov_b32_e32 v91, 0
	v_mov_b32_e32 v85, 0
	;; [unrolled: 1-line block ×31, first 2 shown]
	s_branch .LBB123_6
.LBB123_5:                              ;   in Loop: Header=BB123_6 Depth=1
	s_add_i32 s9, s9, 8
	s_cmp_ge_i32 s9, s4
	s_cbranch_scc1 .LBB123_12
.LBB123_6:                              ; =>This Loop Header: Depth=1
                                        ;     Child Loop BB123_7 Depth 2
                                        ;     Child Loop BB123_10 Depth 2
	s_mul_i32 s0, s9, 24
	s_mul_hi_u32 s1, s9, 24
	s_add_u32 s0, s5, s0
	s_addc_u32 s1, s7, s1
	v_mad_u64_u32 v[50:51], s[14:15], v0, 24, s[0:1]
	v_mad_u64_u32 v[52:53], s[14:15], v4, 24, v[50:51]
	v_add_co_u32_e32 v54, vcc, v52, v2
	v_mad_u64_u32 v[60:61], s[14:15], v10, 24, v[50:51]
	v_addc_co_u32_e32 v55, vcc, 0, v53, vcc
	v_mad_u64_u32 v[56:57], s[14:15], v6, 24, v[50:51]
	v_mad_u64_u32 v[58:59], s[14:15], v8, 24, v[50:51]
	global_load_dword v68, v[60:61], off offset:4
	global_load_dword v69, v[58:59], off offset:4
	;; [unrolled: 1-line block ×4, first 2 shown]
                                        ; kill: killed $vgpr52 killed $vgpr53
	global_load_dword v72, v[54:55], off offset:8
	v_add_co_u32_e32 v52, vcc, v56, v2
	v_addc_co_u32_e32 v53, vcc, 0, v57, vcc
	global_load_dword v73, v[52:53], off offset:8
	v_add_co_u32_e32 v52, vcc, v58, v2
	v_addc_co_u32_e32 v53, vcc, 0, v59, vcc
	;; [unrolled: 3-line block ×3, first 2 shown]
	global_load_dword v75, v[52:53], off offset:8
	v_mad_u64_u32 v[52:53], s[14:15], v12, 24, v[50:51]
	v_add_co_u32_e32 v60, vcc, v52, v2
	v_mad_u64_u32 v[54:55], s[14:15], v14, 24, v[50:51]
	v_addc_co_u32_e32 v61, vcc, 0, v53, vcc
	v_add_co_u32_e32 v62, vcc, v54, v2
	v_mad_u64_u32 v[56:57], s[14:15], v16, 24, v[50:51]
	v_addc_co_u32_e32 v63, vcc, 0, v55, vcc
	;; [unrolled: 3-line block ×3, first 2 shown]
	v_add_co_u32_e32 v66, vcc, v58, v2
	v_addc_co_u32_e32 v67, vcc, 0, v59, vcc
	global_load_dword v76, v[66:67], off offset:8
	global_load_dword v77, v[58:59], off offset:4
	;; [unrolled: 1-line block ×6, first 2 shown]
	v_add_u32_e32 v146, s9, v48
	v_mov_b32_e32 v147, v136
	v_mov_b32_e32 v148, v135
	;; [unrolled: 1-line block ×7, first 2 shown]
	s_waitcnt vmcnt(10)
	v_ashrrev_i32_e32 v54, v2, v71
	v_lshlrev_b32_e32 v57, 4, v54
	v_lshlrev_b32_e32 v58, 11, v54
	s_waitcnt vmcnt(9)
	v_and_b32_e32 v56, 0xf0f0f0f, v72
	v_and_b32_e32 v57, 16, v57
	;; [unrolled: 1-line block ×3, first 2 shown]
	v_or3_b32 v56, v57, v56, v58
	global_load_dword v57, v[60:61], off offset:8
	s_nop 0
	global_load_dword v52, v[52:53], off offset:4
	v_lshrrev_b32_e32 v55, 4, v72
	v_lshrrev_b32_e32 v59, 12, v54
	;; [unrolled: 1-line block ×3, first 2 shown]
	v_and_b32_e32 v55, 0xf0f0f0f, v55
	v_lshlrev_b32_e32 v63, 2, v54
	v_lshlrev_b32_e32 v64, 18, v54
	;; [unrolled: 1-line block ×4, first 2 shown]
	v_and_b32_e32 v59, 16, v59
	v_and_b32_e32 v62, 0x1000, v62
	;; [unrolled: 1-line block ×5, first 2 shown]
	v_or3_b32 v55, v59, v55, v62
	v_and_b32_e32 v53, 0x10000000, v65
	v_or3_b32 v53, v55, v63, v53
	v_or3_b32 v54, v56, v64, v54
	ds_write2_b32 v92, v54, v53 offset1:1
	v_ashrrev_i32_e32 v53, v2, v70
	v_lshlrev_b32_e32 v54, 4, v53
	v_lshlrev_b32_e32 v55, 11, v53
	s_waitcnt vmcnt(10)
	v_lshrrev_b32_e32 v56, 4, v73
	v_lshrrev_b32_e32 v58, 12, v53
	v_lshrrev_b32_e32 v59, 5, v53
	v_and_b32_e32 v56, 0xf0f0f0f, v56
	v_and_b32_e32 v60, 0xf0f0f0f, v73
	v_and_b32_e32 v58, 16, v58
	v_and_b32_e32 v54, 16, v54
	v_and_b32_e32 v59, 0x1000, v59
	v_and_b32_e32 v55, 0x1000, v55
	v_or3_b32 v54, v54, v60, v55
	v_or3_b32 v55, v58, v56, v59
	v_lshlrev_b32_e32 v56, 2, v53
	v_lshlrev_b32_e32 v58, 18, v53
	v_lshlrev_b32_e32 v59, 9, v53
	v_lshlrev_b32_e32 v53, 25, v53
	v_and_b32_e32 v58, 0x100000, v58
	v_and_b32_e32 v56, 0x100000, v56
	v_and_b32_e32 v53, 0x10000000, v53
	v_and_b32_e32 v59, 0x10000000, v59
	v_or3_b32 v55, v55, v56, v59
	v_or3_b32 v53, v54, v58, v53
	ds_write2_b32 v94, v53, v55 offset1:1
	v_ashrrev_i32_e32 v53, v2, v69
	v_lshlrev_b32_e32 v54, 4, v53
	v_lshlrev_b32_e32 v55, 11, v53
	s_waitcnt vmcnt(9)
	v_lshrrev_b32_e32 v56, 4, v74
	v_lshrrev_b32_e32 v58, 12, v53
	v_lshrrev_b32_e32 v59, 5, v53
	v_and_b32_e32 v56, 0xf0f0f0f, v56
	v_and_b32_e32 v60, 0xf0f0f0f, v74
	v_and_b32_e32 v58, 16, v58
	v_and_b32_e32 v54, 16, v54
	v_and_b32_e32 v59, 0x1000, v59
	v_and_b32_e32 v55, 0x1000, v55
	v_or3_b32 v54, v54, v60, v55
	v_or3_b32 v55, v58, v56, v59
	v_lshlrev_b32_e32 v56, 2, v53
	v_lshlrev_b32_e32 v58, 18, v53
	v_lshlrev_b32_e32 v59, 9, v53
	v_lshlrev_b32_e32 v53, 25, v53
	v_and_b32_e32 v58, 0x100000, v58
	v_and_b32_e32 v56, 0x100000, v56
	v_and_b32_e32 v53, 0x10000000, v53
	v_and_b32_e32 v59, 0x10000000, v59
	v_or3_b32 v55, v55, v56, v59
	v_or3_b32 v53, v54, v58, v53
	ds_write2_b32 v95, v53, v55 offset1:1
	v_ashrrev_i32_e32 v53, v2, v68
	v_lshlrev_b32_e32 v54, 4, v53
	v_lshlrev_b32_e32 v55, 11, v53
	s_waitcnt vmcnt(8)
	v_lshrrev_b32_e32 v56, 4, v75
	v_lshrrev_b32_e32 v58, 12, v53
	v_lshrrev_b32_e32 v59, 5, v53
	v_and_b32_e32 v56, 0xf0f0f0f, v56
	v_and_b32_e32 v60, 0xf0f0f0f, v75
	v_and_b32_e32 v58, 16, v58
	v_and_b32_e32 v54, 16, v54
	v_and_b32_e32 v59, 0x1000, v59
	v_and_b32_e32 v55, 0x1000, v55
	v_or3_b32 v54, v54, v60, v55
	v_or3_b32 v55, v58, v56, v59
	v_lshlrev_b32_e32 v56, 2, v53
	v_lshlrev_b32_e32 v58, 18, v53
	v_lshlrev_b32_e32 v59, 9, v53
	v_lshlrev_b32_e32 v53, 25, v53
	v_and_b32_e32 v58, 0x100000, v58
	v_and_b32_e32 v56, 0x100000, v56
	v_and_b32_e32 v53, 0x10000000, v53
	v_and_b32_e32 v59, 0x10000000, v59
	v_or3_b32 v55, v55, v56, v59
	v_or3_b32 v53, v54, v58, v53
	s_waitcnt vmcnt(0)
	v_ashrrev_i32_e32 v52, v2, v52
	ds_write2_b32 v96, v53, v55 offset1:1
	v_lshlrev_b32_e32 v53, 4, v52
	v_lshlrev_b32_e32 v54, 11, v52
	v_lshrrev_b32_e32 v55, 4, v57
	v_and_b32_e32 v57, 0xf0f0f0f, v57
	v_and_b32_e32 v53, 16, v53
	;; [unrolled: 1-line block ×3, first 2 shown]
	v_lshrrev_b32_e32 v56, 12, v52
	v_lshrrev_b32_e32 v58, 5, v52
	v_or3_b32 v68, v53, v57, v54
	v_lshlrev_b32_e32 v53, 2, v52
	v_lshlrev_b32_e32 v54, 18, v52
	;; [unrolled: 1-line block ×4, first 2 shown]
	v_and_b32_e32 v71, 0x100000, v53
	v_and_b32_e32 v73, 0x10000000, v52
	v_mad_u64_u32 v[52:53], s[14:15], v20, 24, v[50:51]
	v_and_b32_e32 v55, 0xf0f0f0f, v55
	v_and_b32_e32 v56, 16, v56
	v_and_b32_e32 v58, 0x1000, v58
	v_and_b32_e32 v70, 0x100000, v54
	v_add_co_u32_e32 v54, vcc, v52, v2
	v_or3_b32 v69, v56, v55, v58
	v_addc_co_u32_e32 v55, vcc, 0, v53, vcc
	v_mad_u64_u32 v[56:57], s[14:15], v22, 24, v[50:51]
	v_add_co_u32_e32 v58, vcc, v56, v2
	v_addc_co_u32_e32 v59, vcc, 0, v57, vcc
	v_mad_u64_u32 v[60:61], s[14:15], v24, 24, v[50:51]
	v_add_co_u32_e32 v62, vcc, v60, v2
	;; [unrolled: 3-line block ×3, first 2 shown]
	v_addc_co_u32_e32 v67, vcc, 0, v65, vcc
	global_load_dword v66, v[66:67], off offset:8
	s_nop 0
	global_load_dword v67, v[64:65], off offset:4
	global_load_dword v74, v[62:63], off offset:8
	;; [unrolled: 1-line block ×5, first 2 shown]
	s_nop 0
	global_load_dword v54, v[54:55], off offset:8
	s_nop 0
	global_load_dword v52, v[52:53], off offset:4
	v_and_b32_e32 v53, 0x10000000, v72
	v_or3_b32 v53, v69, v71, v53
	v_or3_b32 v55, v68, v70, v73
	ds_write2_b32 v97, v55, v53 offset1:1
	v_ashrrev_i32_e32 v53, v2, v81
	v_lshlrev_b32_e32 v55, 4, v53
	v_lshlrev_b32_e32 v56, 11, v53
	v_lshrrev_b32_e32 v57, 4, v80
	v_lshrrev_b32_e32 v58, 12, v53
	v_lshrrev_b32_e32 v59, 5, v53
	v_and_b32_e32 v57, 0xf0f0f0f, v57
	v_and_b32_e32 v60, 0xf0f0f0f, v80
	v_and_b32_e32 v58, 16, v58
	v_and_b32_e32 v55, 16, v55
	v_and_b32_e32 v59, 0x1000, v59
	v_and_b32_e32 v56, 0x1000, v56
	v_or3_b32 v55, v55, v60, v56
	v_or3_b32 v56, v58, v57, v59
	v_lshlrev_b32_e32 v57, 2, v53
	v_lshlrev_b32_e32 v58, 18, v53
	v_lshlrev_b32_e32 v59, 9, v53
	v_lshlrev_b32_e32 v53, 25, v53
	v_and_b32_e32 v58, 0x100000, v58
	v_and_b32_e32 v57, 0x100000, v57
	v_and_b32_e32 v53, 0x10000000, v53
	v_and_b32_e32 v59, 0x10000000, v59
	v_or3_b32 v56, v56, v57, v59
	v_or3_b32 v53, v55, v58, v53
	ds_write2_b32 v98, v53, v56 offset1:1
	v_ashrrev_i32_e32 v53, v2, v79
	v_lshlrev_b32_e32 v55, 4, v53
	v_lshlrev_b32_e32 v56, 11, v53
	v_lshrrev_b32_e32 v57, 4, v78
	v_lshrrev_b32_e32 v58, 12, v53
	v_lshrrev_b32_e32 v59, 5, v53
	v_and_b32_e32 v57, 0xf0f0f0f, v57
	v_and_b32_e32 v60, 0xf0f0f0f, v78
	v_and_b32_e32 v58, 16, v58
	v_and_b32_e32 v55, 16, v55
	v_and_b32_e32 v59, 0x1000, v59
	v_and_b32_e32 v56, 0x1000, v56
	v_or3_b32 v55, v55, v60, v56
	v_or3_b32 v56, v58, v57, v59
	v_lshlrev_b32_e32 v57, 2, v53
	v_lshlrev_b32_e32 v58, 18, v53
	v_lshlrev_b32_e32 v59, 9, v53
	v_lshlrev_b32_e32 v53, 25, v53
	v_and_b32_e32 v58, 0x100000, v58
	v_and_b32_e32 v57, 0x100000, v57
	v_and_b32_e32 v53, 0x10000000, v53
	;; [unrolled: 25-line block ×3, first 2 shown]
	v_and_b32_e32 v59, 0x10000000, v59
	v_or3_b32 v56, v56, v57, v59
	v_or3_b32 v53, v55, v58, v53
	ds_write2_b32 v100, v53, v56 offset1:1
	s_waitcnt vmcnt(0)
	v_ashrrev_i32_e32 v52, v2, v52
	v_lshlrev_b32_e32 v53, 4, v52
	v_lshlrev_b32_e32 v55, 11, v52
	v_lshrrev_b32_e32 v56, 4, v54
	v_and_b32_e32 v54, 0xf0f0f0f, v54
	v_and_b32_e32 v53, 16, v53
	;; [unrolled: 1-line block ×3, first 2 shown]
	v_lshrrev_b32_e32 v57, 12, v52
	v_lshrrev_b32_e32 v58, 5, v52
	v_or3_b32 v68, v53, v54, v55
	v_lshlrev_b32_e32 v53, 2, v52
	v_lshlrev_b32_e32 v54, 18, v52
	;; [unrolled: 1-line block ×4, first 2 shown]
	v_and_b32_e32 v71, 0x100000, v53
	v_and_b32_e32 v73, 0x10000000, v52
	v_mad_u64_u32 v[52:53], s[14:15], v28, 24, v[50:51]
	v_and_b32_e32 v56, 0xf0f0f0f, v56
	v_and_b32_e32 v57, 16, v57
	;; [unrolled: 1-line block ×4, first 2 shown]
	v_add_co_u32_e32 v54, vcc, v52, v2
	v_or3_b32 v69, v57, v56, v58
	v_addc_co_u32_e32 v55, vcc, 0, v53, vcc
	v_mad_u64_u32 v[56:57], s[14:15], v30, 24, v[50:51]
	v_add_co_u32_e32 v58, vcc, v56, v2
	v_addc_co_u32_e32 v59, vcc, 0, v57, vcc
	v_mad_u64_u32 v[60:61], s[14:15], v32, 24, v[50:51]
	v_add_co_u32_e32 v62, vcc, v60, v2
	;; [unrolled: 3-line block ×3, first 2 shown]
	v_addc_co_u32_e32 v65, vcc, 0, v51, vcc
	global_load_dword v76, v[64:65], off offset:8
	global_load_dword v77, v[50:51], off offset:4
	;; [unrolled: 1-line block ×4, first 2 shown]
	s_nop 0
	global_load_dword v50, v[58:59], off offset:8
	global_load_dword v51, v[56:57], off offset:4
	s_nop 0
	global_load_dword v54, v[54:55], off offset:8
	s_nop 0
	global_load_dword v52, v[52:53], off offset:4
	v_and_b32_e32 v53, 0x10000000, v72
	v_or3_b32 v53, v69, v71, v53
	v_or3_b32 v55, v68, v70, v73
	ds_write2_b32 v102, v55, v53 offset1:1
	v_ashrrev_i32_e32 v53, v2, v83
	v_lshlrev_b32_e32 v55, 4, v53
	v_lshlrev_b32_e32 v56, 11, v53
	v_lshrrev_b32_e32 v57, 4, v82
	v_lshrrev_b32_e32 v58, 12, v53
	v_lshrrev_b32_e32 v59, 5, v53
	v_and_b32_e32 v57, 0xf0f0f0f, v57
	v_and_b32_e32 v60, 0xf0f0f0f, v82
	v_and_b32_e32 v58, 16, v58
	v_and_b32_e32 v55, 16, v55
	v_and_b32_e32 v59, 0x1000, v59
	v_and_b32_e32 v56, 0x1000, v56
	v_or3_b32 v55, v55, v60, v56
	v_or3_b32 v56, v58, v57, v59
	v_lshlrev_b32_e32 v57, 2, v53
	v_lshlrev_b32_e32 v58, 18, v53
	v_lshlrev_b32_e32 v59, 9, v53
	v_lshlrev_b32_e32 v53, 25, v53
	v_and_b32_e32 v58, 0x100000, v58
	v_and_b32_e32 v57, 0x100000, v57
	v_and_b32_e32 v53, 0x10000000, v53
	v_and_b32_e32 v59, 0x10000000, v59
	v_or3_b32 v56, v56, v57, v59
	v_or3_b32 v53, v55, v58, v53
	ds_write2_b32 v103, v53, v56 offset1:1
	v_ashrrev_i32_e32 v53, v2, v75
	v_lshlrev_b32_e32 v55, 4, v53
	v_lshlrev_b32_e32 v56, 11, v53
	v_lshrrev_b32_e32 v57, 4, v74
	v_lshrrev_b32_e32 v58, 12, v53
	v_lshrrev_b32_e32 v59, 5, v53
	v_and_b32_e32 v57, 0xf0f0f0f, v57
	v_and_b32_e32 v60, 0xf0f0f0f, v74
	v_and_b32_e32 v58, 16, v58
	v_and_b32_e32 v55, 16, v55
	v_and_b32_e32 v59, 0x1000, v59
	v_and_b32_e32 v56, 0x1000, v56
	v_or3_b32 v55, v55, v60, v56
	v_or3_b32 v56, v58, v57, v59
	v_lshlrev_b32_e32 v57, 2, v53
	v_lshlrev_b32_e32 v58, 18, v53
	v_lshlrev_b32_e32 v59, 9, v53
	v_lshlrev_b32_e32 v53, 25, v53
	v_and_b32_e32 v58, 0x100000, v58
	v_and_b32_e32 v57, 0x100000, v57
	v_and_b32_e32 v53, 0x10000000, v53
	;; [unrolled: 25-line block ×3, first 2 shown]
	v_and_b32_e32 v59, 0x10000000, v59
	v_or3_b32 v56, v56, v57, v59
	v_or3_b32 v53, v55, v58, v53
	ds_write2_b32 v105, v53, v56 offset1:1
	s_waitcnt vmcnt(0)
	v_ashrrev_i32_e32 v52, v2, v52
	v_lshlrev_b32_e32 v53, 4, v52
	v_lshlrev_b32_e32 v55, 11, v52
	v_lshrrev_b32_e32 v56, 4, v54
	v_lshrrev_b32_e32 v57, 12, v52
	v_lshrrev_b32_e32 v58, 5, v52
	v_and_b32_e32 v56, 0xf0f0f0f, v56
	v_and_b32_e32 v54, 0xf0f0f0f, v54
	;; [unrolled: 1-line block ×6, first 2 shown]
	v_or3_b32 v53, v53, v54, v55
	v_or3_b32 v54, v57, v56, v58
	v_lshlrev_b32_e32 v55, 2, v52
	v_lshlrev_b32_e32 v56, 18, v52
	;; [unrolled: 1-line block ×4, first 2 shown]
	v_and_b32_e32 v56, 0x100000, v56
	v_and_b32_e32 v55, 0x100000, v55
	;; [unrolled: 1-line block ×4, first 2 shown]
	v_ashrrev_i32_e32 v66, v2, v51
	v_lshrrev_b32_e32 v51, 4, v50
	v_or3_b32 v54, v54, v55, v57
	v_or3_b32 v52, v53, v56, v52
	v_and_b32_e32 v71, 0xf0f0f0f, v51
	v_and_b32_e32 v72, 0xf0f0f0f, v50
	v_mad_u64_u32 v[50:51], s[0:1], v36, 24, s[0:1]
	ds_write2_b32 v106, v52, v54 offset1:1
	v_mad_u64_u32 v[52:53], s[0:1], v38, 24, v[50:51]
	v_mad_u64_u32 v[54:55], s[0:1], v40, 24, v[50:51]
	;; [unrolled: 1-line block ×4, first 2 shown]
	v_add_u32_e32 v64, s9, v111
	global_load_dword v73, v[52:53], off
	global_load_dword v74, v[54:55], off
	global_load_dword v75, v[56:57], off
	global_load_dword v80, v[50:51], off
	v_add_u32_e32 v50, v64, v113
	v_add_u32_e32 v52, v64, v115
	;; [unrolled: 1-line block ×5, first 2 shown]
	v_mad_i64_i32 v[50:51], s[0:1], v50, 36, v[46:47]
	v_mad_i64_i32 v[52:53], s[0:1], v52, 36, v[46:47]
	;; [unrolled: 1-line block ×5, first 2 shown]
	v_add_u32_e32 v60, v64, v123
	v_add_u32_e32 v62, v64, v125
	;; [unrolled: 1-line block ×3, first 2 shown]
	v_mad_i64_i32 v[60:61], s[0:1], v60, 36, v[46:47]
	v_mad_i64_i32 v[62:63], s[0:1], v62, 36, v[46:47]
	v_mad_i64_i32 v[64:65], s[0:1], v64, 36, v[46:47]
	global_load_dword v81, v[50:51], off offset:4
	s_nop 0
	global_load_dword v52, v[52:53], off offset:4
	s_nop 0
	;; [unrolled: 2-line block ×3, first 2 shown]
	global_load_dword v54, v[56:57], off offset:4
	global_load_dword v55, v[58:59], off offset:4
	s_nop 0
	global_load_dword v56, v[60:61], off offset:4
	global_load_dword v57, v[62:63], off offset:4
	;; [unrolled: 1-line block ×3, first 2 shown]
	v_mad_u64_u32 v[50:51], s[0:1], v146, 36, s[2:3]
	global_load_dword v50, v[50:51], off
	v_lshlrev_b32_e32 v67, 4, v66
	v_lshlrev_b32_e32 v68, 11, v66
	v_lshrrev_b32_e32 v69, 12, v66
	v_lshrrev_b32_e32 v70, 5, v66
	v_and_b32_e32 v51, 16, v69
	v_and_b32_e32 v59, 16, v67
	;; [unrolled: 1-line block ×4, first 2 shown]
	v_or3_b32 v59, v59, v72, v61
	v_or3_b32 v51, v51, v71, v60
	v_lshlrev_b32_e32 v60, 2, v66
	v_lshlrev_b32_e32 v61, 18, v66
	;; [unrolled: 1-line block ×4, first 2 shown]
	v_and_b32_e32 v61, 0x100000, v61
	v_and_b32_e32 v60, 0x100000, v60
	;; [unrolled: 1-line block ×4, first 2 shown]
	v_or3_b32 v51, v51, v60, v62
	v_or3_b32 v59, v59, v61, v63
	ds_write2_b32 v107, v59, v51 offset1:1
	v_ashrrev_i32_e32 v51, v2, v79
	v_lshlrev_b32_e32 v59, 4, v51
	v_lshlrev_b32_e32 v60, 11, v51
	v_lshrrev_b32_e32 v61, 4, v78
	v_lshrrev_b32_e32 v62, 12, v51
	;; [unrolled: 1-line block ×3, first 2 shown]
	v_and_b32_e32 v61, 0xf0f0f0f, v61
	v_and_b32_e32 v64, 0xf0f0f0f, v78
	;; [unrolled: 1-line block ×6, first 2 shown]
	v_or3_b32 v59, v59, v64, v60
	v_or3_b32 v60, v62, v61, v63
	v_lshlrev_b32_e32 v61, 2, v51
	v_lshlrev_b32_e32 v62, 18, v51
	;; [unrolled: 1-line block ×4, first 2 shown]
	v_and_b32_e32 v62, 0x100000, v62
	v_and_b32_e32 v61, 0x100000, v61
	;; [unrolled: 1-line block ×4, first 2 shown]
	v_or3_b32 v60, v60, v61, v63
	v_or3_b32 v51, v59, v62, v51
	ds_write2_b32 v108, v51, v60 offset1:1
	v_ashrrev_i32_e32 v51, v2, v77
	v_lshlrev_b32_e32 v59, 4, v51
	v_lshlrev_b32_e32 v60, 11, v51
	v_lshrrev_b32_e32 v61, 4, v76
	v_lshrrev_b32_e32 v62, 12, v51
	;; [unrolled: 1-line block ×3, first 2 shown]
	v_and_b32_e32 v61, 0xf0f0f0f, v61
	v_and_b32_e32 v64, 0xf0f0f0f, v76
	;; [unrolled: 1-line block ×6, first 2 shown]
	v_or3_b32 v59, v59, v64, v60
	v_or3_b32 v60, v62, v61, v63
	v_lshlrev_b32_e32 v61, 2, v51
	v_lshlrev_b32_e32 v62, 18, v51
	;; [unrolled: 1-line block ×4, first 2 shown]
	v_and_b32_e32 v62, 0x100000, v62
	v_and_b32_e32 v61, 0x100000, v61
	;; [unrolled: 1-line block ×4, first 2 shown]
	v_or3_b32 v60, v60, v61, v63
	v_or3_b32 v51, v59, v62, v51
	s_mov_b32 s0, -4
	ds_write2_b32 v110, v51, v60 offset1:1
	s_waitcnt vmcnt(12)
	ds_write_b32 v142, v73
	s_waitcnt vmcnt(11)
	ds_write_b32 v143, v74
	;; [unrolled: 2-line block ×13, first 2 shown]
	s_waitcnt lgkmcnt(0)
	s_barrier
.LBB123_7:                              ;   Parent Loop BB123_6 Depth=1
                                        ; =>  This Inner Loop Header: Depth=2
	ds_read_b128 v[158:161], v148
	ds_read_b128 v[162:165], v148 offset:16
	ds_read2_b32 v[82:83], v147 offset1:32
	ds_read_b32 v154, v150
	ds_read2_b32 v[50:51], v149 offset1:1
	ds_read2_b32 v[54:55], v149 offset0:2 offset1:3
	ds_read2_b32 v[56:57], v149 offset0:4 offset1:5
	;; [unrolled: 1-line block ×3, first 2 shown]
	v_mov_b32_e32 v52, 0
	s_waitcnt lgkmcnt(3)
	v_dot4c_i32_i8_e32 v52, v50, v158
	v_dot4c_i32_i8_e32 v52, v51, v162
	s_waitcnt lgkmcnt(2)
	v_dot4c_i32_i8_e32 v52, v54, v159
	v_dot4c_i32_i8_e32 v52, v55, v163
	;; [unrolled: 3-line block ×4, first 2 shown]
	v_pk_mul_f16 v53, v82, v154
	v_add_u32_e32 v58, 0x2088, v149
	v_add_u32_e32 v63, 0x2090, v149
	v_cvt_f32_i32_e32 v52, v52
	v_mov_b32_e32 v62, 0
	v_add_u32_e32 v66, 0x4108, v149
	v_add_u32_e32 v70, 0x4110, v149
	v_fma_mix_f32 v52, v53, v52, v53 op_sel:[0,0,1] op_sel_hi:[1,0,1]
	v_add_f32_e32 v86, v86, v52
	v_add_u32_e32 v52, 0x2080, v149
	ds_read_b32 v155, v151
	ds_read2_b32 v[52:53], v52 offset1:1
	ds_read2_b32 v[58:59], v58 offset1:1
	;; [unrolled: 1-line block ×3, first 2 shown]
	v_add_u32_e32 v63, 0x2098, v149
	ds_read2_b32 v[68:69], v63 offset1:1
	s_waitcnt lgkmcnt(3)
	v_dot4c_i32_i8_e32 v62, v52, v158
	v_dot4c_i32_i8_e32 v62, v53, v162
	s_waitcnt lgkmcnt(2)
	v_dot4c_i32_i8_e32 v62, v58, v159
	v_dot4c_i32_i8_e32 v62, v59, v163
	;; [unrolled: 3-line block ×4, first 2 shown]
	v_pk_mul_f16 v63, v82, v155
	v_mov_b32_e32 v72, 0
	v_add_u32_e32 v73, 0x4118, v149
	v_cvt_f32_i32_e32 v62, v62
	v_add_u32_e32 v76, 0x6188, v149
	v_add_u32_e32 v78, 0x6190, v149
	v_mov_b32_e32 v166, 0
	v_fma_mix_f32 v62, v63, v62, v63 op_sel:[0,0,1] op_sel_hi:[1,0,1]
	v_add_f32_e32 v109, v109, v62
	v_add_u32_e32 v62, 0x4100, v149
	ds_read_b32 v156, v152
	ds_read2_b32 v[62:63], v62 offset1:1
	ds_read2_b32 v[66:67], v66 offset1:1
	;; [unrolled: 1-line block ×4, first 2 shown]
	s_waitcnt lgkmcnt(4)
	v_pk_mul_f16 v73, v82, v156
	s_waitcnt lgkmcnt(3)
	v_dot4c_i32_i8_e32 v72, v62, v158
	v_dot4c_i32_i8_e32 v72, v63, v162
	s_waitcnt lgkmcnt(2)
	v_dot4c_i32_i8_e32 v72, v66, v159
	v_dot4c_i32_i8_e32 v72, v67, v163
	;; [unrolled: 3-line block ×4, first 2 shown]
	v_add_u32_e32 v80, 0x6198, v149
	s_add_i32 s0, s0, 4
	v_add_u32_e32 v152, 4, v152
	v_cvt_f32_i32_e32 v72, v72
	v_add_u32_e32 v151, 4, v151
	v_add_u32_e32 v150, 4, v150
	s_cmp_lt_u32 s0, 12
	v_fma_mix_f32 v72, v73, v72, v73 op_sel:[0,0,1] op_sel_hi:[1,0,1]
	v_add_f32_e32 v101, v101, v72
	v_add_u32_e32 v72, 0x6180, v149
	ds_read_b32 v157, v153
	ds_read2_b32 v[72:73], v72 offset1:1
	ds_read2_b32 v[76:77], v76 offset1:1
	;; [unrolled: 1-line block ×4, first 2 shown]
	s_waitcnt lgkmcnt(4)
	v_pk_mul_f16 v82, v82, v157
	s_waitcnt lgkmcnt(3)
	v_dot4c_i32_i8_e32 v166, v72, v158
	v_dot4c_i32_i8_e32 v166, v73, v162
	s_waitcnt lgkmcnt(2)
	v_dot4c_i32_i8_e32 v166, v76, v159
	v_dot4c_i32_i8_e32 v166, v77, v163
	;; [unrolled: 3-line block ×4, first 2 shown]
	v_add_u32_e32 v153, 4, v153
	v_add_u32_e32 v149, 32, v149
	s_nop 0
	v_cvt_f32_i32_e32 v158, v166
	v_pk_mul_f16 v166, v154, v83
	v_fma_mix_f32 v82, v82, v158, v82 op_sel:[0,0,1] op_sel_hi:[1,0,1]
	ds_read_b128 v[158:161], v148 offset:1024
	ds_read_b128 v[162:165], v148 offset:1040
	v_add_f32_e32 v93, v93, v82
	v_mov_b32_e32 v82, 0
	s_waitcnt lgkmcnt(1)
	v_dot4c_i32_i8_e32 v82, v50, v158
	s_waitcnt lgkmcnt(0)
	v_dot4c_i32_i8_e32 v82, v51, v162
	v_dot4c_i32_i8_e32 v82, v54, v159
	;; [unrolled: 1-line block ×7, first 2 shown]
	s_nop 2
	v_cvt_f32_i32_e32 v82, v82
	v_fma_mix_f32 v82, v82, v166, v166 op_sel:[0,0,1] op_sel_hi:[0,1,1]
	v_add_f32_e32 v91, v91, v82
	v_mov_b32_e32 v82, 0
	v_dot4c_i32_i8_e32 v82, v52, v158
	v_dot4c_i32_i8_e32 v82, v53, v162
	;; [unrolled: 1-line block ×8, first 2 shown]
	v_pk_mul_f16 v166, v155, v83
	s_nop 1
	v_cvt_f32_i32_e32 v82, v82
	v_fma_mix_f32 v82, v82, v166, v166 op_sel:[0,0,1] op_sel_hi:[0,1,1]
	v_add_f32_e32 v90, v90, v82
	v_mov_b32_e32 v82, 0
	v_dot4c_i32_i8_e32 v82, v62, v158
	v_dot4c_i32_i8_e32 v82, v63, v162
	;; [unrolled: 1-line block ×8, first 2 shown]
	v_pk_mul_f16 v166, v156, v83
	v_pk_mul_f16 v83, v157, v83
	s_nop 0
	v_cvt_f32_i32_e32 v82, v82
	v_fma_mix_f32 v82, v82, v166, v166 op_sel:[0,0,1] op_sel_hi:[0,1,1]
	v_add_f32_e32 v88, v88, v82
	v_mov_b32_e32 v82, 0
	v_dot4c_i32_i8_e32 v82, v72, v158
	v_dot4c_i32_i8_e32 v82, v73, v162
	;; [unrolled: 1-line block ×8, first 2 shown]
	v_mov_b32_e32 v166, 0
	s_nop 1
	v_cvt_f32_i32_e32 v82, v82
	v_fma_mix_f32 v82, v82, v83, v83 op_sel:[0,0,1] op_sel_hi:[0,1,1]
	v_add_f32_e32 v87, v87, v82
	ds_read_b128 v[158:161], v148 offset:2048
	ds_read_b128 v[162:165], v148 offset:2064
	ds_read2_b32 v[82:83], v147 offset0:64 offset1:96
	s_waitcnt lgkmcnt(2)
	v_dot4c_i32_i8_e32 v166, v50, v158
	s_waitcnt lgkmcnt(1)
	v_dot4c_i32_i8_e32 v166, v51, v162
	v_dot4c_i32_i8_e32 v166, v54, v159
	;; [unrolled: 1-line block ×7, first 2 shown]
	s_waitcnt lgkmcnt(0)
	v_pk_mul_f16 v167, v154, v82
	s_nop 0
	v_cvt_f32_i32_e32 v166, v166
	v_fma_mix_f32 v166, v166, v167, v167 op_sel:[0,0,1] op_sel_hi:[0,1,1]
	v_add_f32_e32 v85, v85, v166
	v_mov_b32_e32 v166, 0
	v_dot4c_i32_i8_e32 v166, v52, v158
	v_dot4c_i32_i8_e32 v166, v53, v162
	;; [unrolled: 1-line block ×8, first 2 shown]
	v_pk_mul_f16 v167, v155, v82
	s_nop 1
	v_cvt_f32_i32_e32 v166, v166
	v_fma_mix_f32 v166, v166, v167, v167 op_sel:[0,0,1] op_sel_hi:[0,1,1]
	v_add_f32_e32 v49, v49, v166
	v_mov_b32_e32 v166, 0
	v_dot4c_i32_i8_e32 v166, v62, v158
	v_dot4c_i32_i8_e32 v166, v63, v162
	;; [unrolled: 1-line block ×8, first 2 shown]
	v_pk_mul_f16 v167, v156, v82
	v_pk_mul_f16 v82, v157, v82
	s_nop 0
	v_cvt_f32_i32_e32 v166, v166
	v_fma_mix_f32 v166, v166, v167, v167 op_sel:[0,0,1] op_sel_hi:[0,1,1]
	v_add_f32_e32 v43, v43, v166
	v_mov_b32_e32 v166, 0
	v_dot4c_i32_i8_e32 v166, v72, v158
	v_dot4c_i32_i8_e32 v166, v73, v162
	;; [unrolled: 1-line block ×8, first 2 shown]
	s_nop 2
	v_cvt_f32_i32_e32 v158, v166
	v_pk_mul_f16 v166, v154, v83
	v_fma_mix_f32 v82, v158, v82, v82 op_sel:[0,0,1] op_sel_hi:[0,1,1]
	ds_read_b128 v[158:161], v148 offset:3072
	ds_read_b128 v[162:165], v148 offset:3088
	v_add_f32_e32 v41, v41, v82
	v_mov_b32_e32 v82, 0
	s_waitcnt lgkmcnt(1)
	v_dot4c_i32_i8_e32 v82, v50, v158
	s_waitcnt lgkmcnt(0)
	v_dot4c_i32_i8_e32 v82, v51, v162
	v_dot4c_i32_i8_e32 v82, v54, v159
	;; [unrolled: 1-line block ×7, first 2 shown]
	s_nop 2
	v_cvt_f32_i32_e32 v82, v82
	v_fma_mix_f32 v82, v82, v166, v166 op_sel:[0,0,1] op_sel_hi:[0,1,1]
	v_add_f32_e32 v39, v39, v82
	v_mov_b32_e32 v82, 0
	v_dot4c_i32_i8_e32 v82, v52, v158
	v_dot4c_i32_i8_e32 v82, v53, v162
	;; [unrolled: 1-line block ×8, first 2 shown]
	v_pk_mul_f16 v166, v155, v83
	s_nop 1
	v_cvt_f32_i32_e32 v82, v82
	v_fma_mix_f32 v82, v82, v166, v166 op_sel:[0,0,1] op_sel_hi:[0,1,1]
	v_add_f32_e32 v37, v37, v82
	v_mov_b32_e32 v82, 0
	v_dot4c_i32_i8_e32 v82, v62, v158
	v_dot4c_i32_i8_e32 v82, v63, v162
	;; [unrolled: 1-line block ×8, first 2 shown]
	v_pk_mul_f16 v166, v156, v83
	v_pk_mul_f16 v83, v157, v83
	s_nop 0
	v_cvt_f32_i32_e32 v82, v82
	v_fma_mix_f32 v82, v82, v166, v166 op_sel:[0,0,1] op_sel_hi:[0,1,1]
	v_add_f32_e32 v35, v35, v82
	v_mov_b32_e32 v82, 0
	v_dot4c_i32_i8_e32 v82, v72, v158
	v_dot4c_i32_i8_e32 v82, v73, v162
	;; [unrolled: 1-line block ×8, first 2 shown]
	v_mov_b32_e32 v166, 0
	s_nop 1
	v_cvt_f32_i32_e32 v82, v82
	v_fma_mix_f32 v82, v82, v83, v83 op_sel:[0,0,1] op_sel_hi:[0,1,1]
	v_add_f32_e32 v33, v33, v82
	ds_read_b128 v[158:161], v148 offset:4096
	ds_read_b128 v[162:165], v148 offset:4112
	ds_read2_b32 v[82:83], v147 offset0:128 offset1:160
	s_waitcnt lgkmcnt(2)
	v_dot4c_i32_i8_e32 v166, v50, v158
	s_waitcnt lgkmcnt(1)
	v_dot4c_i32_i8_e32 v166, v51, v162
	v_dot4c_i32_i8_e32 v166, v54, v159
	;; [unrolled: 1-line block ×7, first 2 shown]
	s_waitcnt lgkmcnt(0)
	v_pk_mul_f16 v167, v154, v82
	s_nop 0
	v_cvt_f32_i32_e32 v166, v166
	v_fma_mix_f32 v166, v166, v167, v167 op_sel:[0,0,1] op_sel_hi:[0,1,1]
	v_add_f32_e32 v31, v31, v166
	v_mov_b32_e32 v166, 0
	v_dot4c_i32_i8_e32 v166, v52, v158
	v_dot4c_i32_i8_e32 v166, v53, v162
	;; [unrolled: 1-line block ×8, first 2 shown]
	v_pk_mul_f16 v167, v155, v82
	s_nop 1
	v_cvt_f32_i32_e32 v166, v166
	v_fma_mix_f32 v166, v166, v167, v167 op_sel:[0,0,1] op_sel_hi:[0,1,1]
	v_add_f32_e32 v29, v29, v166
	v_mov_b32_e32 v166, 0
	v_dot4c_i32_i8_e32 v166, v62, v158
	v_dot4c_i32_i8_e32 v166, v63, v162
	;; [unrolled: 1-line block ×8, first 2 shown]
	v_pk_mul_f16 v167, v156, v82
	v_pk_mul_f16 v82, v157, v82
	s_nop 0
	v_cvt_f32_i32_e32 v166, v166
	v_fma_mix_f32 v166, v166, v167, v167 op_sel:[0,0,1] op_sel_hi:[0,1,1]
	v_add_f32_e32 v27, v27, v166
	v_mov_b32_e32 v166, 0
	v_dot4c_i32_i8_e32 v166, v72, v158
	v_dot4c_i32_i8_e32 v166, v73, v162
	;; [unrolled: 1-line block ×8, first 2 shown]
	s_nop 2
	v_cvt_f32_i32_e32 v158, v166
	v_pk_mul_f16 v166, v154, v83
	v_fma_mix_f32 v82, v158, v82, v82 op_sel:[0,0,1] op_sel_hi:[0,1,1]
	ds_read_b128 v[158:161], v148 offset:5120
	ds_read_b128 v[162:165], v148 offset:5136
	v_add_f32_e32 v25, v25, v82
	v_mov_b32_e32 v82, 0
	s_waitcnt lgkmcnt(1)
	v_dot4c_i32_i8_e32 v82, v50, v158
	s_waitcnt lgkmcnt(0)
	v_dot4c_i32_i8_e32 v82, v51, v162
	v_dot4c_i32_i8_e32 v82, v54, v159
	v_dot4c_i32_i8_e32 v82, v55, v163
	v_dot4c_i32_i8_e32 v82, v56, v160
	v_dot4c_i32_i8_e32 v82, v57, v164
	v_dot4c_i32_i8_e32 v82, v60, v161
	v_dot4c_i32_i8_e32 v82, v61, v165
	s_nop 2
	v_cvt_f32_i32_e32 v82, v82
	v_fma_mix_f32 v82, v82, v166, v166 op_sel:[0,0,1] op_sel_hi:[0,1,1]
	v_add_f32_e32 v23, v23, v82
	v_mov_b32_e32 v82, 0
	v_dot4c_i32_i8_e32 v82, v52, v158
	v_dot4c_i32_i8_e32 v82, v53, v162
	;; [unrolled: 1-line block ×8, first 2 shown]
	v_pk_mul_f16 v166, v155, v83
	s_nop 1
	v_cvt_f32_i32_e32 v82, v82
	v_fma_mix_f32 v82, v82, v166, v166 op_sel:[0,0,1] op_sel_hi:[0,1,1]
	v_add_f32_e32 v21, v21, v82
	v_mov_b32_e32 v82, 0
	v_dot4c_i32_i8_e32 v82, v62, v158
	v_dot4c_i32_i8_e32 v82, v63, v162
	;; [unrolled: 1-line block ×8, first 2 shown]
	v_pk_mul_f16 v166, v156, v83
	v_pk_mul_f16 v83, v157, v83
	s_nop 0
	v_cvt_f32_i32_e32 v82, v82
	v_fma_mix_f32 v82, v82, v166, v166 op_sel:[0,0,1] op_sel_hi:[0,1,1]
	v_add_f32_e32 v19, v19, v82
	v_mov_b32_e32 v82, 0
	v_dot4c_i32_i8_e32 v82, v72, v158
	v_dot4c_i32_i8_e32 v82, v73, v162
	;; [unrolled: 1-line block ×8, first 2 shown]
	v_mov_b32_e32 v166, 0
	s_nop 1
	v_cvt_f32_i32_e32 v82, v82
	v_fma_mix_f32 v82, v82, v83, v83 op_sel:[0,0,1] op_sel_hi:[0,1,1]
	v_add_f32_e32 v17, v17, v82
	ds_read_b128 v[158:161], v148 offset:6144
	ds_read_b128 v[162:165], v148 offset:6160
	ds_read2_b32 v[82:83], v147 offset0:192 offset1:224
	v_add_u32_e32 v147, 4, v147
	s_waitcnt lgkmcnt(2)
	v_dot4c_i32_i8_e32 v166, v50, v158
	s_waitcnt lgkmcnt(1)
	v_dot4c_i32_i8_e32 v166, v51, v162
	v_dot4c_i32_i8_e32 v166, v54, v159
	;; [unrolled: 1-line block ×7, first 2 shown]
	s_waitcnt lgkmcnt(0)
	v_pk_mul_f16 v167, v154, v82
	s_nop 0
	v_cvt_f32_i32_e32 v166, v166
	v_fma_mix_f32 v166, v166, v167, v167 op_sel:[0,0,1] op_sel_hi:[0,1,1]
	v_add_f32_e32 v15, v15, v166
	v_mov_b32_e32 v166, 0
	v_dot4c_i32_i8_e32 v166, v52, v158
	v_dot4c_i32_i8_e32 v166, v53, v162
	;; [unrolled: 1-line block ×8, first 2 shown]
	v_pk_mul_f16 v167, v155, v82
	s_nop 1
	v_cvt_f32_i32_e32 v166, v166
	v_fma_mix_f32 v166, v166, v167, v167 op_sel:[0,0,1] op_sel_hi:[0,1,1]
	v_add_f32_e32 v13, v13, v166
	v_mov_b32_e32 v166, 0
	v_dot4c_i32_i8_e32 v166, v62, v158
	v_dot4c_i32_i8_e32 v166, v63, v162
	;; [unrolled: 1-line block ×8, first 2 shown]
	v_pk_mul_f16 v167, v156, v82
	v_pk_mul_f16 v82, v157, v82
	s_nop 0
	v_cvt_f32_i32_e32 v166, v166
	v_fma_mix_f32 v166, v166, v167, v167 op_sel:[0,0,1] op_sel_hi:[0,1,1]
	v_add_f32_e32 v11, v11, v166
	v_mov_b32_e32 v166, 0
	v_dot4c_i32_i8_e32 v166, v72, v158
	v_dot4c_i32_i8_e32 v166, v73, v162
	;; [unrolled: 1-line block ×8, first 2 shown]
	s_nop 2
	v_cvt_f32_i32_e32 v158, v166
	v_fma_mix_f32 v82, v158, v82, v82 op_sel:[0,0,1] op_sel_hi:[0,1,1]
	ds_read_b128 v[158:161], v148 offset:7168
	ds_read_b128 v[162:165], v148 offset:7184
	v_add_f32_e32 v9, v9, v82
	v_mov_b32_e32 v82, 0
	v_add_u32_e32 v148, 32, v148
	s_waitcnt lgkmcnt(1)
	v_dot4c_i32_i8_e32 v82, v50, v158
	s_waitcnt lgkmcnt(0)
	v_dot4c_i32_i8_e32 v82, v51, v162
	v_dot4c_i32_i8_e32 v82, v54, v159
	v_dot4c_i32_i8_e32 v82, v55, v163
	v_dot4c_i32_i8_e32 v82, v56, v160
	v_dot4c_i32_i8_e32 v82, v57, v164
	v_dot4c_i32_i8_e32 v82, v60, v161
	v_dot4c_i32_i8_e32 v82, v61, v165
	v_pk_mul_f16 v50, v154, v83
	s_nop 1
	v_cvt_f32_i32_e32 v51, v82
	v_fma_mix_f32 v50, v51, v50, v50 op_sel:[0,0,1] op_sel_hi:[0,1,1]
	v_add_f32_e32 v7, v7, v50
	v_mov_b32_e32 v50, 0
	v_dot4c_i32_i8_e32 v50, v52, v158
	v_dot4c_i32_i8_e32 v50, v53, v162
	v_dot4c_i32_i8_e32 v50, v58, v159
	v_dot4c_i32_i8_e32 v50, v59, v163
	v_dot4c_i32_i8_e32 v50, v64, v160
	v_dot4c_i32_i8_e32 v50, v65, v164
	v_dot4c_i32_i8_e32 v50, v68, v161
	v_dot4c_i32_i8_e32 v50, v69, v165
	v_pk_mul_f16 v51, v155, v83
	s_nop 1
	v_cvt_f32_i32_e32 v50, v50
	v_fma_mix_f32 v50, v50, v51, v51 op_sel:[0,0,1] op_sel_hi:[0,1,1]
	v_add_f32_e32 v5, v5, v50
	v_mov_b32_e32 v50, 0
	v_dot4c_i32_i8_e32 v50, v62, v158
	;; [unrolled: 14-line block ×3, first 2 shown]
	v_dot4c_i32_i8_e32 v50, v73, v162
	v_dot4c_i32_i8_e32 v50, v76, v159
	;; [unrolled: 1-line block ×7, first 2 shown]
	v_pk_mul_f16 v51, v157, v83
	s_nop 1
	v_cvt_f32_i32_e32 v50, v50
	v_fma_mix_f32 v50, v50, v51, v51 op_sel:[0,0,1] op_sel_hi:[0,1,1]
	v_add_f32_e32 v1, v1, v50
	s_cbranch_scc1 .LBB123_7
; %bb.8:                                ;   in Loop: Header=BB123_6 Depth=1
	s_or_b32 s0, s9, 4
	s_cmp_ge_i32 s0, s4
	s_barrier
	s_cbranch_scc1 .LBB123_5
; %bb.9:                                ;   in Loop: Header=BB123_6 Depth=1
	v_add_u32_e32 v64, s9, v130
	v_add_u32_e32 v50, v64, v113
	;; [unrolled: 1-line block ×6, first 2 shown]
	v_mad_i64_i32 v[50:51], s[0:1], v50, 36, v[46:47]
	v_mad_i64_i32 v[52:53], s[0:1], v52, 36, v[46:47]
	;; [unrolled: 1-line block ×5, first 2 shown]
	v_add_u32_e32 v60, v64, v123
	v_add_u32_e32 v62, v64, v125
	;; [unrolled: 1-line block ×3, first 2 shown]
	v_mad_i64_i32 v[60:61], s[0:1], v60, 36, v[46:47]
	v_mad_i64_i32 v[62:63], s[0:1], v62, 36, v[46:47]
	;; [unrolled: 1-line block ×3, first 2 shown]
	global_load_dword v66, v[50:51], off offset:4
	s_nop 0
	global_load_dword v52, v[52:53], off offset:4
	s_nop 0
	;; [unrolled: 2-line block ×3, first 2 shown]
	global_load_dword v54, v[56:57], off offset:4
	global_load_dword v55, v[58:59], off offset:4
                                        ; kill: killed $vgpr56_vgpr57
                                        ; kill: killed $vgpr58_vgpr59
	s_nop 0
	global_load_dword v56, v[60:61], off offset:4
	global_load_dword v57, v[62:63], off offset:4
	;; [unrolled: 1-line block ×3, first 2 shown]
	v_add_u32_e32 v50, 4, v146
	v_mad_u64_u32 v[50:51], s[0:1], v50, 36, s[2:3]
	global_load_dword v50, v[50:51], off
	s_mov_b32 s0, 12
	v_mov_b32_e32 v146, v136
	v_mov_b32_e32 v147, v135
	;; [unrolled: 1-line block ×7, first 2 shown]
	s_waitcnt vmcnt(8)
	ds_write_b32 v114, v66
	s_waitcnt vmcnt(7)
	ds_write_b32 v116, v52
	s_waitcnt vmcnt(6)
	ds_write_b32 v118, v53
	s_waitcnt vmcnt(5)
	ds_write_b32 v120, v54
	s_waitcnt vmcnt(4)
	ds_write_b32 v122, v55
	s_waitcnt vmcnt(3)
	ds_write_b32 v124, v56
	s_waitcnt vmcnt(2)
	ds_write_b32 v126, v57
	s_waitcnt vmcnt(1)
	ds_write_b32 v128, v58
	s_waitcnt vmcnt(0)
	ds_write_b32 v112, v50
	s_waitcnt lgkmcnt(0)
	s_barrier
.LBB123_10:                             ;   Parent Loop BB123_6 Depth=1
                                        ; =>  This Inner Loop Header: Depth=2
	ds_read_b128 v[158:161], v147
	ds_read_b128 v[162:165], v147 offset:16
	ds_read2_b32 v[82:83], v146 offset1:32
	ds_read_b32 v153, v149
	ds_read2_b32 v[50:51], v148 offset1:1
	ds_read2_b32 v[54:55], v148 offset0:2 offset1:3
	ds_read2_b32 v[56:57], v148 offset0:4 offset1:5
	;; [unrolled: 1-line block ×3, first 2 shown]
	v_mov_b32_e32 v52, 0
	s_waitcnt lgkmcnt(3)
	v_dot4c_i32_i8_e32 v52, v50, v158
	v_dot4c_i32_i8_e32 v52, v51, v162
	s_waitcnt lgkmcnt(2)
	v_dot4c_i32_i8_e32 v52, v54, v159
	v_dot4c_i32_i8_e32 v52, v55, v163
	;; [unrolled: 3-line block ×4, first 2 shown]
	v_pk_mul_f16 v53, v82, v153
	v_add_u32_e32 v58, 0x2088, v148
	v_add_u32_e32 v63, 0x2090, v148
	v_cvt_f32_i32_e32 v52, v52
	v_mov_b32_e32 v62, 0
	v_add_u32_e32 v66, 0x4108, v148
	v_add_u32_e32 v70, 0x4110, v148
	v_fma_mix_f32 v52, v53, v52, v53 op_sel:[0,0,1] op_sel_hi:[1,0,1]
	v_add_f32_e32 v86, v86, v52
	v_add_u32_e32 v52, 0x2080, v148
	ds_read_b32 v154, v150
	ds_read2_b32 v[52:53], v52 offset1:1
	ds_read2_b32 v[58:59], v58 offset1:1
	;; [unrolled: 1-line block ×3, first 2 shown]
	v_add_u32_e32 v63, 0x2098, v148
	ds_read2_b32 v[68:69], v63 offset1:1
	s_waitcnt lgkmcnt(3)
	v_dot4c_i32_i8_e32 v62, v52, v158
	v_dot4c_i32_i8_e32 v62, v53, v162
	s_waitcnt lgkmcnt(2)
	v_dot4c_i32_i8_e32 v62, v58, v159
	v_dot4c_i32_i8_e32 v62, v59, v163
	;; [unrolled: 3-line block ×4, first 2 shown]
	v_pk_mul_f16 v63, v82, v154
	v_mov_b32_e32 v72, 0
	v_add_u32_e32 v73, 0x4118, v148
	v_cvt_f32_i32_e32 v62, v62
	v_add_u32_e32 v76, 0x6188, v148
	v_add_u32_e32 v78, 0x6190, v148
	v_mov_b32_e32 v157, 0
	v_fma_mix_f32 v62, v63, v62, v63 op_sel:[0,0,1] op_sel_hi:[1,0,1]
	v_add_f32_e32 v109, v109, v62
	v_add_u32_e32 v62, 0x4100, v148
	ds_read_b32 v155, v151
	ds_read2_b32 v[62:63], v62 offset1:1
	ds_read2_b32 v[66:67], v66 offset1:1
	;; [unrolled: 1-line block ×4, first 2 shown]
	s_waitcnt lgkmcnt(4)
	v_pk_mul_f16 v73, v82, v155
	s_waitcnt lgkmcnt(3)
	v_dot4c_i32_i8_e32 v72, v62, v158
	v_dot4c_i32_i8_e32 v72, v63, v162
	s_waitcnt lgkmcnt(2)
	v_dot4c_i32_i8_e32 v72, v66, v159
	v_dot4c_i32_i8_e32 v72, v67, v163
	;; [unrolled: 3-line block ×4, first 2 shown]
	v_add_u32_e32 v80, 0x6198, v148
	s_add_i32 s0, s0, 4
	v_add_u32_e32 v151, 4, v151
	v_cvt_f32_i32_e32 v72, v72
	v_add_u32_e32 v150, 4, v150
	v_add_u32_e32 v149, 4, v149
	s_cmp_lt_u32 s0, 28
	v_fma_mix_f32 v72, v73, v72, v73 op_sel:[0,0,1] op_sel_hi:[1,0,1]
	v_add_f32_e32 v101, v101, v72
	v_add_u32_e32 v72, 0x6180, v148
	ds_read_b32 v156, v152
	ds_read2_b32 v[72:73], v72 offset1:1
	ds_read2_b32 v[76:77], v76 offset1:1
	;; [unrolled: 1-line block ×4, first 2 shown]
	s_waitcnt lgkmcnt(4)
	v_pk_mul_f16 v82, v82, v156
	s_waitcnt lgkmcnt(3)
	v_dot4c_i32_i8_e32 v157, v72, v158
	v_dot4c_i32_i8_e32 v157, v73, v162
	s_waitcnt lgkmcnt(2)
	v_dot4c_i32_i8_e32 v157, v76, v159
	v_dot4c_i32_i8_e32 v157, v77, v163
	;; [unrolled: 3-line block ×4, first 2 shown]
	ds_read_b128 v[158:161], v147 offset:1024
	ds_read_b128 v[162:165], v147 offset:1040
	v_add_u32_e32 v152, 4, v152
	v_cvt_f32_i32_e32 v157, v157
	v_add_u32_e32 v148, 32, v148
	v_fma_mix_f32 v82, v82, v157, v82 op_sel:[0,0,1] op_sel_hi:[1,0,1]
	v_add_f32_e32 v93, v93, v82
	v_mov_b32_e32 v82, 0
	s_waitcnt lgkmcnt(1)
	v_dot4c_i32_i8_e32 v82, v50, v158
	s_waitcnt lgkmcnt(0)
	v_dot4c_i32_i8_e32 v82, v51, v162
	v_dot4c_i32_i8_e32 v82, v54, v159
	;; [unrolled: 1-line block ×7, first 2 shown]
	v_pk_mul_f16 v157, v153, v83
	s_nop 1
	v_cvt_f32_i32_e32 v82, v82
	v_fma_mix_f32 v82, v82, v157, v157 op_sel:[0,0,1] op_sel_hi:[0,1,1]
	v_add_f32_e32 v91, v91, v82
	v_mov_b32_e32 v82, 0
	v_dot4c_i32_i8_e32 v82, v52, v158
	v_dot4c_i32_i8_e32 v82, v53, v162
	;; [unrolled: 1-line block ×8, first 2 shown]
	v_pk_mul_f16 v157, v154, v83
	s_nop 1
	v_cvt_f32_i32_e32 v82, v82
	v_fma_mix_f32 v82, v82, v157, v157 op_sel:[0,0,1] op_sel_hi:[0,1,1]
	v_add_f32_e32 v90, v90, v82
	v_mov_b32_e32 v82, 0
	v_dot4c_i32_i8_e32 v82, v62, v158
	v_dot4c_i32_i8_e32 v82, v63, v162
	;; [unrolled: 1-line block ×8, first 2 shown]
	v_pk_mul_f16 v157, v155, v83
	v_pk_mul_f16 v83, v156, v83
	s_nop 0
	v_cvt_f32_i32_e32 v82, v82
	v_fma_mix_f32 v82, v82, v157, v157 op_sel:[0,0,1] op_sel_hi:[0,1,1]
	v_add_f32_e32 v88, v88, v82
	v_mov_b32_e32 v82, 0
	v_dot4c_i32_i8_e32 v82, v72, v158
	v_dot4c_i32_i8_e32 v82, v73, v162
	;; [unrolled: 1-line block ×8, first 2 shown]
	v_mov_b32_e32 v157, 0
	s_nop 1
	v_cvt_f32_i32_e32 v82, v82
	v_fma_mix_f32 v82, v82, v83, v83 op_sel:[0,0,1] op_sel_hi:[0,1,1]
	v_add_f32_e32 v87, v87, v82
	ds_read_b128 v[158:161], v147 offset:2048
	ds_read_b128 v[162:165], v147 offset:2064
	ds_read2_b32 v[82:83], v146 offset0:64 offset1:96
	s_waitcnt lgkmcnt(2)
	v_dot4c_i32_i8_e32 v157, v50, v158
	s_waitcnt lgkmcnt(1)
	v_dot4c_i32_i8_e32 v157, v51, v162
	v_dot4c_i32_i8_e32 v157, v54, v159
	;; [unrolled: 1-line block ×7, first 2 shown]
	s_waitcnt lgkmcnt(0)
	v_pk_mul_f16 v166, v153, v82
	s_nop 0
	v_cvt_f32_i32_e32 v157, v157
	v_fma_mix_f32 v157, v157, v166, v166 op_sel:[0,0,1] op_sel_hi:[0,1,1]
	v_add_f32_e32 v85, v85, v157
	v_mov_b32_e32 v157, 0
	v_dot4c_i32_i8_e32 v157, v52, v158
	v_dot4c_i32_i8_e32 v157, v53, v162
	;; [unrolled: 1-line block ×8, first 2 shown]
	v_pk_mul_f16 v166, v154, v82
	s_nop 1
	v_cvt_f32_i32_e32 v157, v157
	v_fma_mix_f32 v157, v157, v166, v166 op_sel:[0,0,1] op_sel_hi:[0,1,1]
	v_add_f32_e32 v49, v49, v157
	v_mov_b32_e32 v157, 0
	v_dot4c_i32_i8_e32 v157, v62, v158
	v_dot4c_i32_i8_e32 v157, v63, v162
	;; [unrolled: 1-line block ×8, first 2 shown]
	v_pk_mul_f16 v166, v155, v82
	v_pk_mul_f16 v82, v156, v82
	s_nop 0
	v_cvt_f32_i32_e32 v157, v157
	v_fma_mix_f32 v157, v157, v166, v166 op_sel:[0,0,1] op_sel_hi:[0,1,1]
	v_add_f32_e32 v43, v43, v157
	v_mov_b32_e32 v157, 0
	v_dot4c_i32_i8_e32 v157, v72, v158
	v_dot4c_i32_i8_e32 v157, v73, v162
	;; [unrolled: 1-line block ×8, first 2 shown]
	ds_read_b128 v[158:161], v147 offset:3072
	ds_read_b128 v[162:165], v147 offset:3088
	s_nop 0
	v_cvt_f32_i32_e32 v157, v157
	v_fma_mix_f32 v82, v157, v82, v82 op_sel:[0,0,1] op_sel_hi:[0,1,1]
	v_add_f32_e32 v41, v41, v82
	v_mov_b32_e32 v82, 0
	s_waitcnt lgkmcnt(1)
	v_dot4c_i32_i8_e32 v82, v50, v158
	s_waitcnt lgkmcnt(0)
	v_dot4c_i32_i8_e32 v82, v51, v162
	v_dot4c_i32_i8_e32 v82, v54, v159
	;; [unrolled: 1-line block ×7, first 2 shown]
	v_pk_mul_f16 v157, v153, v83
	s_nop 1
	v_cvt_f32_i32_e32 v82, v82
	v_fma_mix_f32 v82, v82, v157, v157 op_sel:[0,0,1] op_sel_hi:[0,1,1]
	v_add_f32_e32 v39, v39, v82
	v_mov_b32_e32 v82, 0
	v_dot4c_i32_i8_e32 v82, v52, v158
	v_dot4c_i32_i8_e32 v82, v53, v162
	;; [unrolled: 1-line block ×8, first 2 shown]
	v_pk_mul_f16 v157, v154, v83
	s_nop 1
	v_cvt_f32_i32_e32 v82, v82
	v_fma_mix_f32 v82, v82, v157, v157 op_sel:[0,0,1] op_sel_hi:[0,1,1]
	v_add_f32_e32 v37, v37, v82
	v_mov_b32_e32 v82, 0
	v_dot4c_i32_i8_e32 v82, v62, v158
	v_dot4c_i32_i8_e32 v82, v63, v162
	;; [unrolled: 1-line block ×8, first 2 shown]
	v_pk_mul_f16 v157, v155, v83
	v_pk_mul_f16 v83, v156, v83
	s_nop 0
	v_cvt_f32_i32_e32 v82, v82
	v_fma_mix_f32 v82, v82, v157, v157 op_sel:[0,0,1] op_sel_hi:[0,1,1]
	v_add_f32_e32 v35, v35, v82
	v_mov_b32_e32 v82, 0
	v_dot4c_i32_i8_e32 v82, v72, v158
	v_dot4c_i32_i8_e32 v82, v73, v162
	;; [unrolled: 1-line block ×8, first 2 shown]
	v_mov_b32_e32 v157, 0
	s_nop 1
	v_cvt_f32_i32_e32 v82, v82
	v_fma_mix_f32 v82, v82, v83, v83 op_sel:[0,0,1] op_sel_hi:[0,1,1]
	v_add_f32_e32 v33, v33, v82
	ds_read_b128 v[158:161], v147 offset:4096
	ds_read_b128 v[162:165], v147 offset:4112
	ds_read2_b32 v[82:83], v146 offset0:128 offset1:160
	s_waitcnt lgkmcnt(2)
	v_dot4c_i32_i8_e32 v157, v50, v158
	s_waitcnt lgkmcnt(1)
	v_dot4c_i32_i8_e32 v157, v51, v162
	v_dot4c_i32_i8_e32 v157, v54, v159
	;; [unrolled: 1-line block ×7, first 2 shown]
	s_waitcnt lgkmcnt(0)
	v_pk_mul_f16 v166, v153, v82
	s_nop 0
	v_cvt_f32_i32_e32 v157, v157
	v_fma_mix_f32 v157, v157, v166, v166 op_sel:[0,0,1] op_sel_hi:[0,1,1]
	v_add_f32_e32 v31, v31, v157
	v_mov_b32_e32 v157, 0
	v_dot4c_i32_i8_e32 v157, v52, v158
	v_dot4c_i32_i8_e32 v157, v53, v162
	;; [unrolled: 1-line block ×8, first 2 shown]
	v_pk_mul_f16 v166, v154, v82
	s_nop 1
	v_cvt_f32_i32_e32 v157, v157
	v_fma_mix_f32 v157, v157, v166, v166 op_sel:[0,0,1] op_sel_hi:[0,1,1]
	v_add_f32_e32 v29, v29, v157
	v_mov_b32_e32 v157, 0
	v_dot4c_i32_i8_e32 v157, v62, v158
	v_dot4c_i32_i8_e32 v157, v63, v162
	;; [unrolled: 1-line block ×8, first 2 shown]
	v_pk_mul_f16 v166, v155, v82
	v_pk_mul_f16 v82, v156, v82
	s_nop 0
	v_cvt_f32_i32_e32 v157, v157
	v_fma_mix_f32 v157, v157, v166, v166 op_sel:[0,0,1] op_sel_hi:[0,1,1]
	v_add_f32_e32 v27, v27, v157
	v_mov_b32_e32 v157, 0
	v_dot4c_i32_i8_e32 v157, v72, v158
	v_dot4c_i32_i8_e32 v157, v73, v162
	;; [unrolled: 1-line block ×8, first 2 shown]
	ds_read_b128 v[158:161], v147 offset:5120
	ds_read_b128 v[162:165], v147 offset:5136
	s_nop 0
	v_cvt_f32_i32_e32 v157, v157
	v_fma_mix_f32 v82, v157, v82, v82 op_sel:[0,0,1] op_sel_hi:[0,1,1]
	v_add_f32_e32 v25, v25, v82
	v_mov_b32_e32 v82, 0
	s_waitcnt lgkmcnt(1)
	v_dot4c_i32_i8_e32 v82, v50, v158
	s_waitcnt lgkmcnt(0)
	v_dot4c_i32_i8_e32 v82, v51, v162
	v_dot4c_i32_i8_e32 v82, v54, v159
	;; [unrolled: 1-line block ×7, first 2 shown]
	v_pk_mul_f16 v157, v153, v83
	s_nop 1
	v_cvt_f32_i32_e32 v82, v82
	v_fma_mix_f32 v82, v82, v157, v157 op_sel:[0,0,1] op_sel_hi:[0,1,1]
	v_add_f32_e32 v23, v23, v82
	v_mov_b32_e32 v82, 0
	v_dot4c_i32_i8_e32 v82, v52, v158
	v_dot4c_i32_i8_e32 v82, v53, v162
	v_dot4c_i32_i8_e32 v82, v58, v159
	v_dot4c_i32_i8_e32 v82, v59, v163
	v_dot4c_i32_i8_e32 v82, v64, v160
	v_dot4c_i32_i8_e32 v82, v65, v164
	v_dot4c_i32_i8_e32 v82, v68, v161
	v_dot4c_i32_i8_e32 v82, v69, v165
	v_pk_mul_f16 v157, v154, v83
	s_nop 1
	v_cvt_f32_i32_e32 v82, v82
	v_fma_mix_f32 v82, v82, v157, v157 op_sel:[0,0,1] op_sel_hi:[0,1,1]
	v_add_f32_e32 v21, v21, v82
	v_mov_b32_e32 v82, 0
	v_dot4c_i32_i8_e32 v82, v62, v158
	v_dot4c_i32_i8_e32 v82, v63, v162
	;; [unrolled: 1-line block ×8, first 2 shown]
	v_pk_mul_f16 v157, v155, v83
	v_pk_mul_f16 v83, v156, v83
	s_nop 0
	v_cvt_f32_i32_e32 v82, v82
	v_fma_mix_f32 v82, v82, v157, v157 op_sel:[0,0,1] op_sel_hi:[0,1,1]
	v_add_f32_e32 v19, v19, v82
	v_mov_b32_e32 v82, 0
	v_dot4c_i32_i8_e32 v82, v72, v158
	v_dot4c_i32_i8_e32 v82, v73, v162
	;; [unrolled: 1-line block ×8, first 2 shown]
	v_mov_b32_e32 v157, 0
	s_nop 1
	v_cvt_f32_i32_e32 v82, v82
	v_fma_mix_f32 v82, v82, v83, v83 op_sel:[0,0,1] op_sel_hi:[0,1,1]
	v_add_f32_e32 v17, v17, v82
	ds_read_b128 v[158:161], v147 offset:6144
	ds_read_b128 v[162:165], v147 offset:6160
	ds_read2_b32 v[82:83], v146 offset0:192 offset1:224
	v_add_u32_e32 v146, 4, v146
	s_waitcnt lgkmcnt(2)
	v_dot4c_i32_i8_e32 v157, v50, v158
	s_waitcnt lgkmcnt(1)
	v_dot4c_i32_i8_e32 v157, v51, v162
	v_dot4c_i32_i8_e32 v157, v54, v159
	;; [unrolled: 1-line block ×7, first 2 shown]
	s_waitcnt lgkmcnt(0)
	v_pk_mul_f16 v166, v153, v82
	s_nop 0
	v_cvt_f32_i32_e32 v157, v157
	v_fma_mix_f32 v157, v157, v166, v166 op_sel:[0,0,1] op_sel_hi:[0,1,1]
	v_add_f32_e32 v15, v15, v157
	v_mov_b32_e32 v157, 0
	v_dot4c_i32_i8_e32 v157, v52, v158
	v_dot4c_i32_i8_e32 v157, v53, v162
	;; [unrolled: 1-line block ×8, first 2 shown]
	v_pk_mul_f16 v166, v154, v82
	s_nop 1
	v_cvt_f32_i32_e32 v157, v157
	v_fma_mix_f32 v157, v157, v166, v166 op_sel:[0,0,1] op_sel_hi:[0,1,1]
	v_add_f32_e32 v13, v13, v157
	v_mov_b32_e32 v157, 0
	v_dot4c_i32_i8_e32 v157, v62, v158
	v_dot4c_i32_i8_e32 v157, v63, v162
	;; [unrolled: 1-line block ×8, first 2 shown]
	v_pk_mul_f16 v166, v155, v82
	v_pk_mul_f16 v82, v156, v82
	s_nop 0
	v_cvt_f32_i32_e32 v157, v157
	v_fma_mix_f32 v157, v157, v166, v166 op_sel:[0,0,1] op_sel_hi:[0,1,1]
	v_add_f32_e32 v11, v11, v157
	v_mov_b32_e32 v157, 0
	v_dot4c_i32_i8_e32 v157, v72, v158
	v_dot4c_i32_i8_e32 v157, v73, v162
	;; [unrolled: 1-line block ×8, first 2 shown]
	ds_read_b128 v[158:161], v147 offset:7168
	ds_read_b128 v[162:165], v147 offset:7184
	v_add_u32_e32 v147, 32, v147
	v_cvt_f32_i32_e32 v157, v157
	v_fma_mix_f32 v82, v157, v82, v82 op_sel:[0,0,1] op_sel_hi:[0,1,1]
	v_add_f32_e32 v9, v9, v82
	v_mov_b32_e32 v82, 0
	s_waitcnt lgkmcnt(1)
	v_dot4c_i32_i8_e32 v82, v50, v158
	s_waitcnt lgkmcnt(0)
	v_dot4c_i32_i8_e32 v82, v51, v162
	v_dot4c_i32_i8_e32 v82, v54, v159
	v_dot4c_i32_i8_e32 v82, v55, v163
	v_dot4c_i32_i8_e32 v82, v56, v160
	v_dot4c_i32_i8_e32 v82, v57, v164
	v_dot4c_i32_i8_e32 v82, v60, v161
	v_dot4c_i32_i8_e32 v82, v61, v165
	v_pk_mul_f16 v50, v153, v83
	s_nop 1
	v_cvt_f32_i32_e32 v51, v82
	v_fma_mix_f32 v50, v51, v50, v50 op_sel:[0,0,1] op_sel_hi:[0,1,1]
	v_add_f32_e32 v7, v7, v50
	v_mov_b32_e32 v50, 0
	v_dot4c_i32_i8_e32 v50, v52, v158
	v_dot4c_i32_i8_e32 v50, v53, v162
	v_dot4c_i32_i8_e32 v50, v58, v159
	v_dot4c_i32_i8_e32 v50, v59, v163
	v_dot4c_i32_i8_e32 v50, v64, v160
	v_dot4c_i32_i8_e32 v50, v65, v164
	v_dot4c_i32_i8_e32 v50, v68, v161
	v_dot4c_i32_i8_e32 v50, v69, v165
	v_pk_mul_f16 v51, v154, v83
	s_nop 1
	v_cvt_f32_i32_e32 v50, v50
	v_fma_mix_f32 v50, v50, v51, v51 op_sel:[0,0,1] op_sel_hi:[0,1,1]
	v_add_f32_e32 v5, v5, v50
	v_mov_b32_e32 v50, 0
	v_dot4c_i32_i8_e32 v50, v62, v158
	;; [unrolled: 14-line block ×3, first 2 shown]
	v_dot4c_i32_i8_e32 v50, v73, v162
	v_dot4c_i32_i8_e32 v50, v76, v159
	;; [unrolled: 1-line block ×7, first 2 shown]
	v_pk_mul_f16 v51, v156, v83
	s_nop 1
	v_cvt_f32_i32_e32 v50, v50
	v_fma_mix_f32 v50, v50, v51, v51 op_sel:[0,0,1] op_sel_hi:[0,1,1]
	v_add_f32_e32 v1, v1, v50
	s_cbranch_scc1 .LBB123_10
; %bb.11:                               ;   in Loop: Header=BB123_6 Depth=1
	s_barrier
	s_branch .LBB123_5
.LBB123_12:
	v_mov_b32_e32 v2, v84
.LBB123_13:
	v_cmp_gt_u32_e32 vcc, s8, v89
	s_and_saveexec_b64 s[0:1], vcc
	s_cbranch_execz .LBB123_64
; %bb.14:
	v_add_u32_e32 v0, s6, v45
	v_mul_lo_u32 v10, v89, s10
	v_cmp_gt_u32_e32 vcc, s10, v0
	s_and_saveexec_b64 s[2:3], vcc
	s_cbranch_execz .LBB123_16
; %bb.15:
	v_add_u32_e32 v44, v0, v10
	v_mov_b32_e32 v45, 0
	v_lshlrev_b64 v[44:45], 2, v[44:45]
	s_waitcnt lgkmcnt(0)
	v_mov_b32_e32 v4, s13
	v_add_co_u32_e64 v44, s[0:1], s12, v44
	v_addc_co_u32_e64 v45, s[0:1], v4, v45, s[0:1]
	global_store_dword v[44:45], v86, off
.LBB123_16:
	s_or_b64 exec, exec, s[2:3]
	v_add_u32_e32 v4, 32, v0
	v_cmp_gt_u32_e64 s[0:1], s10, v4
	s_and_saveexec_b64 s[4:5], s[0:1]
	s_cbranch_execz .LBB123_18
; %bb.17:
	v_add_u32_e32 v44, v4, v10
	v_mov_b32_e32 v45, 0
	v_lshlrev_b64 v[44:45], 2, v[44:45]
	s_waitcnt lgkmcnt(0)
	v_mov_b32_e32 v6, s13
	v_add_co_u32_e64 v44, s[2:3], s12, v44
	v_addc_co_u32_e64 v45, s[2:3], v6, v45, s[2:3]
	global_store_dword v[44:45], v109, off
.LBB123_18:
	s_or_b64 exec, exec, s[4:5]
	v_add_u32_e32 v6, 64, v0
	v_cmp_gt_u32_e64 s[2:3], s10, v6
	s_and_saveexec_b64 s[6:7], s[2:3]
	;; [unrolled: 15-line block ×3, first 2 shown]
	s_cbranch_execz .LBB123_22
; %bb.21:
	v_add_u32_e32 v44, v8, v10
	v_mov_b32_e32 v45, 0
	v_lshlrev_b64 v[44:45], 2, v[44:45]
	s_waitcnt lgkmcnt(0)
	v_mov_b32_e32 v10, s13
	v_add_co_u32_e64 v44, s[6:7], s12, v44
	v_addc_co_u32_e64 v45, s[6:7], v10, v45, s[6:7]
	global_store_dword v[44:45], v93, off
.LBB123_22:
	s_or_b64 exec, exec, s[14:15]
	v_add3_u32 v10, v2, s11, 8
	v_cmp_gt_u32_e64 s[6:7], s8, v10
	s_and_b64 exec, exec, s[6:7]
	s_cbranch_execz .LBB123_64
; %bb.23:
	v_mul_lo_u32 v10, v10, s10
	s_and_saveexec_b64 s[14:15], vcc
	s_cbranch_execnz .LBB123_65
; %bb.24:
	s_or_b64 exec, exec, s[14:15]
	s_and_saveexec_b64 s[14:15], s[0:1]
	s_cbranch_execnz .LBB123_66
.LBB123_25:
	s_or_b64 exec, exec, s[14:15]
	s_and_saveexec_b64 s[14:15], s[2:3]
	s_cbranch_execnz .LBB123_67
.LBB123_26:
	s_or_b64 exec, exec, s[14:15]
	s_and_saveexec_b64 s[14:15], s[4:5]
	s_cbranch_execz .LBB123_28
.LBB123_27:
	v_add_u32_e32 v44, v10, v8
	v_mov_b32_e32 v45, 0
	v_lshlrev_b64 v[44:45], 2, v[44:45]
	s_waitcnt lgkmcnt(0)
	v_mov_b32_e32 v10, s13
	v_add_co_u32_e64 v44, s[6:7], s12, v44
	v_addc_co_u32_e64 v45, s[6:7], v10, v45, s[6:7]
	global_store_dword v[44:45], v87, off
.LBB123_28:
	s_or_b64 exec, exec, s[14:15]
	v_add3_u32 v10, v2, s11, 16
	v_cmp_gt_u32_e64 s[6:7], s8, v10
	s_and_b64 exec, exec, s[6:7]
	s_cbranch_execz .LBB123_64
; %bb.29:
	v_mul_lo_u32 v10, v10, s10
	s_and_saveexec_b64 s[14:15], vcc
	s_cbranch_execnz .LBB123_68
; %bb.30:
	s_or_b64 exec, exec, s[14:15]
	s_and_saveexec_b64 s[14:15], s[0:1]
	s_cbranch_execnz .LBB123_69
.LBB123_31:
	s_or_b64 exec, exec, s[14:15]
	s_and_saveexec_b64 s[14:15], s[2:3]
	s_cbranch_execnz .LBB123_70
.LBB123_32:
	s_or_b64 exec, exec, s[14:15]
	s_and_saveexec_b64 s[14:15], s[4:5]
	s_cbranch_execz .LBB123_34
.LBB123_33:
	v_add_u32_e32 v42, v10, v8
	v_mov_b32_e32 v43, 0
	v_lshlrev_b64 v[42:43], 2, v[42:43]
	s_waitcnt lgkmcnt(0)
	v_mov_b32_e32 v10, s13
	v_add_co_u32_e64 v42, s[6:7], s12, v42
	v_addc_co_u32_e64 v43, s[6:7], v10, v43, s[6:7]
	global_store_dword v[42:43], v41, off
.LBB123_34:
	s_or_b64 exec, exec, s[14:15]
	v_add3_u32 v10, v2, s11, 24
	v_cmp_gt_u32_e64 s[6:7], s8, v10
	s_and_b64 exec, exec, s[6:7]
	s_cbranch_execz .LBB123_64
; %bb.35:
	v_mul_lo_u32 v10, v10, s10
	s_and_saveexec_b64 s[14:15], vcc
	s_cbranch_execnz .LBB123_71
; %bb.36:
	s_or_b64 exec, exec, s[14:15]
	s_and_saveexec_b64 s[14:15], s[0:1]
	s_cbranch_execnz .LBB123_72
.LBB123_37:
	s_or_b64 exec, exec, s[14:15]
	s_and_saveexec_b64 s[14:15], s[2:3]
	s_cbranch_execnz .LBB123_73
.LBB123_38:
	s_or_b64 exec, exec, s[14:15]
	s_and_saveexec_b64 s[14:15], s[4:5]
	s_cbranch_execz .LBB123_40
.LBB123_39:
	v_add_u32_e32 v34, v10, v8
	v_mov_b32_e32 v35, 0
	v_lshlrev_b64 v[34:35], 2, v[34:35]
	s_waitcnt lgkmcnt(0)
	v_mov_b32_e32 v10, s13
	v_add_co_u32_e64 v34, s[6:7], s12, v34
	v_addc_co_u32_e64 v35, s[6:7], v10, v35, s[6:7]
	global_store_dword v[34:35], v33, off
.LBB123_40:
	s_or_b64 exec, exec, s[14:15]
	v_add3_u32 v10, v2, s11, 32
	v_cmp_gt_u32_e64 s[6:7], s8, v10
	s_and_b64 exec, exec, s[6:7]
	s_cbranch_execz .LBB123_64
; %bb.41:
	v_mul_lo_u32 v10, v10, s10
	s_and_saveexec_b64 s[14:15], vcc
	s_cbranch_execnz .LBB123_74
; %bb.42:
	s_or_b64 exec, exec, s[14:15]
	s_and_saveexec_b64 s[14:15], s[0:1]
	s_cbranch_execnz .LBB123_75
.LBB123_43:
	s_or_b64 exec, exec, s[14:15]
	s_and_saveexec_b64 s[14:15], s[2:3]
	s_cbranch_execnz .LBB123_76
.LBB123_44:
	s_or_b64 exec, exec, s[14:15]
	s_and_saveexec_b64 s[14:15], s[4:5]
	s_cbranch_execz .LBB123_46
.LBB123_45:
	v_add_u32_e32 v26, v10, v8
	v_mov_b32_e32 v27, 0
	v_lshlrev_b64 v[26:27], 2, v[26:27]
	s_waitcnt lgkmcnt(0)
	v_mov_b32_e32 v10, s13
	v_add_co_u32_e64 v26, s[6:7], s12, v26
	v_addc_co_u32_e64 v27, s[6:7], v10, v27, s[6:7]
	global_store_dword v[26:27], v25, off
.LBB123_46:
	s_or_b64 exec, exec, s[14:15]
	v_add3_u32 v10, v2, s11, 40
	v_cmp_gt_u32_e64 s[6:7], s8, v10
	s_and_b64 exec, exec, s[6:7]
	s_cbranch_execz .LBB123_64
; %bb.47:
	v_mul_lo_u32 v10, v10, s10
	s_and_saveexec_b64 s[14:15], vcc
	s_cbranch_execnz .LBB123_77
; %bb.48:
	s_or_b64 exec, exec, s[14:15]
	s_and_saveexec_b64 s[14:15], s[0:1]
	s_cbranch_execnz .LBB123_78
.LBB123_49:
	s_or_b64 exec, exec, s[14:15]
	s_and_saveexec_b64 s[14:15], s[2:3]
	s_cbranch_execnz .LBB123_79
.LBB123_50:
	s_or_b64 exec, exec, s[14:15]
	s_and_saveexec_b64 s[14:15], s[4:5]
	s_cbranch_execz .LBB123_52
.LBB123_51:
	v_add_u32_e32 v18, v10, v8
	v_mov_b32_e32 v19, 0
	v_lshlrev_b64 v[18:19], 2, v[18:19]
	s_waitcnt lgkmcnt(0)
	v_mov_b32_e32 v10, s13
	v_add_co_u32_e64 v18, s[6:7], s12, v18
	v_addc_co_u32_e64 v19, s[6:7], v10, v19, s[6:7]
	global_store_dword v[18:19], v17, off
.LBB123_52:
	s_or_b64 exec, exec, s[14:15]
	v_add3_u32 v10, v2, s11, 48
	v_cmp_gt_u32_e64 s[6:7], s8, v10
	s_and_b64 exec, exec, s[6:7]
	s_cbranch_execz .LBB123_64
; %bb.53:
	v_mul_lo_u32 v10, v10, s10
	s_and_saveexec_b64 s[14:15], vcc
	s_cbranch_execnz .LBB123_80
; %bb.54:
	s_or_b64 exec, exec, s[14:15]
	s_and_saveexec_b64 s[14:15], s[0:1]
	s_cbranch_execnz .LBB123_81
.LBB123_55:
	s_or_b64 exec, exec, s[14:15]
	s_and_saveexec_b64 s[14:15], s[2:3]
	s_cbranch_execnz .LBB123_82
.LBB123_56:
	s_or_b64 exec, exec, s[14:15]
	s_and_saveexec_b64 s[14:15], s[4:5]
	s_cbranch_execz .LBB123_58
.LBB123_57:
	v_add_u32_e32 v10, v10, v8
	v_mov_b32_e32 v11, 0
	v_lshlrev_b64 v[10:11], 2, v[10:11]
	s_waitcnt lgkmcnt(0)
	v_mov_b32_e32 v12, s13
	v_add_co_u32_e64 v10, s[6:7], s12, v10
	v_addc_co_u32_e64 v11, s[6:7], v12, v11, s[6:7]
	global_store_dword v[10:11], v9, off
.LBB123_58:
	s_or_b64 exec, exec, s[14:15]
	v_add3_u32 v2, v2, s11, 56
	v_cmp_gt_u32_e64 s[6:7], s8, v2
	s_and_b64 exec, exec, s[6:7]
	s_cbranch_execz .LBB123_64
; %bb.59:
	v_mul_lo_u32 v2, v2, s10
	s_and_saveexec_b64 s[6:7], vcc
	s_cbranch_execnz .LBB123_83
; %bb.60:
	s_or_b64 exec, exec, s[6:7]
	s_and_saveexec_b64 s[6:7], s[0:1]
	s_cbranch_execnz .LBB123_84
.LBB123_61:
	s_or_b64 exec, exec, s[6:7]
	s_and_saveexec_b64 s[0:1], s[2:3]
	s_cbranch_execnz .LBB123_85
.LBB123_62:
	s_or_b64 exec, exec, s[0:1]
	s_and_b64 exec, exec, s[4:5]
	s_cbranch_execz .LBB123_64
.LBB123_63:
	v_add_u32_e32 v2, v2, v8
	v_mov_b32_e32 v3, 0
	v_lshlrev_b64 v[2:3], 2, v[2:3]
	s_waitcnt lgkmcnt(0)
	v_mov_b32_e32 v0, s13
	v_add_co_u32_e32 v2, vcc, s12, v2
	v_addc_co_u32_e32 v3, vcc, v0, v3, vcc
	global_store_dword v[2:3], v1, off
.LBB123_64:
	s_endpgm
.LBB123_65:
	v_add_u32_e32 v44, v10, v0
	v_mov_b32_e32 v45, 0
	v_lshlrev_b64 v[44:45], 2, v[44:45]
	s_waitcnt lgkmcnt(0)
	v_mov_b32_e32 v12, s13
	v_add_co_u32_e64 v44, s[6:7], s12, v44
	v_addc_co_u32_e64 v45, s[6:7], v12, v45, s[6:7]
	global_store_dword v[44:45], v91, off
	s_or_b64 exec, exec, s[14:15]
	s_and_saveexec_b64 s[14:15], s[0:1]
	s_cbranch_execz .LBB123_25
.LBB123_66:
	v_add_u32_e32 v44, v10, v4
	v_mov_b32_e32 v45, 0
	v_lshlrev_b64 v[44:45], 2, v[44:45]
	s_waitcnt lgkmcnt(0)
	v_mov_b32_e32 v12, s13
	v_add_co_u32_e64 v44, s[6:7], s12, v44
	v_addc_co_u32_e64 v45, s[6:7], v12, v45, s[6:7]
	global_store_dword v[44:45], v90, off
	s_or_b64 exec, exec, s[14:15]
	s_and_saveexec_b64 s[14:15], s[2:3]
	s_cbranch_execz .LBB123_26
.LBB123_67:
	v_add_u32_e32 v44, v10, v6
	v_mov_b32_e32 v45, 0
	v_lshlrev_b64 v[44:45], 2, v[44:45]
	s_waitcnt lgkmcnt(0)
	v_mov_b32_e32 v12, s13
	v_add_co_u32_e64 v44, s[6:7], s12, v44
	v_addc_co_u32_e64 v45, s[6:7], v12, v45, s[6:7]
	global_store_dword v[44:45], v88, off
	s_or_b64 exec, exec, s[14:15]
	s_and_saveexec_b64 s[14:15], s[4:5]
	s_cbranch_execnz .LBB123_27
	s_branch .LBB123_28
.LBB123_68:
	v_add_u32_e32 v44, v10, v0
	v_mov_b32_e32 v45, 0
	v_lshlrev_b64 v[44:45], 2, v[44:45]
	s_waitcnt lgkmcnt(0)
	v_mov_b32_e32 v12, s13
	v_add_co_u32_e64 v44, s[6:7], s12, v44
	v_addc_co_u32_e64 v45, s[6:7], v12, v45, s[6:7]
	global_store_dword v[44:45], v85, off
	s_or_b64 exec, exec, s[14:15]
	s_and_saveexec_b64 s[14:15], s[0:1]
	s_cbranch_execz .LBB123_31
.LBB123_69:
	v_add_u32_e32 v44, v10, v4
	v_mov_b32_e32 v45, 0
	v_lshlrev_b64 v[44:45], 2, v[44:45]
	s_waitcnt lgkmcnt(0)
	v_mov_b32_e32 v12, s13
	v_add_co_u32_e64 v44, s[6:7], s12, v44
	v_addc_co_u32_e64 v45, s[6:7], v12, v45, s[6:7]
	global_store_dword v[44:45], v49, off
	s_or_b64 exec, exec, s[14:15]
	s_and_saveexec_b64 s[14:15], s[2:3]
	s_cbranch_execz .LBB123_32
.LBB123_70:
	v_add_u32_e32 v44, v10, v6
	v_mov_b32_e32 v45, 0
	v_lshlrev_b64 v[44:45], 2, v[44:45]
	s_waitcnt lgkmcnt(0)
	v_mov_b32_e32 v12, s13
	v_add_co_u32_e64 v44, s[6:7], s12, v44
	v_addc_co_u32_e64 v45, s[6:7], v12, v45, s[6:7]
	global_store_dword v[44:45], v43, off
	s_or_b64 exec, exec, s[14:15]
	s_and_saveexec_b64 s[14:15], s[4:5]
	s_cbranch_execnz .LBB123_33
	s_branch .LBB123_34
.LBB123_71:
	v_add_u32_e32 v40, v10, v0
	v_mov_b32_e32 v41, 0
	v_lshlrev_b64 v[40:41], 2, v[40:41]
	s_waitcnt lgkmcnt(0)
	v_mov_b32_e32 v12, s13
	v_add_co_u32_e64 v40, s[6:7], s12, v40
	v_addc_co_u32_e64 v41, s[6:7], v12, v41, s[6:7]
	global_store_dword v[40:41], v39, off
	s_or_b64 exec, exec, s[14:15]
	s_and_saveexec_b64 s[14:15], s[0:1]
	s_cbranch_execz .LBB123_37
.LBB123_72:
	v_add_u32_e32 v38, v10, v4
	v_mov_b32_e32 v39, 0
	v_lshlrev_b64 v[38:39], 2, v[38:39]
	s_waitcnt lgkmcnt(0)
	v_mov_b32_e32 v12, s13
	v_add_co_u32_e64 v38, s[6:7], s12, v38
	v_addc_co_u32_e64 v39, s[6:7], v12, v39, s[6:7]
	global_store_dword v[38:39], v37, off
	s_or_b64 exec, exec, s[14:15]
	s_and_saveexec_b64 s[14:15], s[2:3]
	s_cbranch_execz .LBB123_38
.LBB123_73:
	v_add_u32_e32 v36, v10, v6
	v_mov_b32_e32 v37, 0
	v_lshlrev_b64 v[36:37], 2, v[36:37]
	s_waitcnt lgkmcnt(0)
	v_mov_b32_e32 v12, s13
	v_add_co_u32_e64 v36, s[6:7], s12, v36
	v_addc_co_u32_e64 v37, s[6:7], v12, v37, s[6:7]
	global_store_dword v[36:37], v35, off
	s_or_b64 exec, exec, s[14:15]
	s_and_saveexec_b64 s[14:15], s[4:5]
	s_cbranch_execnz .LBB123_39
	s_branch .LBB123_40
.LBB123_74:
	v_add_u32_e32 v32, v10, v0
	v_mov_b32_e32 v33, 0
	v_lshlrev_b64 v[32:33], 2, v[32:33]
	s_waitcnt lgkmcnt(0)
	v_mov_b32_e32 v12, s13
	v_add_co_u32_e64 v32, s[6:7], s12, v32
	v_addc_co_u32_e64 v33, s[6:7], v12, v33, s[6:7]
	global_store_dword v[32:33], v31, off
	s_or_b64 exec, exec, s[14:15]
	s_and_saveexec_b64 s[14:15], s[0:1]
	s_cbranch_execz .LBB123_43
.LBB123_75:
	v_add_u32_e32 v30, v10, v4
	v_mov_b32_e32 v31, 0
	v_lshlrev_b64 v[30:31], 2, v[30:31]
	s_waitcnt lgkmcnt(0)
	v_mov_b32_e32 v12, s13
	v_add_co_u32_e64 v30, s[6:7], s12, v30
	v_addc_co_u32_e64 v31, s[6:7], v12, v31, s[6:7]
	global_store_dword v[30:31], v29, off
	s_or_b64 exec, exec, s[14:15]
	s_and_saveexec_b64 s[14:15], s[2:3]
	s_cbranch_execz .LBB123_44
.LBB123_76:
	v_add_u32_e32 v28, v10, v6
	v_mov_b32_e32 v29, 0
	v_lshlrev_b64 v[28:29], 2, v[28:29]
	s_waitcnt lgkmcnt(0)
	v_mov_b32_e32 v12, s13
	v_add_co_u32_e64 v28, s[6:7], s12, v28
	v_addc_co_u32_e64 v29, s[6:7], v12, v29, s[6:7]
	global_store_dword v[28:29], v27, off
	s_or_b64 exec, exec, s[14:15]
	s_and_saveexec_b64 s[14:15], s[4:5]
	s_cbranch_execnz .LBB123_45
	s_branch .LBB123_46
.LBB123_77:
	v_add_u32_e32 v24, v10, v0
	v_mov_b32_e32 v25, 0
	v_lshlrev_b64 v[24:25], 2, v[24:25]
	s_waitcnt lgkmcnt(0)
	v_mov_b32_e32 v12, s13
	v_add_co_u32_e64 v24, s[6:7], s12, v24
	v_addc_co_u32_e64 v25, s[6:7], v12, v25, s[6:7]
	global_store_dword v[24:25], v23, off
	s_or_b64 exec, exec, s[14:15]
	s_and_saveexec_b64 s[14:15], s[0:1]
	s_cbranch_execz .LBB123_49
.LBB123_78:
	v_add_u32_e32 v22, v10, v4
	v_mov_b32_e32 v23, 0
	v_lshlrev_b64 v[22:23], 2, v[22:23]
	s_waitcnt lgkmcnt(0)
	v_mov_b32_e32 v12, s13
	v_add_co_u32_e64 v22, s[6:7], s12, v22
	v_addc_co_u32_e64 v23, s[6:7], v12, v23, s[6:7]
	global_store_dword v[22:23], v21, off
	s_or_b64 exec, exec, s[14:15]
	s_and_saveexec_b64 s[14:15], s[2:3]
	s_cbranch_execz .LBB123_50
.LBB123_79:
	v_add_u32_e32 v20, v10, v6
	v_mov_b32_e32 v21, 0
	v_lshlrev_b64 v[20:21], 2, v[20:21]
	s_waitcnt lgkmcnt(0)
	v_mov_b32_e32 v12, s13
	v_add_co_u32_e64 v20, s[6:7], s12, v20
	v_addc_co_u32_e64 v21, s[6:7], v12, v21, s[6:7]
	global_store_dword v[20:21], v19, off
	s_or_b64 exec, exec, s[14:15]
	s_and_saveexec_b64 s[14:15], s[4:5]
	s_cbranch_execnz .LBB123_51
	s_branch .LBB123_52
.LBB123_80:
	v_add_u32_e32 v16, v10, v0
	v_mov_b32_e32 v17, 0
	v_lshlrev_b64 v[16:17], 2, v[16:17]
	s_waitcnt lgkmcnt(0)
	v_mov_b32_e32 v12, s13
	v_add_co_u32_e64 v16, s[6:7], s12, v16
	v_addc_co_u32_e64 v17, s[6:7], v12, v17, s[6:7]
	global_store_dword v[16:17], v15, off
	s_or_b64 exec, exec, s[14:15]
	s_and_saveexec_b64 s[14:15], s[0:1]
	s_cbranch_execz .LBB123_55
.LBB123_81:
	v_add_u32_e32 v14, v10, v4
	v_mov_b32_e32 v15, 0
	v_lshlrev_b64 v[14:15], 2, v[14:15]
	s_waitcnt lgkmcnt(0)
	v_mov_b32_e32 v12, s13
	v_add_co_u32_e64 v14, s[6:7], s12, v14
	v_addc_co_u32_e64 v15, s[6:7], v12, v15, s[6:7]
	global_store_dword v[14:15], v13, off
	s_or_b64 exec, exec, s[14:15]
	s_and_saveexec_b64 s[14:15], s[2:3]
	s_cbranch_execz .LBB123_56
.LBB123_82:
	v_add_u32_e32 v12, v10, v6
	v_mov_b32_e32 v13, 0
	v_lshlrev_b64 v[12:13], 2, v[12:13]
	s_waitcnt lgkmcnt(0)
	v_mov_b32_e32 v14, s13
	v_add_co_u32_e64 v12, s[6:7], s12, v12
	v_addc_co_u32_e64 v13, s[6:7], v14, v13, s[6:7]
	global_store_dword v[12:13], v11, off
	s_or_b64 exec, exec, s[14:15]
	s_and_saveexec_b64 s[14:15], s[4:5]
	s_cbranch_execnz .LBB123_57
	s_branch .LBB123_58
.LBB123_83:
	v_add_u32_e32 v10, v2, v0
	v_mov_b32_e32 v11, 0
	v_lshlrev_b64 v[10:11], 2, v[10:11]
	s_waitcnt lgkmcnt(0)
	v_mov_b32_e32 v0, s13
	v_add_co_u32_e32 v10, vcc, s12, v10
	v_addc_co_u32_e32 v11, vcc, v0, v11, vcc
	global_store_dword v[10:11], v7, off
	s_or_b64 exec, exec, s[6:7]
	s_and_saveexec_b64 s[6:7], s[0:1]
	s_cbranch_execz .LBB123_61
.LBB123_84:
	v_add_u32_e32 v10, v2, v4
	v_mov_b32_e32 v11, 0
	v_lshlrev_b64 v[10:11], 2, v[10:11]
	s_waitcnt lgkmcnt(0)
	v_mov_b32_e32 v0, s13
	v_add_co_u32_e32 v10, vcc, s12, v10
	v_addc_co_u32_e32 v11, vcc, v0, v11, vcc
	global_store_dword v[10:11], v5, off
	s_or_b64 exec, exec, s[6:7]
	s_and_saveexec_b64 s[0:1], s[2:3]
	s_cbranch_execz .LBB123_62
.LBB123_85:
	v_add_u32_e32 v4, v2, v6
	v_mov_b32_e32 v5, 0
	v_lshlrev_b64 v[4:5], 2, v[4:5]
	s_waitcnt lgkmcnt(0)
	v_mov_b32_e32 v0, s13
	v_add_co_u32_e32 v4, vcc, s12, v4
	v_addc_co_u32_e32 v5, vcc, v0, v5, vcc
	global_store_dword v[4:5], v3, off
	s_or_b64 exec, exec, s[0:1]
	s_and_b64 exec, exec, s[4:5]
	s_cbranch_execnz .LBB123_63
	s_branch .LBB123_64
	.section	.rodata,"a",@progbits
	.p2align	6, 0x0
	.amdhsa_kernel _ZL12mul_mat_q5_1IfLb0EEvPKvS1_PT_iiiii
		.amdhsa_group_segment_fixed_size 46720
		.amdhsa_private_segment_fixed_size 0
		.amdhsa_kernarg_size 44
		.amdhsa_user_sgpr_count 6
		.amdhsa_user_sgpr_private_segment_buffer 1
		.amdhsa_user_sgpr_dispatch_ptr 0
		.amdhsa_user_sgpr_queue_ptr 0
		.amdhsa_user_sgpr_kernarg_segment_ptr 1
		.amdhsa_user_sgpr_dispatch_id 0
		.amdhsa_user_sgpr_flat_scratch_init 0
		.amdhsa_user_sgpr_kernarg_preload_length 0
		.amdhsa_user_sgpr_kernarg_preload_offset 0
		.amdhsa_user_sgpr_private_segment_size 0
		.amdhsa_uses_dynamic_stack 0
		.amdhsa_system_sgpr_private_segment_wavefront_offset 0
		.amdhsa_system_sgpr_workgroup_id_x 1
		.amdhsa_system_sgpr_workgroup_id_y 1
		.amdhsa_system_sgpr_workgroup_id_z 0
		.amdhsa_system_sgpr_workgroup_info 0
		.amdhsa_system_vgpr_workitem_id 1
		.amdhsa_next_free_vgpr 168
		.amdhsa_next_free_sgpr 17
		.amdhsa_accum_offset 168
		.amdhsa_reserve_vcc 1
		.amdhsa_reserve_flat_scratch 0
		.amdhsa_float_round_mode_32 0
		.amdhsa_float_round_mode_16_64 0
		.amdhsa_float_denorm_mode_32 3
		.amdhsa_float_denorm_mode_16_64 3
		.amdhsa_dx10_clamp 1
		.amdhsa_ieee_mode 1
		.amdhsa_fp16_overflow 0
		.amdhsa_tg_split 0
		.amdhsa_exception_fp_ieee_invalid_op 0
		.amdhsa_exception_fp_denorm_src 0
		.amdhsa_exception_fp_ieee_div_zero 0
		.amdhsa_exception_fp_ieee_overflow 0
		.amdhsa_exception_fp_ieee_underflow 0
		.amdhsa_exception_fp_ieee_inexact 0
		.amdhsa_exception_int_div_zero 0
	.end_amdhsa_kernel
	.section	.text._ZL12mul_mat_q5_1IfLb0EEvPKvS1_PT_iiiii,"axG",@progbits,_ZL12mul_mat_q5_1IfLb0EEvPKvS1_PT_iiiii,comdat
.Lfunc_end123:
	.size	_ZL12mul_mat_q5_1IfLb0EEvPKvS1_PT_iiiii, .Lfunc_end123-_ZL12mul_mat_q5_1IfLb0EEvPKvS1_PT_iiiii
                                        ; -- End function
	.section	.AMDGPU.csdata,"",@progbits
; Kernel info:
; codeLenInByte = 12976
; NumSgprs: 21
; NumVgprs: 168
; NumAgprs: 0
; TotalNumVgprs: 168
; ScratchSize: 0
; MemoryBound: 0
; FloatMode: 240
; IeeeMode: 1
; LDSByteSize: 46720 bytes/workgroup (compile time only)
; SGPRBlocks: 2
; VGPRBlocks: 20
; NumSGPRsForWavesPerEU: 21
; NumVGPRsForWavesPerEU: 168
; AccumOffset: 168
; Occupancy: 1
; WaveLimiterHint : 0
; COMPUTE_PGM_RSRC2:SCRATCH_EN: 0
; COMPUTE_PGM_RSRC2:USER_SGPR: 6
; COMPUTE_PGM_RSRC2:TRAP_HANDLER: 0
; COMPUTE_PGM_RSRC2:TGID_X_EN: 1
; COMPUTE_PGM_RSRC2:TGID_Y_EN: 1
; COMPUTE_PGM_RSRC2:TGID_Z_EN: 0
; COMPUTE_PGM_RSRC2:TIDIG_COMP_CNT: 1
; COMPUTE_PGM_RSRC3_GFX90A:ACCUM_OFFSET: 41
; COMPUTE_PGM_RSRC3_GFX90A:TG_SPLIT: 0
	.section	.text._ZL12mul_mat_q5_1IfLb1EEvPKvS1_PT_iiiii,"axG",@progbits,_ZL12mul_mat_q5_1IfLb1EEvPKvS1_PT_iiiii,comdat
	.globl	_ZL12mul_mat_q5_1IfLb1EEvPKvS1_PT_iiiii ; -- Begin function _ZL12mul_mat_q5_1IfLb1EEvPKvS1_PT_iiiii
	.p2align	8
	.type	_ZL12mul_mat_q5_1IfLb1EEvPKvS1_PT_iiiii,@function
_ZL12mul_mat_q5_1IfLb1EEvPKvS1_PT_iiiii: ; @_ZL12mul_mat_q5_1IfLb1EEvPKvS1_PT_iiiii
; %bb.0:
	s_load_dwordx4 s[8:11], s[4:5], 0x18
	s_load_dword s14, s[4:5], 0x28
	s_lshl_b32 s15, s7, 6
	v_bfe_u32 v45, v0, 10, 10
	s_waitcnt lgkmcnt(0)
	s_cmp_gt_i32 s8, 31
	s_cbranch_scc1 .LBB124_2
; %bb.1:
	v_bfe_u32 v2, v0, 10, 10
	v_and_b32_e32 v41, 0x3ff, v0
	v_add_u32_e32 v57, s15, v2
	s_mov_b64 s[0:1], 0
	s_mov_b32 s2, 0
	s_branch .LBB124_3
.LBB124_2:
	s_mov_b64 s[0:1], -1
                                        ; implicit-def: $sgpr2
                                        ; implicit-def: $vgpr2
                                        ; implicit-def: $vgpr41
                                        ; implicit-def: $vgpr57
.LBB124_3:
	s_load_dwordx2 s[12:13], s[4:5], 0x10
	s_lshl_b32 s6, s6, 7
	s_andn2_b64 vcc, exec, s[0:1]
	v_mov_b32_e32 v1, s2
	v_mov_b32_e32 v9, s2
	v_mov_b32_e32 v17, s2
	v_mov_b32_e32 v25, s2
	v_mov_b32_e32 v33, s2
	v_mov_b32_e32 v43, s2
	v_mov_b32_e32 v55, s2
	v_mov_b32_e32 v65, s2
	v_mov_b32_e32 v3, s2
	v_mov_b32_e32 v11, s2
	v_mov_b32_e32 v19, s2
	v_mov_b32_e32 v27, s2
	v_mov_b32_e32 v35, s2
	v_mov_b32_e32 v47, s2
	v_mov_b32_e32 v59, s2
	v_mov_b32_e32 v67, s2
	v_mov_b32_e32 v5, s2
	v_mov_b32_e32 v13, s2
	v_mov_b32_e32 v21, s2
	v_mov_b32_e32 v29, s2
	v_mov_b32_e32 v37, s2
	v_mov_b32_e32 v51, s2
	v_mov_b32_e32 v61, s2
	v_mov_b32_e32 v71, s2
	v_mov_b32_e32 v7, s2
	v_mov_b32_e32 v15, s2
	v_mov_b32_e32 v23, s2
	v_mov_b32_e32 v31, s2
	v_mov_b32_e32 v39, s2
	v_mov_b32_e32 v53, s2
	v_mov_b32_e32 v63, s2
	v_mov_b32_e32 v49, s2
	s_cbranch_vccnz .LBB124_13
; %bb.4:
	s_load_dwordx4 s[0:3], s[4:5], 0x0
	s_ashr_i32 s4, s8, 31
	s_lshr_b32 s4, s4, 27
	s_ashr_i32 s5, s11, 31
	s_add_i32 s4, s8, s4
	s_lshr_b32 s5, s5, 27
	s_ashr_i32 s4, s4, 5
	s_add_i32 s5, s11, s5
	s_ashr_i32 s11, s5, 5
	s_mul_i32 s5, s4, s6
	s_mul_hi_i32 s7, s5, 24
	s_mul_i32 s5, s5, 24
	s_waitcnt lgkmcnt(0)
	s_add_u32 s5, s0, s5
	s_addc_u32 s7, s1, s7
	s_not_b32 s0, s6
	s_add_i32 s1, s0, s9
	v_and_b32_e32 v41, 0x3ff, v0
	v_min_i32_e32 v1, s1, v45
	v_lshlrev_b32_e32 v66, 3, v41
	s_movk_i32 s0, 0x104
	v_mul_lo_u32 v4, v1, s4
	v_mad_u64_u32 v[6:7], s[16:17], v1, s0, v[66:67]
	v_add_u32_e32 v1, 8, v45
	v_min_i32_e32 v3, s1, v1
	v_mul_lo_u32 v8, v3, s4
	v_mad_u64_u32 v[10:11], s[16:17], v3, s0, v[66:67]
	v_add_u32_e32 v3, 16, v45
	v_min_i32_e32 v5, s1, v3
	;; [unrolled: 4-line block ×15, first 2 shown]
	v_lshrrev_b32_e32 v69, 3, v41
	v_mul_lo_u32 v64, v15, s4
	v_mad_u64_u32 v[66:67], s[16:17], v15, s0, v[66:67]
	v_lshl_add_u32 v15, v45, 2, v69
	v_min_i32_e32 v17, s1, v15
	v_add_u32_e32 v23, 32, v15
	v_add_u32_e32 v27, 64, v15
	;; [unrolled: 1-line block ×3, first 2 shown]
	v_min_i32_e32 v23, s1, v23
	v_min_i32_e32 v27, s1, v27
	v_min_i32_e32 v15, s1, v15
	v_lshlrev_b32_e32 v33, 2, v41
	v_lshrrev_b32_e32 v0, 2, v41
	v_ashrrev_i32_e32 v19, 31, v17
	v_ashrrev_i32_e32 v25, 31, v23
	;; [unrolled: 1-line block ×4, first 2 shown]
	v_and_b32_e32 v33, 28, v33
	v_and_b32_e32 v80, 3, v41
	v_lshrrev_b32_e32 v19, 30, v19
	v_lshrrev_b32_e32 v25, 30, v25
	;; [unrolled: 1-line block ×4, first 2 shown]
	v_add_u32_e32 v57, s15, v45
	s_add_i32 s1, s10, -1
	v_add_co_u32_e32 v78, vcc, s2, v33
	v_lshl_add_u32 v33, v45, 3, v0
	v_lshlrev_b32_e32 v2, 2, v80
	v_and_b32_e32 v68, 7, v41
	v_add_u32_e32 v19, v17, v19
	v_add_u32_e32 v25, v23, v25
	;; [unrolled: 1-line block ×4, first 2 shown]
	v_cvt_f64_i32_e32 v[82:83], s1
	v_mov_b32_e32 v35, s3
	v_and_b32_e32 v33, 63, v33
	v_cvt_f64_u32_e32 v[84:85], v57
	v_and_b32_e32 v19, -4, v19
	v_lshlrev_b32_e32 v21, 2, v68
	s_mov_b32 s9, 0xa200
	v_and_b32_e32 v25, -4, v25
	v_and_b32_e32 v29, -4, v29
	;; [unrolled: 1-line block ×3, first 2 shown]
	v_addc_co_u32_e32 v79, vcc, 0, v35, vcc
	v_or_b32_e32 v35, s15, v33
	v_lshl_or_b32 v33, v33, 4, v2
	v_min_f64 v[84:85], v[84:85], v[82:83]
	v_add3_u32 v19, v19, v21, s9
	v_add3_u32 v25, v25, v21, s9
	;; [unrolled: 1-line block ×4, first 2 shown]
	v_and_b32_e32 v31, 31, v41
	v_add_u32_e32 v73, 0xb280, v33
	v_cvt_i32_f64_e32 v33, v[84:85]
	v_min_i32_e32 v35, s1, v35
	v_mul_lo_u32 v75, s11, v33
	v_lshlrev_b32_e32 v31, 2, v31
	v_lshlrev_b32_e32 v33, 7, v45
	v_mad_u64_u32 v[80:81], s[16:17], v35, s11, v[80:81]
	v_or_b32_e32 v35, v33, v31
	v_add_u32_e32 v77, 0x8200, v35
	v_add_u32_e32 v35, 8, v57
	v_cvt_f64_u32_e32 v[84:85], v35
	v_lshl_or_b32 v1, v1, 7, v31
	v_min_f64 v[84:85], v[84:85], v[82:83]
	v_add_u32_e32 v116, 0x8200, v1
	v_add_u32_e32 v1, 16, v57
	v_cvt_i32_f64_e32 v35, v[84:85]
	v_cvt_f64_u32_e32 v[84:85], v1
	v_min_f64 v[84:85], v[84:85], v[82:83]
	v_cvt_i32_f64_e32 v1, v[84:85]
	v_mul_lo_u32 v117, s11, v1
	v_lshl_or_b32 v1, v3, 7, v31
	v_add_u32_e32 v118, 0x8200, v1
	v_add_u32_e32 v1, 24, v57
	v_cvt_f64_u32_e32 v[84:85], v1
	v_min_f64 v[84:85], v[84:85], v[82:83]
	v_cvt_i32_f64_e32 v1, v[84:85]
	v_mul_lo_u32 v119, s11, v1
	v_lshl_or_b32 v1, v5, 7, v31
	v_add_u32_e32 v120, 0x8200, v1
	v_add_u32_e32 v1, 32, v57
	;; [unrolled: 7-line block ×6, first 2 shown]
	v_add_u32_e32 v3, 64, v41
	v_add_u32_e32 v5, 0x60, v41
	v_lshlrev_b32_e32 v7, 5, v41
	v_lshrrev_b32_e32 v130, 3, v1
	v_and_b32_e32 v1, 0x1fc, v1
	v_and_b32_e32 v5, 0x1fc, v5
	;; [unrolled: 1-line block ×3, first 2 shown]
	v_add_u32_e32 v1, v7, v1
	v_and_b32_e32 v9, 0xfc, v41
	v_mul_lo_u32 v70, v17, s4
	v_lshlrev_b32_e32 v17, 5, v17
	v_mul_lo_u32 v72, v23, s4
	v_lshlrev_b32_e32 v23, 5, v23
	;; [unrolled: 2-line block ×4, first 2 shown]
	v_add_u32_e32 v5, v7, v5
	v_add_u32_e32 v3, v7, v3
	;; [unrolled: 1-line block ×4, first 2 shown]
	v_mov_b32_e32 v9, 0xb280
	v_add_u32_e32 v139, 0xa610, v1
	v_mov_b32_e32 v1, 0x80
	s_mov_b32 s8, 0
	v_mov_b32_e32 v49, 0
	v_mul_lo_u32 v81, s11, v35
	v_mul_u32_u24_e32 v129, 0x104, v41
	v_add_u32_e32 v131, 0xae00, v5
	v_add_u32_e32 v132, 0xaa00, v3
	;; [unrolled: 1-line block ×4, first 2 shown]
	v_lshl_add_u32 v136, v45, 4, v9
	v_add_u32_e32 v137, 0xae10, v5
	v_add_u32_e32 v138, 0xaa10, v3
	;; [unrolled: 1-line block ×3, first 2 shown]
	v_mad_u32_u24 v141, v41, s0, v1
	v_add_u32_e32 v142, v19, v17
	v_add_u32_e32 v143, v25, v23
	;; [unrolled: 1-line block ×4, first 2 shown]
	v_mov_b32_e32 v63, 0
	v_mov_b32_e32 v53, 0
	;; [unrolled: 1-line block ×31, first 2 shown]
	s_branch .LBB124_6
.LBB124_5:                              ;   in Loop: Header=BB124_6 Depth=1
	s_add_i32 s8, s8, 8
	s_cmp_ge_i32 s8, s4
	s_cbranch_scc1 .LBB124_12
.LBB124_6:                              ; =>This Loop Header: Depth=1
                                        ;     Child Loop BB124_7 Depth 2
                                        ;     Child Loop BB124_10 Depth 2
	s_mul_i32 s0, s8, 24
	s_mul_hi_u32 s1, s8, 24
	s_add_u32 s0, s5, s0
	s_addc_u32 s1, s7, s1
	v_mad_u64_u32 v[82:83], s[16:17], v0, 24, s[0:1]
	v_mad_i64_i32 v[84:85], s[16:17], v4, 24, v[82:83]
	v_add_co_u32_e32 v86, vcc, v84, v2
	v_mad_i64_i32 v[92:93], s[16:17], v16, 24, v[82:83]
	v_addc_co_u32_e32 v87, vcc, 0, v85, vcc
	v_mad_i64_i32 v[88:89], s[16:17], v8, 24, v[82:83]
	v_mad_i64_i32 v[90:91], s[16:17], v12, 24, v[82:83]
	global_load_dword v100, v[92:93], off offset:4
	global_load_dword v101, v[90:91], off offset:4
	;; [unrolled: 1-line block ×4, first 2 shown]
                                        ; kill: killed $vgpr84 killed $vgpr85
	global_load_dword v104, v[86:87], off offset:8
	v_add_co_u32_e32 v84, vcc, v88, v2
	v_addc_co_u32_e32 v85, vcc, 0, v89, vcc
	global_load_dword v105, v[84:85], off offset:8
	v_add_co_u32_e32 v84, vcc, v90, v2
	v_addc_co_u32_e32 v85, vcc, 0, v91, vcc
	global_load_dword v106, v[84:85], off offset:8
	v_add_co_u32_e32 v84, vcc, v92, v2
	v_addc_co_u32_e32 v85, vcc, 0, v93, vcc
	global_load_dword v107, v[84:85], off offset:8
	v_mad_i64_i32 v[84:85], s[16:17], v20, 24, v[82:83]
	v_add_co_u32_e32 v92, vcc, v84, v2
	v_mad_i64_i32 v[86:87], s[16:17], v24, 24, v[82:83]
	v_addc_co_u32_e32 v93, vcc, 0, v85, vcc
	v_add_co_u32_e32 v94, vcc, v86, v2
	v_mad_i64_i32 v[88:89], s[16:17], v28, 24, v[82:83]
	v_addc_co_u32_e32 v95, vcc, 0, v87, vcc
	;; [unrolled: 3-line block ×3, first 2 shown]
	v_add_co_u32_e32 v98, vcc, v90, v2
	v_addc_co_u32_e32 v99, vcc, 0, v91, vcc
	global_load_dword v108, v[98:99], off offset:8
	global_load_dword v109, v[90:91], off offset:4
	;; [unrolled: 1-line block ×6, first 2 shown]
	v_add_u32_e32 v146, s8, v80
	v_mov_b32_e32 v147, v136
	v_mov_b32_e32 v148, v135
	;; [unrolled: 1-line block ×7, first 2 shown]
	s_waitcnt vmcnt(10)
	v_ashrrev_i32_e32 v86, v2, v103
	v_lshlrev_b32_e32 v89, 4, v86
	v_lshlrev_b32_e32 v90, 11, v86
	s_waitcnt vmcnt(9)
	v_and_b32_e32 v88, 0xf0f0f0f, v104
	v_and_b32_e32 v89, 16, v89
	v_and_b32_e32 v90, 0x1000, v90
	v_or3_b32 v88, v89, v88, v90
	global_load_dword v89, v[92:93], off offset:8
	s_nop 0
	global_load_dword v84, v[84:85], off offset:4
	v_lshrrev_b32_e32 v87, 4, v104
	v_lshrrev_b32_e32 v91, 12, v86
	;; [unrolled: 1-line block ×3, first 2 shown]
	v_and_b32_e32 v87, 0xf0f0f0f, v87
	v_lshlrev_b32_e32 v95, 2, v86
	v_lshlrev_b32_e32 v96, 18, v86
	;; [unrolled: 1-line block ×4, first 2 shown]
	v_and_b32_e32 v91, 16, v91
	v_and_b32_e32 v94, 0x1000, v94
	;; [unrolled: 1-line block ×5, first 2 shown]
	v_or3_b32 v87, v91, v87, v94
	v_and_b32_e32 v85, 0x10000000, v97
	v_or3_b32 v85, v87, v95, v85
	v_or3_b32 v86, v88, v96, v86
	ds_write2_b32 v6, v86, v85 offset1:1
	v_ashrrev_i32_e32 v85, v2, v102
	v_lshlrev_b32_e32 v86, 4, v85
	v_lshlrev_b32_e32 v87, 11, v85
	s_waitcnt vmcnt(10)
	v_lshrrev_b32_e32 v88, 4, v105
	v_lshrrev_b32_e32 v90, 12, v85
	v_lshrrev_b32_e32 v91, 5, v85
	v_and_b32_e32 v88, 0xf0f0f0f, v88
	v_and_b32_e32 v92, 0xf0f0f0f, v105
	v_and_b32_e32 v90, 16, v90
	v_and_b32_e32 v86, 16, v86
	v_and_b32_e32 v91, 0x1000, v91
	v_and_b32_e32 v87, 0x1000, v87
	v_or3_b32 v86, v86, v92, v87
	v_or3_b32 v87, v90, v88, v91
	v_lshlrev_b32_e32 v88, 2, v85
	v_lshlrev_b32_e32 v90, 18, v85
	v_lshlrev_b32_e32 v91, 9, v85
	v_lshlrev_b32_e32 v85, 25, v85
	v_and_b32_e32 v90, 0x100000, v90
	v_and_b32_e32 v88, 0x100000, v88
	v_and_b32_e32 v85, 0x10000000, v85
	v_and_b32_e32 v91, 0x10000000, v91
	v_or3_b32 v87, v87, v88, v91
	v_or3_b32 v85, v86, v90, v85
	ds_write2_b32 v10, v85, v87 offset1:1
	v_ashrrev_i32_e32 v85, v2, v101
	v_lshlrev_b32_e32 v86, 4, v85
	v_lshlrev_b32_e32 v87, 11, v85
	s_waitcnt vmcnt(9)
	v_lshrrev_b32_e32 v88, 4, v106
	v_lshrrev_b32_e32 v90, 12, v85
	v_lshrrev_b32_e32 v91, 5, v85
	v_and_b32_e32 v88, 0xf0f0f0f, v88
	v_and_b32_e32 v92, 0xf0f0f0f, v106
	v_and_b32_e32 v90, 16, v90
	v_and_b32_e32 v86, 16, v86
	v_and_b32_e32 v91, 0x1000, v91
	v_and_b32_e32 v87, 0x1000, v87
	v_or3_b32 v86, v86, v92, v87
	v_or3_b32 v87, v90, v88, v91
	v_lshlrev_b32_e32 v88, 2, v85
	v_lshlrev_b32_e32 v90, 18, v85
	v_lshlrev_b32_e32 v91, 9, v85
	v_lshlrev_b32_e32 v85, 25, v85
	v_and_b32_e32 v90, 0x100000, v90
	v_and_b32_e32 v88, 0x100000, v88
	v_and_b32_e32 v85, 0x10000000, v85
	;; [unrolled: 26-line block ×3, first 2 shown]
	v_and_b32_e32 v91, 0x10000000, v91
	v_or3_b32 v87, v87, v88, v91
	v_or3_b32 v85, v86, v90, v85
	s_waitcnt vmcnt(0)
	v_ashrrev_i32_e32 v84, v2, v84
	ds_write2_b32 v18, v85, v87 offset1:1
	v_lshlrev_b32_e32 v85, 4, v84
	v_lshlrev_b32_e32 v86, 11, v84
	v_lshrrev_b32_e32 v87, 4, v89
	v_and_b32_e32 v89, 0xf0f0f0f, v89
	v_and_b32_e32 v85, 16, v85
	;; [unrolled: 1-line block ×3, first 2 shown]
	v_lshrrev_b32_e32 v88, 12, v84
	v_lshrrev_b32_e32 v90, 5, v84
	v_or3_b32 v100, v85, v89, v86
	v_lshlrev_b32_e32 v85, 2, v84
	v_lshlrev_b32_e32 v86, 18, v84
	;; [unrolled: 1-line block ×4, first 2 shown]
	v_and_b32_e32 v103, 0x100000, v85
	v_and_b32_e32 v105, 0x10000000, v84
	v_mad_i64_i32 v[84:85], s[16:17], v36, 24, v[82:83]
	v_and_b32_e32 v87, 0xf0f0f0f, v87
	v_and_b32_e32 v88, 16, v88
	;; [unrolled: 1-line block ×4, first 2 shown]
	v_add_co_u32_e32 v86, vcc, v84, v2
	v_or3_b32 v101, v88, v87, v90
	v_addc_co_u32_e32 v87, vcc, 0, v85, vcc
	v_mad_i64_i32 v[88:89], s[16:17], v40, 24, v[82:83]
	v_add_co_u32_e32 v90, vcc, v88, v2
	v_addc_co_u32_e32 v91, vcc, 0, v89, vcc
	v_mad_i64_i32 v[92:93], s[16:17], v44, 24, v[82:83]
	v_add_co_u32_e32 v94, vcc, v92, v2
	;; [unrolled: 3-line block ×3, first 2 shown]
	v_addc_co_u32_e32 v99, vcc, 0, v97, vcc
	global_load_dword v98, v[98:99], off offset:8
	s_nop 0
	global_load_dword v99, v[96:97], off offset:4
	global_load_dword v106, v[94:95], off offset:8
	;; [unrolled: 1-line block ×5, first 2 shown]
	s_nop 0
	global_load_dword v86, v[86:87], off offset:8
	s_nop 0
	global_load_dword v84, v[84:85], off offset:4
	v_and_b32_e32 v85, 0x10000000, v104
	v_or3_b32 v85, v101, v103, v85
	v_or3_b32 v87, v100, v102, v105
	ds_write2_b32 v22, v87, v85 offset1:1
	v_ashrrev_i32_e32 v85, v2, v113
	v_lshlrev_b32_e32 v87, 4, v85
	v_lshlrev_b32_e32 v88, 11, v85
	v_lshrrev_b32_e32 v89, 4, v112
	v_lshrrev_b32_e32 v90, 12, v85
	v_lshrrev_b32_e32 v91, 5, v85
	v_and_b32_e32 v89, 0xf0f0f0f, v89
	v_and_b32_e32 v92, 0xf0f0f0f, v112
	v_and_b32_e32 v90, 16, v90
	v_and_b32_e32 v87, 16, v87
	v_and_b32_e32 v91, 0x1000, v91
	v_and_b32_e32 v88, 0x1000, v88
	v_or3_b32 v87, v87, v92, v88
	v_or3_b32 v88, v90, v89, v91
	v_lshlrev_b32_e32 v89, 2, v85
	v_lshlrev_b32_e32 v90, 18, v85
	v_lshlrev_b32_e32 v91, 9, v85
	v_lshlrev_b32_e32 v85, 25, v85
	v_and_b32_e32 v90, 0x100000, v90
	v_and_b32_e32 v89, 0x100000, v89
	v_and_b32_e32 v85, 0x10000000, v85
	v_and_b32_e32 v91, 0x10000000, v91
	v_or3_b32 v88, v88, v89, v91
	v_or3_b32 v85, v87, v90, v85
	ds_write2_b32 v26, v85, v88 offset1:1
	v_ashrrev_i32_e32 v85, v2, v111
	v_lshlrev_b32_e32 v87, 4, v85
	v_lshlrev_b32_e32 v88, 11, v85
	v_lshrrev_b32_e32 v89, 4, v110
	v_lshrrev_b32_e32 v90, 12, v85
	v_lshrrev_b32_e32 v91, 5, v85
	v_and_b32_e32 v89, 0xf0f0f0f, v89
	v_and_b32_e32 v92, 0xf0f0f0f, v110
	v_and_b32_e32 v90, 16, v90
	v_and_b32_e32 v87, 16, v87
	v_and_b32_e32 v91, 0x1000, v91
	v_and_b32_e32 v88, 0x1000, v88
	v_or3_b32 v87, v87, v92, v88
	v_or3_b32 v88, v90, v89, v91
	v_lshlrev_b32_e32 v89, 2, v85
	v_lshlrev_b32_e32 v90, 18, v85
	v_lshlrev_b32_e32 v91, 9, v85
	v_lshlrev_b32_e32 v85, 25, v85
	v_and_b32_e32 v90, 0x100000, v90
	v_and_b32_e32 v89, 0x100000, v89
	v_and_b32_e32 v85, 0x10000000, v85
	v_and_b32_e32 v91, 0x10000000, v91
	v_or3_b32 v88, v88, v89, v91
	v_or3_b32 v85, v87, v90, v85
	ds_write2_b32 v30, v85, v88 offset1:1
	v_ashrrev_i32_e32 v85, v2, v109
	v_lshlrev_b32_e32 v87, 4, v85
	v_lshlrev_b32_e32 v88, 11, v85
	v_lshrrev_b32_e32 v89, 4, v108
	v_lshrrev_b32_e32 v90, 12, v85
	v_lshrrev_b32_e32 v91, 5, v85
	v_and_b32_e32 v89, 0xf0f0f0f, v89
	v_and_b32_e32 v92, 0xf0f0f0f, v108
	v_and_b32_e32 v90, 16, v90
	v_and_b32_e32 v87, 16, v87
	v_and_b32_e32 v91, 0x1000, v91
	v_and_b32_e32 v88, 0x1000, v88
	v_or3_b32 v87, v87, v92, v88
	v_or3_b32 v88, v90, v89, v91
	v_lshlrev_b32_e32 v89, 2, v85
	v_lshlrev_b32_e32 v90, 18, v85
	v_lshlrev_b32_e32 v91, 9, v85
	v_lshlrev_b32_e32 v85, 25, v85
	v_and_b32_e32 v90, 0x100000, v90
	v_and_b32_e32 v89, 0x100000, v89
	v_and_b32_e32 v85, 0x10000000, v85
	v_and_b32_e32 v91, 0x10000000, v91
	v_or3_b32 v88, v88, v89, v91
	v_or3_b32 v85, v87, v90, v85
	ds_write2_b32 v34, v85, v88 offset1:1
	s_waitcnt vmcnt(0)
	v_ashrrev_i32_e32 v84, v2, v84
	v_lshlrev_b32_e32 v85, 4, v84
	v_lshlrev_b32_e32 v87, 11, v84
	v_lshrrev_b32_e32 v88, 4, v86
	v_and_b32_e32 v86, 0xf0f0f0f, v86
	v_and_b32_e32 v85, 16, v85
	;; [unrolled: 1-line block ×3, first 2 shown]
	v_lshrrev_b32_e32 v89, 12, v84
	v_lshrrev_b32_e32 v90, 5, v84
	v_or3_b32 v100, v85, v86, v87
	v_lshlrev_b32_e32 v85, 2, v84
	v_lshlrev_b32_e32 v86, 18, v84
	;; [unrolled: 1-line block ×4, first 2 shown]
	v_and_b32_e32 v103, 0x100000, v85
	v_and_b32_e32 v105, 0x10000000, v84
	v_mad_i64_i32 v[84:85], s[16:17], v52, 24, v[82:83]
	v_and_b32_e32 v88, 0xf0f0f0f, v88
	v_and_b32_e32 v89, 16, v89
	;; [unrolled: 1-line block ×4, first 2 shown]
	v_add_co_u32_e32 v86, vcc, v84, v2
	v_or3_b32 v101, v89, v88, v90
	v_addc_co_u32_e32 v87, vcc, 0, v85, vcc
	v_mad_i64_i32 v[88:89], s[16:17], v56, 24, v[82:83]
	v_add_co_u32_e32 v90, vcc, v88, v2
	v_addc_co_u32_e32 v91, vcc, 0, v89, vcc
	v_mad_i64_i32 v[92:93], s[16:17], v60, 24, v[82:83]
	v_add_co_u32_e32 v94, vcc, v92, v2
	;; [unrolled: 3-line block ×3, first 2 shown]
	v_addc_co_u32_e32 v97, vcc, 0, v83, vcc
	global_load_dword v108, v[96:97], off offset:8
	global_load_dword v109, v[82:83], off offset:4
	;; [unrolled: 1-line block ×4, first 2 shown]
	s_nop 0
	global_load_dword v82, v[90:91], off offset:8
	global_load_dword v83, v[88:89], off offset:4
	s_nop 0
	global_load_dword v86, v[86:87], off offset:8
	s_nop 0
	global_load_dword v84, v[84:85], off offset:4
	v_and_b32_e32 v85, 0x10000000, v104
	v_or3_b32 v85, v101, v103, v85
	v_or3_b32 v87, v100, v102, v105
	ds_write2_b32 v38, v87, v85 offset1:1
	v_ashrrev_i32_e32 v85, v2, v115
	v_lshlrev_b32_e32 v87, 4, v85
	v_lshlrev_b32_e32 v88, 11, v85
	v_lshrrev_b32_e32 v89, 4, v114
	v_lshrrev_b32_e32 v90, 12, v85
	v_lshrrev_b32_e32 v91, 5, v85
	v_and_b32_e32 v89, 0xf0f0f0f, v89
	v_and_b32_e32 v92, 0xf0f0f0f, v114
	v_and_b32_e32 v90, 16, v90
	v_and_b32_e32 v87, 16, v87
	v_and_b32_e32 v91, 0x1000, v91
	v_and_b32_e32 v88, 0x1000, v88
	v_or3_b32 v87, v87, v92, v88
	v_or3_b32 v88, v90, v89, v91
	v_lshlrev_b32_e32 v89, 2, v85
	v_lshlrev_b32_e32 v90, 18, v85
	v_lshlrev_b32_e32 v91, 9, v85
	v_lshlrev_b32_e32 v85, 25, v85
	v_and_b32_e32 v90, 0x100000, v90
	v_and_b32_e32 v89, 0x100000, v89
	v_and_b32_e32 v85, 0x10000000, v85
	v_and_b32_e32 v91, 0x10000000, v91
	v_or3_b32 v88, v88, v89, v91
	v_or3_b32 v85, v87, v90, v85
	ds_write2_b32 v42, v85, v88 offset1:1
	v_ashrrev_i32_e32 v85, v2, v107
	v_lshlrev_b32_e32 v87, 4, v85
	v_lshlrev_b32_e32 v88, 11, v85
	v_lshrrev_b32_e32 v89, 4, v106
	v_lshrrev_b32_e32 v90, 12, v85
	v_lshrrev_b32_e32 v91, 5, v85
	v_and_b32_e32 v89, 0xf0f0f0f, v89
	v_and_b32_e32 v92, 0xf0f0f0f, v106
	v_and_b32_e32 v90, 16, v90
	v_and_b32_e32 v87, 16, v87
	v_and_b32_e32 v91, 0x1000, v91
	v_and_b32_e32 v88, 0x1000, v88
	v_or3_b32 v87, v87, v92, v88
	v_or3_b32 v88, v90, v89, v91
	v_lshlrev_b32_e32 v89, 2, v85
	v_lshlrev_b32_e32 v90, 18, v85
	v_lshlrev_b32_e32 v91, 9, v85
	v_lshlrev_b32_e32 v85, 25, v85
	v_and_b32_e32 v90, 0x100000, v90
	v_and_b32_e32 v89, 0x100000, v89
	v_and_b32_e32 v85, 0x10000000, v85
	;; [unrolled: 25-line block ×3, first 2 shown]
	v_and_b32_e32 v91, 0x10000000, v91
	v_or3_b32 v88, v88, v89, v91
	v_or3_b32 v85, v87, v90, v85
	ds_write2_b32 v50, v85, v88 offset1:1
	s_waitcnt vmcnt(0)
	v_ashrrev_i32_e32 v84, v2, v84
	v_lshlrev_b32_e32 v85, 4, v84
	v_lshlrev_b32_e32 v87, 11, v84
	v_lshrrev_b32_e32 v88, 4, v86
	v_lshrrev_b32_e32 v89, 12, v84
	;; [unrolled: 1-line block ×3, first 2 shown]
	v_and_b32_e32 v88, 0xf0f0f0f, v88
	v_and_b32_e32 v86, 0xf0f0f0f, v86
	;; [unrolled: 1-line block ×6, first 2 shown]
	v_or3_b32 v85, v85, v86, v87
	v_or3_b32 v86, v89, v88, v90
	v_lshlrev_b32_e32 v87, 2, v84
	v_lshlrev_b32_e32 v88, 18, v84
	;; [unrolled: 1-line block ×4, first 2 shown]
	v_and_b32_e32 v88, 0x100000, v88
	v_and_b32_e32 v87, 0x100000, v87
	;; [unrolled: 1-line block ×4, first 2 shown]
	v_ashrrev_i32_e32 v98, v2, v83
	v_lshrrev_b32_e32 v83, 4, v82
	v_or3_b32 v86, v86, v87, v89
	v_or3_b32 v84, v85, v88, v84
	v_and_b32_e32 v103, 0xf0f0f0f, v83
	v_and_b32_e32 v104, 0xf0f0f0f, v82
	v_mad_u64_u32 v[82:83], s[0:1], v68, 24, s[0:1]
	ds_write2_b32 v54, v84, v86 offset1:1
	v_mad_i64_i32 v[84:85], s[0:1], v70, 24, v[82:83]
	v_mad_i64_i32 v[86:87], s[0:1], v72, 24, v[82:83]
	;; [unrolled: 1-line block ×4, first 2 shown]
	v_add_u32_e32 v96, s8, v69
	global_load_dword v105, v[84:85], off
	global_load_dword v106, v[86:87], off
	global_load_dword v107, v[88:89], off
	global_load_dword v112, v[82:83], off
	v_add_u32_e32 v82, v96, v75
	v_add_u32_e32 v84, v96, v81
	;; [unrolled: 1-line block ×5, first 2 shown]
	v_mad_i64_i32 v[82:83], s[0:1], v82, 36, v[78:79]
	v_mad_i64_i32 v[84:85], s[0:1], v84, 36, v[78:79]
	;; [unrolled: 1-line block ×5, first 2 shown]
	v_add_u32_e32 v92, v96, v123
	v_add_u32_e32 v94, v96, v125
	;; [unrolled: 1-line block ×3, first 2 shown]
	v_mad_i64_i32 v[92:93], s[0:1], v92, 36, v[78:79]
	v_mad_i64_i32 v[94:95], s[0:1], v94, 36, v[78:79]
	;; [unrolled: 1-line block ×3, first 2 shown]
	global_load_dword v113, v[82:83], off offset:4
	s_nop 0
	global_load_dword v84, v[84:85], off offset:4
	s_nop 0
	;; [unrolled: 2-line block ×3, first 2 shown]
	global_load_dword v86, v[88:89], off offset:4
	global_load_dword v87, v[90:91], off offset:4
	s_nop 0
	global_load_dword v88, v[92:93], off offset:4
	global_load_dword v89, v[94:95], off offset:4
	;; [unrolled: 1-line block ×3, first 2 shown]
	v_mad_u64_u32 v[82:83], s[0:1], v146, 36, s[2:3]
	global_load_dword v82, v[82:83], off
	v_lshlrev_b32_e32 v99, 4, v98
	v_lshlrev_b32_e32 v100, 11, v98
	v_lshrrev_b32_e32 v101, 12, v98
	v_lshrrev_b32_e32 v102, 5, v98
	v_and_b32_e32 v83, 16, v101
	v_and_b32_e32 v91, 16, v99
	;; [unrolled: 1-line block ×4, first 2 shown]
	v_or3_b32 v91, v91, v104, v93
	v_or3_b32 v83, v83, v103, v92
	v_lshlrev_b32_e32 v92, 2, v98
	v_lshlrev_b32_e32 v93, 18, v98
	;; [unrolled: 1-line block ×4, first 2 shown]
	v_and_b32_e32 v93, 0x100000, v93
	v_and_b32_e32 v92, 0x100000, v92
	;; [unrolled: 1-line block ×4, first 2 shown]
	v_or3_b32 v83, v83, v92, v94
	v_or3_b32 v91, v91, v93, v95
	ds_write2_b32 v58, v91, v83 offset1:1
	v_ashrrev_i32_e32 v83, v2, v111
	v_lshlrev_b32_e32 v91, 4, v83
	v_lshlrev_b32_e32 v92, 11, v83
	v_lshrrev_b32_e32 v93, 4, v110
	v_lshrrev_b32_e32 v94, 12, v83
	;; [unrolled: 1-line block ×3, first 2 shown]
	v_and_b32_e32 v93, 0xf0f0f0f, v93
	v_and_b32_e32 v96, 0xf0f0f0f, v110
	;; [unrolled: 1-line block ×6, first 2 shown]
	v_or3_b32 v91, v91, v96, v92
	v_or3_b32 v92, v94, v93, v95
	v_lshlrev_b32_e32 v93, 2, v83
	v_lshlrev_b32_e32 v94, 18, v83
	;; [unrolled: 1-line block ×4, first 2 shown]
	v_and_b32_e32 v94, 0x100000, v94
	v_and_b32_e32 v93, 0x100000, v93
	;; [unrolled: 1-line block ×4, first 2 shown]
	v_or3_b32 v92, v92, v93, v95
	v_or3_b32 v83, v91, v94, v83
	ds_write2_b32 v62, v83, v92 offset1:1
	v_ashrrev_i32_e32 v83, v2, v109
	v_lshlrev_b32_e32 v91, 4, v83
	v_lshlrev_b32_e32 v92, 11, v83
	v_lshrrev_b32_e32 v93, 4, v108
	v_lshrrev_b32_e32 v94, 12, v83
	v_lshrrev_b32_e32 v95, 5, v83
	v_and_b32_e32 v93, 0xf0f0f0f, v93
	v_and_b32_e32 v96, 0xf0f0f0f, v108
	;; [unrolled: 1-line block ×6, first 2 shown]
	v_or3_b32 v91, v91, v96, v92
	v_or3_b32 v92, v94, v93, v95
	v_lshlrev_b32_e32 v93, 2, v83
	v_lshlrev_b32_e32 v94, 18, v83
	;; [unrolled: 1-line block ×4, first 2 shown]
	v_and_b32_e32 v94, 0x100000, v94
	v_and_b32_e32 v93, 0x100000, v93
	;; [unrolled: 1-line block ×4, first 2 shown]
	v_or3_b32 v92, v92, v93, v95
	v_or3_b32 v83, v91, v94, v83
	s_mov_b32 s0, -4
	ds_write2_b32 v66, v83, v92 offset1:1
	s_waitcnt vmcnt(12)
	ds_write_b32 v142, v105
	s_waitcnt vmcnt(11)
	ds_write_b32 v143, v106
	;; [unrolled: 2-line block ×13, first 2 shown]
	s_waitcnt lgkmcnt(0)
	s_barrier
.LBB124_7:                              ;   Parent Loop BB124_6 Depth=1
                                        ; =>  This Inner Loop Header: Depth=2
	ds_read_b128 v[158:161], v148
	ds_read_b128 v[162:165], v148 offset:16
	ds_read2_b32 v[114:115], v147 offset1:32
	ds_read_b32 v154, v150
	ds_read2_b32 v[82:83], v149 offset1:1
	ds_read2_b32 v[86:87], v149 offset0:2 offset1:3
	ds_read2_b32 v[88:89], v149 offset0:4 offset1:5
	;; [unrolled: 1-line block ×3, first 2 shown]
	v_mov_b32_e32 v84, 0
	s_waitcnt lgkmcnt(3)
	v_dot4c_i32_i8_e32 v84, v82, v158
	v_dot4c_i32_i8_e32 v84, v83, v162
	s_waitcnt lgkmcnt(2)
	v_dot4c_i32_i8_e32 v84, v86, v159
	v_dot4c_i32_i8_e32 v84, v87, v163
	;; [unrolled: 3-line block ×4, first 2 shown]
	v_pk_mul_f16 v85, v114, v154
	v_add_u32_e32 v90, 0x2088, v149
	v_add_u32_e32 v95, 0x2090, v149
	v_cvt_f32_i32_e32 v84, v84
	v_mov_b32_e32 v94, 0
	v_add_u32_e32 v98, 0x4108, v149
	v_add_u32_e32 v102, 0x4110, v149
	v_fma_mix_f32 v84, v85, v84, v85 op_sel:[0,0,1] op_sel_hi:[1,0,1]
	v_add_f32_e32 v49, v49, v84
	v_add_u32_e32 v84, 0x2080, v149
	ds_read_b32 v155, v151
	ds_read2_b32 v[84:85], v84 offset1:1
	ds_read2_b32 v[90:91], v90 offset1:1
	;; [unrolled: 1-line block ×3, first 2 shown]
	v_add_u32_e32 v95, 0x2098, v149
	ds_read2_b32 v[100:101], v95 offset1:1
	s_waitcnt lgkmcnt(3)
	v_dot4c_i32_i8_e32 v94, v84, v158
	v_dot4c_i32_i8_e32 v94, v85, v162
	s_waitcnt lgkmcnt(2)
	v_dot4c_i32_i8_e32 v94, v90, v159
	v_dot4c_i32_i8_e32 v94, v91, v163
	;; [unrolled: 3-line block ×4, first 2 shown]
	v_pk_mul_f16 v95, v114, v155
	v_mov_b32_e32 v104, 0
	v_add_u32_e32 v105, 0x4118, v149
	v_cvt_f32_i32_e32 v94, v94
	v_add_u32_e32 v108, 0x6188, v149
	v_add_u32_e32 v110, 0x6190, v149
	v_mov_b32_e32 v166, 0
	v_fma_mix_f32 v94, v95, v94, v95 op_sel:[0,0,1] op_sel_hi:[1,0,1]
	v_add_f32_e32 v71, v71, v94
	v_add_u32_e32 v94, 0x4100, v149
	ds_read_b32 v156, v152
	ds_read2_b32 v[94:95], v94 offset1:1
	ds_read2_b32 v[98:99], v98 offset1:1
	ds_read2_b32 v[102:103], v102 offset1:1
	ds_read2_b32 v[106:107], v105 offset1:1
	s_waitcnt lgkmcnt(4)
	v_pk_mul_f16 v105, v114, v156
	s_waitcnt lgkmcnt(3)
	v_dot4c_i32_i8_e32 v104, v94, v158
	v_dot4c_i32_i8_e32 v104, v95, v162
	s_waitcnt lgkmcnt(2)
	v_dot4c_i32_i8_e32 v104, v98, v159
	v_dot4c_i32_i8_e32 v104, v99, v163
	;; [unrolled: 3-line block ×4, first 2 shown]
	v_add_u32_e32 v112, 0x6198, v149
	s_add_i32 s0, s0, 4
	v_add_u32_e32 v152, 4, v152
	v_cvt_f32_i32_e32 v104, v104
	v_add_u32_e32 v151, 4, v151
	v_add_u32_e32 v150, 4, v150
	s_cmp_lt_u32 s0, 12
	v_fma_mix_f32 v104, v105, v104, v105 op_sel:[0,0,1] op_sel_hi:[1,0,1]
	v_add_f32_e32 v67, v67, v104
	v_add_u32_e32 v104, 0x6180, v149
	ds_read_b32 v157, v153
	ds_read2_b32 v[104:105], v104 offset1:1
	ds_read2_b32 v[108:109], v108 offset1:1
	ds_read2_b32 v[110:111], v110 offset1:1
	ds_read2_b32 v[112:113], v112 offset1:1
	s_waitcnt lgkmcnt(4)
	v_pk_mul_f16 v114, v114, v157
	s_waitcnt lgkmcnt(3)
	v_dot4c_i32_i8_e32 v166, v104, v158
	v_dot4c_i32_i8_e32 v166, v105, v162
	s_waitcnt lgkmcnt(2)
	v_dot4c_i32_i8_e32 v166, v108, v159
	v_dot4c_i32_i8_e32 v166, v109, v163
	s_waitcnt lgkmcnt(1)
	v_dot4c_i32_i8_e32 v166, v110, v160
	v_dot4c_i32_i8_e32 v166, v111, v164
	s_waitcnt lgkmcnt(0)
	v_dot4c_i32_i8_e32 v166, v112, v161
	v_dot4c_i32_i8_e32 v166, v113, v165
	v_add_u32_e32 v153, 4, v153
	v_add_u32_e32 v149, 32, v149
	s_nop 0
	v_cvt_f32_i32_e32 v158, v166
	v_pk_mul_f16 v166, v154, v115
	v_fma_mix_f32 v114, v114, v158, v114 op_sel:[0,0,1] op_sel_hi:[1,0,1]
	ds_read_b128 v[158:161], v148 offset:1024
	ds_read_b128 v[162:165], v148 offset:1040
	v_add_f32_e32 v65, v65, v114
	v_mov_b32_e32 v114, 0
	s_waitcnt lgkmcnt(1)
	v_dot4c_i32_i8_e32 v114, v82, v158
	s_waitcnt lgkmcnt(0)
	v_dot4c_i32_i8_e32 v114, v83, v162
	v_dot4c_i32_i8_e32 v114, v86, v159
	v_dot4c_i32_i8_e32 v114, v87, v163
	v_dot4c_i32_i8_e32 v114, v88, v160
	v_dot4c_i32_i8_e32 v114, v89, v164
	v_dot4c_i32_i8_e32 v114, v92, v161
	v_dot4c_i32_i8_e32 v114, v93, v165
	s_nop 2
	v_cvt_f32_i32_e32 v114, v114
	v_fma_mix_f32 v114, v114, v166, v166 op_sel:[0,0,1] op_sel_hi:[0,1,1]
	v_add_f32_e32 v63, v63, v114
	v_mov_b32_e32 v114, 0
	v_dot4c_i32_i8_e32 v114, v84, v158
	v_dot4c_i32_i8_e32 v114, v85, v162
	;; [unrolled: 1-line block ×8, first 2 shown]
	v_pk_mul_f16 v166, v155, v115
	s_nop 1
	v_cvt_f32_i32_e32 v114, v114
	v_fma_mix_f32 v114, v114, v166, v166 op_sel:[0,0,1] op_sel_hi:[0,1,1]
	v_add_f32_e32 v61, v61, v114
	v_mov_b32_e32 v114, 0
	v_dot4c_i32_i8_e32 v114, v94, v158
	v_dot4c_i32_i8_e32 v114, v95, v162
	;; [unrolled: 1-line block ×8, first 2 shown]
	v_pk_mul_f16 v166, v156, v115
	v_pk_mul_f16 v115, v157, v115
	s_nop 0
	v_cvt_f32_i32_e32 v114, v114
	v_fma_mix_f32 v114, v114, v166, v166 op_sel:[0,0,1] op_sel_hi:[0,1,1]
	v_add_f32_e32 v59, v59, v114
	v_mov_b32_e32 v114, 0
	v_dot4c_i32_i8_e32 v114, v104, v158
	v_dot4c_i32_i8_e32 v114, v105, v162
	v_dot4c_i32_i8_e32 v114, v108, v159
	v_dot4c_i32_i8_e32 v114, v109, v163
	v_dot4c_i32_i8_e32 v114, v110, v160
	v_dot4c_i32_i8_e32 v114, v111, v164
	v_dot4c_i32_i8_e32 v114, v112, v161
	v_dot4c_i32_i8_e32 v114, v113, v165
	v_mov_b32_e32 v166, 0
	s_nop 1
	v_cvt_f32_i32_e32 v114, v114
	v_fma_mix_f32 v114, v114, v115, v115 op_sel:[0,0,1] op_sel_hi:[0,1,1]
	v_add_f32_e32 v55, v55, v114
	ds_read_b128 v[158:161], v148 offset:2048
	ds_read_b128 v[162:165], v148 offset:2064
	ds_read2_b32 v[114:115], v147 offset0:64 offset1:96
	s_waitcnt lgkmcnt(2)
	v_dot4c_i32_i8_e32 v166, v82, v158
	s_waitcnt lgkmcnt(1)
	v_dot4c_i32_i8_e32 v166, v83, v162
	v_dot4c_i32_i8_e32 v166, v86, v159
	;; [unrolled: 1-line block ×7, first 2 shown]
	s_waitcnt lgkmcnt(0)
	v_pk_mul_f16 v167, v154, v114
	s_nop 0
	v_cvt_f32_i32_e32 v166, v166
	v_fma_mix_f32 v166, v166, v167, v167 op_sel:[0,0,1] op_sel_hi:[0,1,1]
	v_add_f32_e32 v53, v53, v166
	v_mov_b32_e32 v166, 0
	v_dot4c_i32_i8_e32 v166, v84, v158
	v_dot4c_i32_i8_e32 v166, v85, v162
	v_dot4c_i32_i8_e32 v166, v90, v159
	v_dot4c_i32_i8_e32 v166, v91, v163
	v_dot4c_i32_i8_e32 v166, v96, v160
	v_dot4c_i32_i8_e32 v166, v97, v164
	v_dot4c_i32_i8_e32 v166, v100, v161
	v_dot4c_i32_i8_e32 v166, v101, v165
	v_pk_mul_f16 v167, v155, v114
	s_nop 1
	v_cvt_f32_i32_e32 v166, v166
	v_fma_mix_f32 v166, v166, v167, v167 op_sel:[0,0,1] op_sel_hi:[0,1,1]
	v_add_f32_e32 v51, v51, v166
	v_mov_b32_e32 v166, 0
	v_dot4c_i32_i8_e32 v166, v94, v158
	v_dot4c_i32_i8_e32 v166, v95, v162
	;; [unrolled: 1-line block ×8, first 2 shown]
	v_pk_mul_f16 v167, v156, v114
	v_pk_mul_f16 v114, v157, v114
	s_nop 0
	v_cvt_f32_i32_e32 v166, v166
	v_fma_mix_f32 v166, v166, v167, v167 op_sel:[0,0,1] op_sel_hi:[0,1,1]
	v_add_f32_e32 v47, v47, v166
	v_mov_b32_e32 v166, 0
	v_dot4c_i32_i8_e32 v166, v104, v158
	v_dot4c_i32_i8_e32 v166, v105, v162
	;; [unrolled: 1-line block ×8, first 2 shown]
	s_nop 2
	v_cvt_f32_i32_e32 v158, v166
	v_pk_mul_f16 v166, v154, v115
	v_fma_mix_f32 v114, v158, v114, v114 op_sel:[0,0,1] op_sel_hi:[0,1,1]
	ds_read_b128 v[158:161], v148 offset:3072
	ds_read_b128 v[162:165], v148 offset:3088
	v_add_f32_e32 v43, v43, v114
	v_mov_b32_e32 v114, 0
	s_waitcnt lgkmcnt(1)
	v_dot4c_i32_i8_e32 v114, v82, v158
	s_waitcnt lgkmcnt(0)
	v_dot4c_i32_i8_e32 v114, v83, v162
	v_dot4c_i32_i8_e32 v114, v86, v159
	;; [unrolled: 1-line block ×7, first 2 shown]
	s_nop 2
	v_cvt_f32_i32_e32 v114, v114
	v_fma_mix_f32 v114, v114, v166, v166 op_sel:[0,0,1] op_sel_hi:[0,1,1]
	v_add_f32_e32 v39, v39, v114
	v_mov_b32_e32 v114, 0
	v_dot4c_i32_i8_e32 v114, v84, v158
	v_dot4c_i32_i8_e32 v114, v85, v162
	;; [unrolled: 1-line block ×8, first 2 shown]
	v_pk_mul_f16 v166, v155, v115
	s_nop 1
	v_cvt_f32_i32_e32 v114, v114
	v_fma_mix_f32 v114, v114, v166, v166 op_sel:[0,0,1] op_sel_hi:[0,1,1]
	v_add_f32_e32 v37, v37, v114
	v_mov_b32_e32 v114, 0
	v_dot4c_i32_i8_e32 v114, v94, v158
	v_dot4c_i32_i8_e32 v114, v95, v162
	;; [unrolled: 1-line block ×8, first 2 shown]
	v_pk_mul_f16 v166, v156, v115
	v_pk_mul_f16 v115, v157, v115
	s_nop 0
	v_cvt_f32_i32_e32 v114, v114
	v_fma_mix_f32 v114, v114, v166, v166 op_sel:[0,0,1] op_sel_hi:[0,1,1]
	v_add_f32_e32 v35, v35, v114
	v_mov_b32_e32 v114, 0
	v_dot4c_i32_i8_e32 v114, v104, v158
	v_dot4c_i32_i8_e32 v114, v105, v162
	;; [unrolled: 1-line block ×8, first 2 shown]
	v_mov_b32_e32 v166, 0
	s_nop 1
	v_cvt_f32_i32_e32 v114, v114
	v_fma_mix_f32 v114, v114, v115, v115 op_sel:[0,0,1] op_sel_hi:[0,1,1]
	v_add_f32_e32 v33, v33, v114
	ds_read_b128 v[158:161], v148 offset:4096
	ds_read_b128 v[162:165], v148 offset:4112
	ds_read2_b32 v[114:115], v147 offset0:128 offset1:160
	s_waitcnt lgkmcnt(2)
	v_dot4c_i32_i8_e32 v166, v82, v158
	s_waitcnt lgkmcnt(1)
	v_dot4c_i32_i8_e32 v166, v83, v162
	v_dot4c_i32_i8_e32 v166, v86, v159
	;; [unrolled: 1-line block ×7, first 2 shown]
	s_waitcnt lgkmcnt(0)
	v_pk_mul_f16 v167, v154, v114
	s_nop 0
	v_cvt_f32_i32_e32 v166, v166
	v_fma_mix_f32 v166, v166, v167, v167 op_sel:[0,0,1] op_sel_hi:[0,1,1]
	v_add_f32_e32 v31, v31, v166
	v_mov_b32_e32 v166, 0
	v_dot4c_i32_i8_e32 v166, v84, v158
	v_dot4c_i32_i8_e32 v166, v85, v162
	;; [unrolled: 1-line block ×8, first 2 shown]
	v_pk_mul_f16 v167, v155, v114
	s_nop 1
	v_cvt_f32_i32_e32 v166, v166
	v_fma_mix_f32 v166, v166, v167, v167 op_sel:[0,0,1] op_sel_hi:[0,1,1]
	v_add_f32_e32 v29, v29, v166
	v_mov_b32_e32 v166, 0
	v_dot4c_i32_i8_e32 v166, v94, v158
	v_dot4c_i32_i8_e32 v166, v95, v162
	;; [unrolled: 1-line block ×8, first 2 shown]
	v_pk_mul_f16 v167, v156, v114
	v_pk_mul_f16 v114, v157, v114
	s_nop 0
	v_cvt_f32_i32_e32 v166, v166
	v_fma_mix_f32 v166, v166, v167, v167 op_sel:[0,0,1] op_sel_hi:[0,1,1]
	v_add_f32_e32 v27, v27, v166
	v_mov_b32_e32 v166, 0
	v_dot4c_i32_i8_e32 v166, v104, v158
	v_dot4c_i32_i8_e32 v166, v105, v162
	;; [unrolled: 1-line block ×8, first 2 shown]
	s_nop 2
	v_cvt_f32_i32_e32 v158, v166
	v_pk_mul_f16 v166, v154, v115
	v_fma_mix_f32 v114, v158, v114, v114 op_sel:[0,0,1] op_sel_hi:[0,1,1]
	ds_read_b128 v[158:161], v148 offset:5120
	ds_read_b128 v[162:165], v148 offset:5136
	v_add_f32_e32 v25, v25, v114
	v_mov_b32_e32 v114, 0
	s_waitcnt lgkmcnt(1)
	v_dot4c_i32_i8_e32 v114, v82, v158
	s_waitcnt lgkmcnt(0)
	v_dot4c_i32_i8_e32 v114, v83, v162
	v_dot4c_i32_i8_e32 v114, v86, v159
	;; [unrolled: 1-line block ×7, first 2 shown]
	s_nop 2
	v_cvt_f32_i32_e32 v114, v114
	v_fma_mix_f32 v114, v114, v166, v166 op_sel:[0,0,1] op_sel_hi:[0,1,1]
	v_add_f32_e32 v23, v23, v114
	v_mov_b32_e32 v114, 0
	v_dot4c_i32_i8_e32 v114, v84, v158
	v_dot4c_i32_i8_e32 v114, v85, v162
	;; [unrolled: 1-line block ×8, first 2 shown]
	v_pk_mul_f16 v166, v155, v115
	s_nop 1
	v_cvt_f32_i32_e32 v114, v114
	v_fma_mix_f32 v114, v114, v166, v166 op_sel:[0,0,1] op_sel_hi:[0,1,1]
	v_add_f32_e32 v21, v21, v114
	v_mov_b32_e32 v114, 0
	v_dot4c_i32_i8_e32 v114, v94, v158
	v_dot4c_i32_i8_e32 v114, v95, v162
	;; [unrolled: 1-line block ×8, first 2 shown]
	v_pk_mul_f16 v166, v156, v115
	v_pk_mul_f16 v115, v157, v115
	s_nop 0
	v_cvt_f32_i32_e32 v114, v114
	v_fma_mix_f32 v114, v114, v166, v166 op_sel:[0,0,1] op_sel_hi:[0,1,1]
	v_add_f32_e32 v19, v19, v114
	v_mov_b32_e32 v114, 0
	v_dot4c_i32_i8_e32 v114, v104, v158
	v_dot4c_i32_i8_e32 v114, v105, v162
	;; [unrolled: 1-line block ×8, first 2 shown]
	v_mov_b32_e32 v166, 0
	s_nop 1
	v_cvt_f32_i32_e32 v114, v114
	v_fma_mix_f32 v114, v114, v115, v115 op_sel:[0,0,1] op_sel_hi:[0,1,1]
	v_add_f32_e32 v17, v17, v114
	ds_read_b128 v[158:161], v148 offset:6144
	ds_read_b128 v[162:165], v148 offset:6160
	ds_read2_b32 v[114:115], v147 offset0:192 offset1:224
	v_add_u32_e32 v147, 4, v147
	s_waitcnt lgkmcnt(2)
	v_dot4c_i32_i8_e32 v166, v82, v158
	s_waitcnt lgkmcnt(1)
	v_dot4c_i32_i8_e32 v166, v83, v162
	v_dot4c_i32_i8_e32 v166, v86, v159
	;; [unrolled: 1-line block ×7, first 2 shown]
	s_waitcnt lgkmcnt(0)
	v_pk_mul_f16 v167, v154, v114
	s_nop 0
	v_cvt_f32_i32_e32 v166, v166
	v_fma_mix_f32 v166, v166, v167, v167 op_sel:[0,0,1] op_sel_hi:[0,1,1]
	v_add_f32_e32 v15, v15, v166
	v_mov_b32_e32 v166, 0
	v_dot4c_i32_i8_e32 v166, v84, v158
	v_dot4c_i32_i8_e32 v166, v85, v162
	;; [unrolled: 1-line block ×8, first 2 shown]
	v_pk_mul_f16 v167, v155, v114
	s_nop 1
	v_cvt_f32_i32_e32 v166, v166
	v_fma_mix_f32 v166, v166, v167, v167 op_sel:[0,0,1] op_sel_hi:[0,1,1]
	v_add_f32_e32 v13, v13, v166
	v_mov_b32_e32 v166, 0
	v_dot4c_i32_i8_e32 v166, v94, v158
	v_dot4c_i32_i8_e32 v166, v95, v162
	;; [unrolled: 1-line block ×8, first 2 shown]
	v_pk_mul_f16 v167, v156, v114
	v_pk_mul_f16 v114, v157, v114
	s_nop 0
	v_cvt_f32_i32_e32 v166, v166
	v_fma_mix_f32 v166, v166, v167, v167 op_sel:[0,0,1] op_sel_hi:[0,1,1]
	v_add_f32_e32 v11, v11, v166
	v_mov_b32_e32 v166, 0
	v_dot4c_i32_i8_e32 v166, v104, v158
	v_dot4c_i32_i8_e32 v166, v105, v162
	;; [unrolled: 1-line block ×8, first 2 shown]
	s_nop 2
	v_cvt_f32_i32_e32 v158, v166
	v_fma_mix_f32 v114, v158, v114, v114 op_sel:[0,0,1] op_sel_hi:[0,1,1]
	ds_read_b128 v[158:161], v148 offset:7168
	ds_read_b128 v[162:165], v148 offset:7184
	v_add_f32_e32 v9, v9, v114
	v_mov_b32_e32 v114, 0
	v_add_u32_e32 v148, 32, v148
	s_waitcnt lgkmcnt(1)
	v_dot4c_i32_i8_e32 v114, v82, v158
	s_waitcnt lgkmcnt(0)
	v_dot4c_i32_i8_e32 v114, v83, v162
	v_dot4c_i32_i8_e32 v114, v86, v159
	v_dot4c_i32_i8_e32 v114, v87, v163
	v_dot4c_i32_i8_e32 v114, v88, v160
	v_dot4c_i32_i8_e32 v114, v89, v164
	v_dot4c_i32_i8_e32 v114, v92, v161
	v_dot4c_i32_i8_e32 v114, v93, v165
	v_pk_mul_f16 v82, v154, v115
	s_nop 1
	v_cvt_f32_i32_e32 v83, v114
	v_fma_mix_f32 v82, v83, v82, v82 op_sel:[0,0,1] op_sel_hi:[0,1,1]
	v_add_f32_e32 v7, v7, v82
	v_mov_b32_e32 v82, 0
	v_dot4c_i32_i8_e32 v82, v84, v158
	v_dot4c_i32_i8_e32 v82, v85, v162
	v_dot4c_i32_i8_e32 v82, v90, v159
	v_dot4c_i32_i8_e32 v82, v91, v163
	v_dot4c_i32_i8_e32 v82, v96, v160
	v_dot4c_i32_i8_e32 v82, v97, v164
	v_dot4c_i32_i8_e32 v82, v100, v161
	v_dot4c_i32_i8_e32 v82, v101, v165
	v_pk_mul_f16 v83, v155, v115
	s_nop 1
	v_cvt_f32_i32_e32 v82, v82
	v_fma_mix_f32 v82, v82, v83, v83 op_sel:[0,0,1] op_sel_hi:[0,1,1]
	v_add_f32_e32 v5, v5, v82
	v_mov_b32_e32 v82, 0
	v_dot4c_i32_i8_e32 v82, v94, v158
	;; [unrolled: 14-line block ×3, first 2 shown]
	v_dot4c_i32_i8_e32 v82, v105, v162
	v_dot4c_i32_i8_e32 v82, v108, v159
	v_dot4c_i32_i8_e32 v82, v109, v163
	v_dot4c_i32_i8_e32 v82, v110, v160
	v_dot4c_i32_i8_e32 v82, v111, v164
	v_dot4c_i32_i8_e32 v82, v112, v161
	v_dot4c_i32_i8_e32 v82, v113, v165
	v_pk_mul_f16 v83, v157, v115
	s_nop 1
	v_cvt_f32_i32_e32 v82, v82
	v_fma_mix_f32 v82, v82, v83, v83 op_sel:[0,0,1] op_sel_hi:[0,1,1]
	v_add_f32_e32 v1, v1, v82
	s_cbranch_scc1 .LBB124_7
; %bb.8:                                ;   in Loop: Header=BB124_6 Depth=1
	s_or_b32 s0, s8, 4
	s_cmp_ge_i32 s0, s4
	s_barrier
	s_cbranch_scc1 .LBB124_5
; %bb.9:                                ;   in Loop: Header=BB124_6 Depth=1
	v_add_u32_e32 v96, s8, v130
	v_add_u32_e32 v82, v96, v75
	;; [unrolled: 1-line block ×6, first 2 shown]
	v_mad_i64_i32 v[82:83], s[0:1], v82, 36, v[78:79]
	v_mad_i64_i32 v[84:85], s[0:1], v84, 36, v[78:79]
	;; [unrolled: 1-line block ×5, first 2 shown]
	v_add_u32_e32 v92, v96, v123
	v_add_u32_e32 v94, v96, v125
	;; [unrolled: 1-line block ×3, first 2 shown]
	v_mad_i64_i32 v[92:93], s[0:1], v92, 36, v[78:79]
	v_mad_i64_i32 v[94:95], s[0:1], v94, 36, v[78:79]
	;; [unrolled: 1-line block ×3, first 2 shown]
	global_load_dword v98, v[82:83], off offset:4
	s_nop 0
	global_load_dword v84, v[84:85], off offset:4
	s_nop 0
	;; [unrolled: 2-line block ×3, first 2 shown]
	global_load_dword v86, v[88:89], off offset:4
	global_load_dword v87, v[90:91], off offset:4
                                        ; kill: killed $vgpr88_vgpr89
                                        ; kill: killed $vgpr90_vgpr91
	s_nop 0
	global_load_dword v88, v[92:93], off offset:4
	global_load_dword v89, v[94:95], off offset:4
	;; [unrolled: 1-line block ×3, first 2 shown]
	v_add_u32_e32 v82, 4, v146
	v_mad_u64_u32 v[82:83], s[0:1], v82, 36, s[2:3]
	global_load_dword v82, v[82:83], off
	s_mov_b32 s0, 12
	v_mov_b32_e32 v146, v136
	v_mov_b32_e32 v147, v135
	;; [unrolled: 1-line block ×7, first 2 shown]
	s_waitcnt vmcnt(8)
	ds_write_b32 v77, v98
	s_waitcnt vmcnt(7)
	ds_write_b32 v116, v84
	;; [unrolled: 2-line block ×9, first 2 shown]
	s_waitcnt lgkmcnt(0)
	s_barrier
.LBB124_10:                             ;   Parent Loop BB124_6 Depth=1
                                        ; =>  This Inner Loop Header: Depth=2
	ds_read_b128 v[158:161], v147
	ds_read_b128 v[162:165], v147 offset:16
	ds_read2_b32 v[114:115], v146 offset1:32
	ds_read_b32 v153, v149
	ds_read2_b32 v[82:83], v148 offset1:1
	ds_read2_b32 v[86:87], v148 offset0:2 offset1:3
	ds_read2_b32 v[88:89], v148 offset0:4 offset1:5
	;; [unrolled: 1-line block ×3, first 2 shown]
	v_mov_b32_e32 v84, 0
	s_waitcnt lgkmcnt(3)
	v_dot4c_i32_i8_e32 v84, v82, v158
	v_dot4c_i32_i8_e32 v84, v83, v162
	s_waitcnt lgkmcnt(2)
	v_dot4c_i32_i8_e32 v84, v86, v159
	v_dot4c_i32_i8_e32 v84, v87, v163
	;; [unrolled: 3-line block ×4, first 2 shown]
	v_pk_mul_f16 v85, v114, v153
	v_add_u32_e32 v90, 0x2088, v148
	v_add_u32_e32 v95, 0x2090, v148
	v_cvt_f32_i32_e32 v84, v84
	v_mov_b32_e32 v94, 0
	v_add_u32_e32 v98, 0x4108, v148
	v_add_u32_e32 v102, 0x4110, v148
	v_fma_mix_f32 v84, v85, v84, v85 op_sel:[0,0,1] op_sel_hi:[1,0,1]
	v_add_f32_e32 v49, v49, v84
	v_add_u32_e32 v84, 0x2080, v148
	ds_read_b32 v154, v150
	ds_read2_b32 v[84:85], v84 offset1:1
	ds_read2_b32 v[90:91], v90 offset1:1
	;; [unrolled: 1-line block ×3, first 2 shown]
	v_add_u32_e32 v95, 0x2098, v148
	ds_read2_b32 v[100:101], v95 offset1:1
	s_waitcnt lgkmcnt(3)
	v_dot4c_i32_i8_e32 v94, v84, v158
	v_dot4c_i32_i8_e32 v94, v85, v162
	s_waitcnt lgkmcnt(2)
	v_dot4c_i32_i8_e32 v94, v90, v159
	v_dot4c_i32_i8_e32 v94, v91, v163
	;; [unrolled: 3-line block ×4, first 2 shown]
	v_pk_mul_f16 v95, v114, v154
	v_mov_b32_e32 v104, 0
	v_add_u32_e32 v105, 0x4118, v148
	v_cvt_f32_i32_e32 v94, v94
	v_add_u32_e32 v108, 0x6188, v148
	v_add_u32_e32 v110, 0x6190, v148
	v_mov_b32_e32 v157, 0
	v_fma_mix_f32 v94, v95, v94, v95 op_sel:[0,0,1] op_sel_hi:[1,0,1]
	v_add_f32_e32 v71, v71, v94
	v_add_u32_e32 v94, 0x4100, v148
	ds_read_b32 v155, v151
	ds_read2_b32 v[94:95], v94 offset1:1
	ds_read2_b32 v[98:99], v98 offset1:1
	ds_read2_b32 v[102:103], v102 offset1:1
	ds_read2_b32 v[106:107], v105 offset1:1
	s_waitcnt lgkmcnt(4)
	v_pk_mul_f16 v105, v114, v155
	s_waitcnt lgkmcnt(3)
	v_dot4c_i32_i8_e32 v104, v94, v158
	v_dot4c_i32_i8_e32 v104, v95, v162
	s_waitcnt lgkmcnt(2)
	v_dot4c_i32_i8_e32 v104, v98, v159
	v_dot4c_i32_i8_e32 v104, v99, v163
	;; [unrolled: 3-line block ×4, first 2 shown]
	v_add_u32_e32 v112, 0x6198, v148
	s_add_i32 s0, s0, 4
	v_add_u32_e32 v151, 4, v151
	v_cvt_f32_i32_e32 v104, v104
	v_add_u32_e32 v150, 4, v150
	v_add_u32_e32 v149, 4, v149
	s_cmp_lt_u32 s0, 28
	v_fma_mix_f32 v104, v105, v104, v105 op_sel:[0,0,1] op_sel_hi:[1,0,1]
	v_add_f32_e32 v67, v67, v104
	v_add_u32_e32 v104, 0x6180, v148
	ds_read_b32 v156, v152
	ds_read2_b32 v[104:105], v104 offset1:1
	ds_read2_b32 v[108:109], v108 offset1:1
	;; [unrolled: 1-line block ×4, first 2 shown]
	s_waitcnt lgkmcnt(4)
	v_pk_mul_f16 v114, v114, v156
	s_waitcnt lgkmcnt(3)
	v_dot4c_i32_i8_e32 v157, v104, v158
	v_dot4c_i32_i8_e32 v157, v105, v162
	s_waitcnt lgkmcnt(2)
	v_dot4c_i32_i8_e32 v157, v108, v159
	v_dot4c_i32_i8_e32 v157, v109, v163
	;; [unrolled: 3-line block ×4, first 2 shown]
	ds_read_b128 v[158:161], v147 offset:1024
	ds_read_b128 v[162:165], v147 offset:1040
	v_add_u32_e32 v152, 4, v152
	v_cvt_f32_i32_e32 v157, v157
	v_add_u32_e32 v148, 32, v148
	v_fma_mix_f32 v114, v114, v157, v114 op_sel:[0,0,1] op_sel_hi:[1,0,1]
	v_add_f32_e32 v65, v65, v114
	v_mov_b32_e32 v114, 0
	s_waitcnt lgkmcnt(1)
	v_dot4c_i32_i8_e32 v114, v82, v158
	s_waitcnt lgkmcnt(0)
	v_dot4c_i32_i8_e32 v114, v83, v162
	v_dot4c_i32_i8_e32 v114, v86, v159
	v_dot4c_i32_i8_e32 v114, v87, v163
	v_dot4c_i32_i8_e32 v114, v88, v160
	v_dot4c_i32_i8_e32 v114, v89, v164
	v_dot4c_i32_i8_e32 v114, v92, v161
	v_dot4c_i32_i8_e32 v114, v93, v165
	v_pk_mul_f16 v157, v153, v115
	s_nop 1
	v_cvt_f32_i32_e32 v114, v114
	v_fma_mix_f32 v114, v114, v157, v157 op_sel:[0,0,1] op_sel_hi:[0,1,1]
	v_add_f32_e32 v63, v63, v114
	v_mov_b32_e32 v114, 0
	v_dot4c_i32_i8_e32 v114, v84, v158
	v_dot4c_i32_i8_e32 v114, v85, v162
	;; [unrolled: 1-line block ×8, first 2 shown]
	v_pk_mul_f16 v157, v154, v115
	s_nop 1
	v_cvt_f32_i32_e32 v114, v114
	v_fma_mix_f32 v114, v114, v157, v157 op_sel:[0,0,1] op_sel_hi:[0,1,1]
	v_add_f32_e32 v61, v61, v114
	v_mov_b32_e32 v114, 0
	v_dot4c_i32_i8_e32 v114, v94, v158
	v_dot4c_i32_i8_e32 v114, v95, v162
	;; [unrolled: 1-line block ×8, first 2 shown]
	v_pk_mul_f16 v157, v155, v115
	v_pk_mul_f16 v115, v156, v115
	s_nop 0
	v_cvt_f32_i32_e32 v114, v114
	v_fma_mix_f32 v114, v114, v157, v157 op_sel:[0,0,1] op_sel_hi:[0,1,1]
	v_add_f32_e32 v59, v59, v114
	v_mov_b32_e32 v114, 0
	v_dot4c_i32_i8_e32 v114, v104, v158
	v_dot4c_i32_i8_e32 v114, v105, v162
	;; [unrolled: 1-line block ×8, first 2 shown]
	v_mov_b32_e32 v157, 0
	s_nop 1
	v_cvt_f32_i32_e32 v114, v114
	v_fma_mix_f32 v114, v114, v115, v115 op_sel:[0,0,1] op_sel_hi:[0,1,1]
	v_add_f32_e32 v55, v55, v114
	ds_read_b128 v[158:161], v147 offset:2048
	ds_read_b128 v[162:165], v147 offset:2064
	ds_read2_b32 v[114:115], v146 offset0:64 offset1:96
	s_waitcnt lgkmcnt(2)
	v_dot4c_i32_i8_e32 v157, v82, v158
	s_waitcnt lgkmcnt(1)
	v_dot4c_i32_i8_e32 v157, v83, v162
	v_dot4c_i32_i8_e32 v157, v86, v159
	;; [unrolled: 1-line block ×7, first 2 shown]
	s_waitcnt lgkmcnt(0)
	v_pk_mul_f16 v166, v153, v114
	s_nop 0
	v_cvt_f32_i32_e32 v157, v157
	v_fma_mix_f32 v157, v157, v166, v166 op_sel:[0,0,1] op_sel_hi:[0,1,1]
	v_add_f32_e32 v53, v53, v157
	v_mov_b32_e32 v157, 0
	v_dot4c_i32_i8_e32 v157, v84, v158
	v_dot4c_i32_i8_e32 v157, v85, v162
	;; [unrolled: 1-line block ×8, first 2 shown]
	v_pk_mul_f16 v166, v154, v114
	s_nop 1
	v_cvt_f32_i32_e32 v157, v157
	v_fma_mix_f32 v157, v157, v166, v166 op_sel:[0,0,1] op_sel_hi:[0,1,1]
	v_add_f32_e32 v51, v51, v157
	v_mov_b32_e32 v157, 0
	v_dot4c_i32_i8_e32 v157, v94, v158
	v_dot4c_i32_i8_e32 v157, v95, v162
	;; [unrolled: 1-line block ×8, first 2 shown]
	v_pk_mul_f16 v166, v155, v114
	v_pk_mul_f16 v114, v156, v114
	s_nop 0
	v_cvt_f32_i32_e32 v157, v157
	v_fma_mix_f32 v157, v157, v166, v166 op_sel:[0,0,1] op_sel_hi:[0,1,1]
	v_add_f32_e32 v47, v47, v157
	v_mov_b32_e32 v157, 0
	v_dot4c_i32_i8_e32 v157, v104, v158
	v_dot4c_i32_i8_e32 v157, v105, v162
	;; [unrolled: 1-line block ×8, first 2 shown]
	ds_read_b128 v[158:161], v147 offset:3072
	ds_read_b128 v[162:165], v147 offset:3088
	s_nop 0
	v_cvt_f32_i32_e32 v157, v157
	v_fma_mix_f32 v114, v157, v114, v114 op_sel:[0,0,1] op_sel_hi:[0,1,1]
	v_add_f32_e32 v43, v43, v114
	v_mov_b32_e32 v114, 0
	s_waitcnt lgkmcnt(1)
	v_dot4c_i32_i8_e32 v114, v82, v158
	s_waitcnt lgkmcnt(0)
	v_dot4c_i32_i8_e32 v114, v83, v162
	v_dot4c_i32_i8_e32 v114, v86, v159
	;; [unrolled: 1-line block ×7, first 2 shown]
	v_pk_mul_f16 v157, v153, v115
	s_nop 1
	v_cvt_f32_i32_e32 v114, v114
	v_fma_mix_f32 v114, v114, v157, v157 op_sel:[0,0,1] op_sel_hi:[0,1,1]
	v_add_f32_e32 v39, v39, v114
	v_mov_b32_e32 v114, 0
	v_dot4c_i32_i8_e32 v114, v84, v158
	v_dot4c_i32_i8_e32 v114, v85, v162
	;; [unrolled: 1-line block ×8, first 2 shown]
	v_pk_mul_f16 v157, v154, v115
	s_nop 1
	v_cvt_f32_i32_e32 v114, v114
	v_fma_mix_f32 v114, v114, v157, v157 op_sel:[0,0,1] op_sel_hi:[0,1,1]
	v_add_f32_e32 v37, v37, v114
	v_mov_b32_e32 v114, 0
	v_dot4c_i32_i8_e32 v114, v94, v158
	v_dot4c_i32_i8_e32 v114, v95, v162
	;; [unrolled: 1-line block ×8, first 2 shown]
	v_pk_mul_f16 v157, v155, v115
	v_pk_mul_f16 v115, v156, v115
	s_nop 0
	v_cvt_f32_i32_e32 v114, v114
	v_fma_mix_f32 v114, v114, v157, v157 op_sel:[0,0,1] op_sel_hi:[0,1,1]
	v_add_f32_e32 v35, v35, v114
	v_mov_b32_e32 v114, 0
	v_dot4c_i32_i8_e32 v114, v104, v158
	v_dot4c_i32_i8_e32 v114, v105, v162
	;; [unrolled: 1-line block ×8, first 2 shown]
	v_mov_b32_e32 v157, 0
	s_nop 1
	v_cvt_f32_i32_e32 v114, v114
	v_fma_mix_f32 v114, v114, v115, v115 op_sel:[0,0,1] op_sel_hi:[0,1,1]
	v_add_f32_e32 v33, v33, v114
	ds_read_b128 v[158:161], v147 offset:4096
	ds_read_b128 v[162:165], v147 offset:4112
	ds_read2_b32 v[114:115], v146 offset0:128 offset1:160
	s_waitcnt lgkmcnt(2)
	v_dot4c_i32_i8_e32 v157, v82, v158
	s_waitcnt lgkmcnt(1)
	v_dot4c_i32_i8_e32 v157, v83, v162
	v_dot4c_i32_i8_e32 v157, v86, v159
	;; [unrolled: 1-line block ×7, first 2 shown]
	s_waitcnt lgkmcnt(0)
	v_pk_mul_f16 v166, v153, v114
	s_nop 0
	v_cvt_f32_i32_e32 v157, v157
	v_fma_mix_f32 v157, v157, v166, v166 op_sel:[0,0,1] op_sel_hi:[0,1,1]
	v_add_f32_e32 v31, v31, v157
	v_mov_b32_e32 v157, 0
	v_dot4c_i32_i8_e32 v157, v84, v158
	v_dot4c_i32_i8_e32 v157, v85, v162
	;; [unrolled: 1-line block ×8, first 2 shown]
	v_pk_mul_f16 v166, v154, v114
	s_nop 1
	v_cvt_f32_i32_e32 v157, v157
	v_fma_mix_f32 v157, v157, v166, v166 op_sel:[0,0,1] op_sel_hi:[0,1,1]
	v_add_f32_e32 v29, v29, v157
	v_mov_b32_e32 v157, 0
	v_dot4c_i32_i8_e32 v157, v94, v158
	v_dot4c_i32_i8_e32 v157, v95, v162
	;; [unrolled: 1-line block ×8, first 2 shown]
	v_pk_mul_f16 v166, v155, v114
	v_pk_mul_f16 v114, v156, v114
	s_nop 0
	v_cvt_f32_i32_e32 v157, v157
	v_fma_mix_f32 v157, v157, v166, v166 op_sel:[0,0,1] op_sel_hi:[0,1,1]
	v_add_f32_e32 v27, v27, v157
	v_mov_b32_e32 v157, 0
	v_dot4c_i32_i8_e32 v157, v104, v158
	v_dot4c_i32_i8_e32 v157, v105, v162
	;; [unrolled: 1-line block ×8, first 2 shown]
	ds_read_b128 v[158:161], v147 offset:5120
	ds_read_b128 v[162:165], v147 offset:5136
	s_nop 0
	v_cvt_f32_i32_e32 v157, v157
	v_fma_mix_f32 v114, v157, v114, v114 op_sel:[0,0,1] op_sel_hi:[0,1,1]
	v_add_f32_e32 v25, v25, v114
	v_mov_b32_e32 v114, 0
	s_waitcnt lgkmcnt(1)
	v_dot4c_i32_i8_e32 v114, v82, v158
	s_waitcnt lgkmcnt(0)
	v_dot4c_i32_i8_e32 v114, v83, v162
	v_dot4c_i32_i8_e32 v114, v86, v159
	;; [unrolled: 1-line block ×7, first 2 shown]
	v_pk_mul_f16 v157, v153, v115
	s_nop 1
	v_cvt_f32_i32_e32 v114, v114
	v_fma_mix_f32 v114, v114, v157, v157 op_sel:[0,0,1] op_sel_hi:[0,1,1]
	v_add_f32_e32 v23, v23, v114
	v_mov_b32_e32 v114, 0
	v_dot4c_i32_i8_e32 v114, v84, v158
	v_dot4c_i32_i8_e32 v114, v85, v162
	;; [unrolled: 1-line block ×8, first 2 shown]
	v_pk_mul_f16 v157, v154, v115
	s_nop 1
	v_cvt_f32_i32_e32 v114, v114
	v_fma_mix_f32 v114, v114, v157, v157 op_sel:[0,0,1] op_sel_hi:[0,1,1]
	v_add_f32_e32 v21, v21, v114
	v_mov_b32_e32 v114, 0
	v_dot4c_i32_i8_e32 v114, v94, v158
	v_dot4c_i32_i8_e32 v114, v95, v162
	;; [unrolled: 1-line block ×8, first 2 shown]
	v_pk_mul_f16 v157, v155, v115
	v_pk_mul_f16 v115, v156, v115
	s_nop 0
	v_cvt_f32_i32_e32 v114, v114
	v_fma_mix_f32 v114, v114, v157, v157 op_sel:[0,0,1] op_sel_hi:[0,1,1]
	v_add_f32_e32 v19, v19, v114
	v_mov_b32_e32 v114, 0
	v_dot4c_i32_i8_e32 v114, v104, v158
	v_dot4c_i32_i8_e32 v114, v105, v162
	;; [unrolled: 1-line block ×8, first 2 shown]
	v_mov_b32_e32 v157, 0
	s_nop 1
	v_cvt_f32_i32_e32 v114, v114
	v_fma_mix_f32 v114, v114, v115, v115 op_sel:[0,0,1] op_sel_hi:[0,1,1]
	v_add_f32_e32 v17, v17, v114
	ds_read_b128 v[158:161], v147 offset:6144
	ds_read_b128 v[162:165], v147 offset:6160
	ds_read2_b32 v[114:115], v146 offset0:192 offset1:224
	v_add_u32_e32 v146, 4, v146
	s_waitcnt lgkmcnt(2)
	v_dot4c_i32_i8_e32 v157, v82, v158
	s_waitcnt lgkmcnt(1)
	v_dot4c_i32_i8_e32 v157, v83, v162
	v_dot4c_i32_i8_e32 v157, v86, v159
	;; [unrolled: 1-line block ×7, first 2 shown]
	s_waitcnt lgkmcnt(0)
	v_pk_mul_f16 v166, v153, v114
	s_nop 0
	v_cvt_f32_i32_e32 v157, v157
	v_fma_mix_f32 v157, v157, v166, v166 op_sel:[0,0,1] op_sel_hi:[0,1,1]
	v_add_f32_e32 v15, v15, v157
	v_mov_b32_e32 v157, 0
	v_dot4c_i32_i8_e32 v157, v84, v158
	v_dot4c_i32_i8_e32 v157, v85, v162
	;; [unrolled: 1-line block ×8, first 2 shown]
	v_pk_mul_f16 v166, v154, v114
	s_nop 1
	v_cvt_f32_i32_e32 v157, v157
	v_fma_mix_f32 v157, v157, v166, v166 op_sel:[0,0,1] op_sel_hi:[0,1,1]
	v_add_f32_e32 v13, v13, v157
	v_mov_b32_e32 v157, 0
	v_dot4c_i32_i8_e32 v157, v94, v158
	v_dot4c_i32_i8_e32 v157, v95, v162
	v_dot4c_i32_i8_e32 v157, v98, v159
	v_dot4c_i32_i8_e32 v157, v99, v163
	v_dot4c_i32_i8_e32 v157, v102, v160
	v_dot4c_i32_i8_e32 v157, v103, v164
	v_dot4c_i32_i8_e32 v157, v106, v161
	v_dot4c_i32_i8_e32 v157, v107, v165
	v_pk_mul_f16 v166, v155, v114
	v_pk_mul_f16 v114, v156, v114
	s_nop 0
	v_cvt_f32_i32_e32 v157, v157
	v_fma_mix_f32 v157, v157, v166, v166 op_sel:[0,0,1] op_sel_hi:[0,1,1]
	v_add_f32_e32 v11, v11, v157
	v_mov_b32_e32 v157, 0
	v_dot4c_i32_i8_e32 v157, v104, v158
	v_dot4c_i32_i8_e32 v157, v105, v162
	;; [unrolled: 1-line block ×8, first 2 shown]
	ds_read_b128 v[158:161], v147 offset:7168
	ds_read_b128 v[162:165], v147 offset:7184
	v_add_u32_e32 v147, 32, v147
	v_cvt_f32_i32_e32 v157, v157
	v_fma_mix_f32 v114, v157, v114, v114 op_sel:[0,0,1] op_sel_hi:[0,1,1]
	v_add_f32_e32 v9, v9, v114
	v_mov_b32_e32 v114, 0
	s_waitcnt lgkmcnt(1)
	v_dot4c_i32_i8_e32 v114, v82, v158
	s_waitcnt lgkmcnt(0)
	v_dot4c_i32_i8_e32 v114, v83, v162
	v_dot4c_i32_i8_e32 v114, v86, v159
	v_dot4c_i32_i8_e32 v114, v87, v163
	v_dot4c_i32_i8_e32 v114, v88, v160
	v_dot4c_i32_i8_e32 v114, v89, v164
	v_dot4c_i32_i8_e32 v114, v92, v161
	v_dot4c_i32_i8_e32 v114, v93, v165
	v_pk_mul_f16 v82, v153, v115
	s_nop 1
	v_cvt_f32_i32_e32 v83, v114
	v_fma_mix_f32 v82, v83, v82, v82 op_sel:[0,0,1] op_sel_hi:[0,1,1]
	v_add_f32_e32 v7, v7, v82
	v_mov_b32_e32 v82, 0
	v_dot4c_i32_i8_e32 v82, v84, v158
	v_dot4c_i32_i8_e32 v82, v85, v162
	v_dot4c_i32_i8_e32 v82, v90, v159
	v_dot4c_i32_i8_e32 v82, v91, v163
	v_dot4c_i32_i8_e32 v82, v96, v160
	v_dot4c_i32_i8_e32 v82, v97, v164
	v_dot4c_i32_i8_e32 v82, v100, v161
	v_dot4c_i32_i8_e32 v82, v101, v165
	v_pk_mul_f16 v83, v154, v115
	s_nop 1
	v_cvt_f32_i32_e32 v82, v82
	v_fma_mix_f32 v82, v82, v83, v83 op_sel:[0,0,1] op_sel_hi:[0,1,1]
	v_add_f32_e32 v5, v5, v82
	v_mov_b32_e32 v82, 0
	v_dot4c_i32_i8_e32 v82, v94, v158
	;; [unrolled: 14-line block ×3, first 2 shown]
	v_dot4c_i32_i8_e32 v82, v105, v162
	v_dot4c_i32_i8_e32 v82, v108, v159
	v_dot4c_i32_i8_e32 v82, v109, v163
	v_dot4c_i32_i8_e32 v82, v110, v160
	v_dot4c_i32_i8_e32 v82, v111, v164
	v_dot4c_i32_i8_e32 v82, v112, v161
	v_dot4c_i32_i8_e32 v82, v113, v165
	v_pk_mul_f16 v83, v156, v115
	s_nop 1
	v_cvt_f32_i32_e32 v82, v82
	v_fma_mix_f32 v82, v82, v83, v83 op_sel:[0,0,1] op_sel_hi:[0,1,1]
	v_add_f32_e32 v1, v1, v82
	s_cbranch_scc1 .LBB124_10
; %bb.11:                               ;   in Loop: Header=BB124_6 Depth=1
	s_barrier
	s_branch .LBB124_5
.LBB124_12:
	v_mov_b32_e32 v2, v45
.LBB124_13:
	v_cmp_gt_u32_e32 vcc, s10, v57
	s_and_saveexec_b64 s[0:1], vcc
	s_cbranch_execz .LBB124_64
; %bb.14:
	v_add_u32_e32 v0, s6, v41
	v_mul_lo_u32 v10, v57, s14
	v_cmp_gt_u32_e32 vcc, s14, v0
	s_and_saveexec_b64 s[2:3], vcc
	s_cbranch_execz .LBB124_16
; %bb.15:
	v_add_u32_e32 v40, v0, v10
	v_mov_b32_e32 v41, 0
	v_lshlrev_b64 v[40:41], 2, v[40:41]
	s_waitcnt lgkmcnt(0)
	v_mov_b32_e32 v4, s13
	v_add_co_u32_e64 v40, s[0:1], s12, v40
	v_addc_co_u32_e64 v41, s[0:1], v4, v41, s[0:1]
	global_store_dword v[40:41], v49, off
.LBB124_16:
	s_or_b64 exec, exec, s[2:3]
	v_add_u32_e32 v4, 32, v0
	v_cmp_gt_u32_e64 s[0:1], s14, v4
	s_and_saveexec_b64 s[4:5], s[0:1]
	s_cbranch_execz .LBB124_18
; %bb.17:
	v_add_u32_e32 v40, v4, v10
	v_mov_b32_e32 v41, 0
	v_lshlrev_b64 v[40:41], 2, v[40:41]
	s_waitcnt lgkmcnt(0)
	v_mov_b32_e32 v6, s13
	v_add_co_u32_e64 v40, s[2:3], s12, v40
	v_addc_co_u32_e64 v41, s[2:3], v6, v41, s[2:3]
	global_store_dword v[40:41], v71, off
.LBB124_18:
	s_or_b64 exec, exec, s[4:5]
	v_add_u32_e32 v6, 64, v0
	v_cmp_gt_u32_e64 s[2:3], s14, v6
	s_and_saveexec_b64 s[6:7], s[2:3]
	;; [unrolled: 15-line block ×3, first 2 shown]
	s_cbranch_execz .LBB124_22
; %bb.21:
	v_add_u32_e32 v40, v8, v10
	v_mov_b32_e32 v41, 0
	v_lshlrev_b64 v[40:41], 2, v[40:41]
	s_waitcnt lgkmcnt(0)
	v_mov_b32_e32 v10, s13
	v_add_co_u32_e64 v40, s[6:7], s12, v40
	v_addc_co_u32_e64 v41, s[6:7], v10, v41, s[6:7]
	global_store_dword v[40:41], v65, off
.LBB124_22:
	s_or_b64 exec, exec, s[8:9]
	v_add3_u32 v10, v2, s15, 8
	v_cmp_gt_u32_e64 s[6:7], s10, v10
	s_and_b64 exec, exec, s[6:7]
	s_cbranch_execz .LBB124_64
; %bb.23:
	v_mul_lo_u32 v10, v10, s14
	s_and_saveexec_b64 s[8:9], vcc
	s_cbranch_execnz .LBB124_65
; %bb.24:
	s_or_b64 exec, exec, s[8:9]
	s_and_saveexec_b64 s[8:9], s[0:1]
	s_cbranch_execnz .LBB124_66
.LBB124_25:
	s_or_b64 exec, exec, s[8:9]
	s_and_saveexec_b64 s[8:9], s[2:3]
	s_cbranch_execnz .LBB124_67
.LBB124_26:
	s_or_b64 exec, exec, s[8:9]
	s_and_saveexec_b64 s[8:9], s[4:5]
	s_cbranch_execz .LBB124_28
.LBB124_27:
	v_add_u32_e32 v40, v10, v8
	v_mov_b32_e32 v41, 0
	v_lshlrev_b64 v[40:41], 2, v[40:41]
	s_waitcnt lgkmcnt(0)
	v_mov_b32_e32 v10, s13
	v_add_co_u32_e64 v40, s[6:7], s12, v40
	v_addc_co_u32_e64 v41, s[6:7], v10, v41, s[6:7]
	global_store_dword v[40:41], v55, off
.LBB124_28:
	s_or_b64 exec, exec, s[8:9]
	v_add3_u32 v10, v2, s15, 16
	v_cmp_gt_u32_e64 s[6:7], s10, v10
	s_and_b64 exec, exec, s[6:7]
	s_cbranch_execz .LBB124_64
; %bb.29:
	v_mul_lo_u32 v10, v10, s14
	s_and_saveexec_b64 s[8:9], vcc
	s_cbranch_execnz .LBB124_68
; %bb.30:
	s_or_b64 exec, exec, s[8:9]
	s_and_saveexec_b64 s[8:9], s[0:1]
	s_cbranch_execnz .LBB124_69
.LBB124_31:
	s_or_b64 exec, exec, s[8:9]
	s_and_saveexec_b64 s[8:9], s[2:3]
	s_cbranch_execnz .LBB124_70
.LBB124_32:
	s_or_b64 exec, exec, s[8:9]
	s_and_saveexec_b64 s[8:9], s[4:5]
	s_cbranch_execz .LBB124_34
.LBB124_33:
	v_add_u32_e32 v40, v10, v8
	v_mov_b32_e32 v41, 0
	v_lshlrev_b64 v[40:41], 2, v[40:41]
	s_waitcnt lgkmcnt(0)
	v_mov_b32_e32 v10, s13
	v_add_co_u32_e64 v40, s[6:7], s12, v40
	v_addc_co_u32_e64 v41, s[6:7], v10, v41, s[6:7]
	global_store_dword v[40:41], v43, off
.LBB124_34:
	s_or_b64 exec, exec, s[8:9]
	v_add3_u32 v10, v2, s15, 24
	v_cmp_gt_u32_e64 s[6:7], s10, v10
	s_and_b64 exec, exec, s[6:7]
	s_cbranch_execz .LBB124_64
; %bb.35:
	v_mul_lo_u32 v10, v10, s14
	s_and_saveexec_b64 s[8:9], vcc
	s_cbranch_execnz .LBB124_71
; %bb.36:
	s_or_b64 exec, exec, s[8:9]
	s_and_saveexec_b64 s[8:9], s[0:1]
	s_cbranch_execnz .LBB124_72
.LBB124_37:
	s_or_b64 exec, exec, s[8:9]
	s_and_saveexec_b64 s[8:9], s[2:3]
	s_cbranch_execnz .LBB124_73
.LBB124_38:
	s_or_b64 exec, exec, s[8:9]
	s_and_saveexec_b64 s[8:9], s[4:5]
	s_cbranch_execz .LBB124_40
.LBB124_39:
	v_add_u32_e32 v34, v10, v8
	v_mov_b32_e32 v35, 0
	v_lshlrev_b64 v[34:35], 2, v[34:35]
	s_waitcnt lgkmcnt(0)
	v_mov_b32_e32 v10, s13
	v_add_co_u32_e64 v34, s[6:7], s12, v34
	v_addc_co_u32_e64 v35, s[6:7], v10, v35, s[6:7]
	global_store_dword v[34:35], v33, off
.LBB124_40:
	s_or_b64 exec, exec, s[8:9]
	v_add3_u32 v10, v2, s15, 32
	v_cmp_gt_u32_e64 s[6:7], s10, v10
	s_and_b64 exec, exec, s[6:7]
	s_cbranch_execz .LBB124_64
; %bb.41:
	v_mul_lo_u32 v10, v10, s14
	s_and_saveexec_b64 s[8:9], vcc
	s_cbranch_execnz .LBB124_74
; %bb.42:
	s_or_b64 exec, exec, s[8:9]
	s_and_saveexec_b64 s[8:9], s[0:1]
	s_cbranch_execnz .LBB124_75
.LBB124_43:
	s_or_b64 exec, exec, s[8:9]
	s_and_saveexec_b64 s[8:9], s[2:3]
	s_cbranch_execnz .LBB124_76
.LBB124_44:
	s_or_b64 exec, exec, s[8:9]
	s_and_saveexec_b64 s[8:9], s[4:5]
	s_cbranch_execz .LBB124_46
.LBB124_45:
	v_add_u32_e32 v26, v10, v8
	v_mov_b32_e32 v27, 0
	v_lshlrev_b64 v[26:27], 2, v[26:27]
	s_waitcnt lgkmcnt(0)
	v_mov_b32_e32 v10, s13
	v_add_co_u32_e64 v26, s[6:7], s12, v26
	v_addc_co_u32_e64 v27, s[6:7], v10, v27, s[6:7]
	global_store_dword v[26:27], v25, off
.LBB124_46:
	s_or_b64 exec, exec, s[8:9]
	v_add3_u32 v10, v2, s15, 40
	v_cmp_gt_u32_e64 s[6:7], s10, v10
	s_and_b64 exec, exec, s[6:7]
	s_cbranch_execz .LBB124_64
; %bb.47:
	v_mul_lo_u32 v10, v10, s14
	s_and_saveexec_b64 s[8:9], vcc
	s_cbranch_execnz .LBB124_77
; %bb.48:
	s_or_b64 exec, exec, s[8:9]
	s_and_saveexec_b64 s[8:9], s[0:1]
	s_cbranch_execnz .LBB124_78
.LBB124_49:
	s_or_b64 exec, exec, s[8:9]
	s_and_saveexec_b64 s[8:9], s[2:3]
	s_cbranch_execnz .LBB124_79
.LBB124_50:
	s_or_b64 exec, exec, s[8:9]
	s_and_saveexec_b64 s[8:9], s[4:5]
	s_cbranch_execz .LBB124_52
.LBB124_51:
	v_add_u32_e32 v18, v10, v8
	v_mov_b32_e32 v19, 0
	v_lshlrev_b64 v[18:19], 2, v[18:19]
	s_waitcnt lgkmcnt(0)
	v_mov_b32_e32 v10, s13
	v_add_co_u32_e64 v18, s[6:7], s12, v18
	v_addc_co_u32_e64 v19, s[6:7], v10, v19, s[6:7]
	global_store_dword v[18:19], v17, off
.LBB124_52:
	s_or_b64 exec, exec, s[8:9]
	v_add3_u32 v10, v2, s15, 48
	v_cmp_gt_u32_e64 s[6:7], s10, v10
	s_and_b64 exec, exec, s[6:7]
	s_cbranch_execz .LBB124_64
; %bb.53:
	v_mul_lo_u32 v10, v10, s14
	s_and_saveexec_b64 s[8:9], vcc
	s_cbranch_execnz .LBB124_80
; %bb.54:
	s_or_b64 exec, exec, s[8:9]
	s_and_saveexec_b64 s[8:9], s[0:1]
	s_cbranch_execnz .LBB124_81
.LBB124_55:
	s_or_b64 exec, exec, s[8:9]
	s_and_saveexec_b64 s[8:9], s[2:3]
	s_cbranch_execnz .LBB124_82
.LBB124_56:
	s_or_b64 exec, exec, s[8:9]
	s_and_saveexec_b64 s[8:9], s[4:5]
	s_cbranch_execz .LBB124_58
.LBB124_57:
	v_add_u32_e32 v10, v10, v8
	v_mov_b32_e32 v11, 0
	v_lshlrev_b64 v[10:11], 2, v[10:11]
	s_waitcnt lgkmcnt(0)
	v_mov_b32_e32 v12, s13
	v_add_co_u32_e64 v10, s[6:7], s12, v10
	v_addc_co_u32_e64 v11, s[6:7], v12, v11, s[6:7]
	global_store_dword v[10:11], v9, off
.LBB124_58:
	s_or_b64 exec, exec, s[8:9]
	v_add3_u32 v2, v2, s15, 56
	v_cmp_gt_u32_e64 s[6:7], s10, v2
	s_and_b64 exec, exec, s[6:7]
	s_cbranch_execz .LBB124_64
; %bb.59:
	v_mul_lo_u32 v2, v2, s14
	s_and_saveexec_b64 s[6:7], vcc
	s_cbranch_execnz .LBB124_83
; %bb.60:
	s_or_b64 exec, exec, s[6:7]
	s_and_saveexec_b64 s[6:7], s[0:1]
	s_cbranch_execnz .LBB124_84
.LBB124_61:
	s_or_b64 exec, exec, s[6:7]
	s_and_saveexec_b64 s[0:1], s[2:3]
	s_cbranch_execnz .LBB124_85
.LBB124_62:
	s_or_b64 exec, exec, s[0:1]
	s_and_b64 exec, exec, s[4:5]
	s_cbranch_execz .LBB124_64
.LBB124_63:
	v_add_u32_e32 v2, v2, v8
	v_mov_b32_e32 v3, 0
	v_lshlrev_b64 v[2:3], 2, v[2:3]
	s_waitcnt lgkmcnt(0)
	v_mov_b32_e32 v0, s13
	v_add_co_u32_e32 v2, vcc, s12, v2
	v_addc_co_u32_e32 v3, vcc, v0, v3, vcc
	global_store_dword v[2:3], v1, off
.LBB124_64:
	s_endpgm
.LBB124_65:
	v_add_u32_e32 v40, v10, v0
	v_mov_b32_e32 v41, 0
	v_lshlrev_b64 v[40:41], 2, v[40:41]
	s_waitcnt lgkmcnt(0)
	v_mov_b32_e32 v12, s13
	v_add_co_u32_e64 v40, s[6:7], s12, v40
	v_addc_co_u32_e64 v41, s[6:7], v12, v41, s[6:7]
	global_store_dword v[40:41], v63, off
	s_or_b64 exec, exec, s[8:9]
	s_and_saveexec_b64 s[8:9], s[0:1]
	s_cbranch_execz .LBB124_25
.LBB124_66:
	v_add_u32_e32 v40, v10, v4
	v_mov_b32_e32 v41, 0
	v_lshlrev_b64 v[40:41], 2, v[40:41]
	s_waitcnt lgkmcnt(0)
	v_mov_b32_e32 v12, s13
	v_add_co_u32_e64 v40, s[6:7], s12, v40
	v_addc_co_u32_e64 v41, s[6:7], v12, v41, s[6:7]
	global_store_dword v[40:41], v61, off
	s_or_b64 exec, exec, s[8:9]
	s_and_saveexec_b64 s[8:9], s[2:3]
	s_cbranch_execz .LBB124_26
.LBB124_67:
	v_add_u32_e32 v40, v10, v6
	v_mov_b32_e32 v41, 0
	v_lshlrev_b64 v[40:41], 2, v[40:41]
	s_waitcnt lgkmcnt(0)
	v_mov_b32_e32 v12, s13
	v_add_co_u32_e64 v40, s[6:7], s12, v40
	v_addc_co_u32_e64 v41, s[6:7], v12, v41, s[6:7]
	global_store_dword v[40:41], v59, off
	s_or_b64 exec, exec, s[8:9]
	s_and_saveexec_b64 s[8:9], s[4:5]
	s_cbranch_execnz .LBB124_27
	s_branch .LBB124_28
.LBB124_68:
	v_add_u32_e32 v40, v10, v0
	v_mov_b32_e32 v41, 0
	v_lshlrev_b64 v[40:41], 2, v[40:41]
	s_waitcnt lgkmcnt(0)
	v_mov_b32_e32 v12, s13
	v_add_co_u32_e64 v40, s[6:7], s12, v40
	v_addc_co_u32_e64 v41, s[6:7], v12, v41, s[6:7]
	global_store_dword v[40:41], v53, off
	s_or_b64 exec, exec, s[8:9]
	s_and_saveexec_b64 s[8:9], s[0:1]
	s_cbranch_execz .LBB124_31
.LBB124_69:
	v_add_u32_e32 v40, v10, v4
	v_mov_b32_e32 v41, 0
	v_lshlrev_b64 v[40:41], 2, v[40:41]
	s_waitcnt lgkmcnt(0)
	v_mov_b32_e32 v12, s13
	v_add_co_u32_e64 v40, s[6:7], s12, v40
	v_addc_co_u32_e64 v41, s[6:7], v12, v41, s[6:7]
	global_store_dword v[40:41], v51, off
	s_or_b64 exec, exec, s[8:9]
	s_and_saveexec_b64 s[8:9], s[2:3]
	s_cbranch_execz .LBB124_32
.LBB124_70:
	v_add_u32_e32 v40, v10, v6
	v_mov_b32_e32 v41, 0
	v_lshlrev_b64 v[40:41], 2, v[40:41]
	s_waitcnt lgkmcnt(0)
	v_mov_b32_e32 v12, s13
	v_add_co_u32_e64 v40, s[6:7], s12, v40
	v_addc_co_u32_e64 v41, s[6:7], v12, v41, s[6:7]
	global_store_dword v[40:41], v47, off
	s_or_b64 exec, exec, s[8:9]
	s_and_saveexec_b64 s[8:9], s[4:5]
	s_cbranch_execnz .LBB124_33
	s_branch .LBB124_34
.LBB124_71:
	v_add_u32_e32 v40, v10, v0
	v_mov_b32_e32 v41, 0
	v_lshlrev_b64 v[40:41], 2, v[40:41]
	s_waitcnt lgkmcnt(0)
	v_mov_b32_e32 v12, s13
	v_add_co_u32_e64 v40, s[6:7], s12, v40
	v_addc_co_u32_e64 v41, s[6:7], v12, v41, s[6:7]
	global_store_dword v[40:41], v39, off
	s_or_b64 exec, exec, s[8:9]
	s_and_saveexec_b64 s[8:9], s[0:1]
	s_cbranch_execz .LBB124_37
.LBB124_72:
	v_add_u32_e32 v38, v10, v4
	v_mov_b32_e32 v39, 0
	v_lshlrev_b64 v[38:39], 2, v[38:39]
	s_waitcnt lgkmcnt(0)
	v_mov_b32_e32 v12, s13
	v_add_co_u32_e64 v38, s[6:7], s12, v38
	v_addc_co_u32_e64 v39, s[6:7], v12, v39, s[6:7]
	global_store_dword v[38:39], v37, off
	s_or_b64 exec, exec, s[8:9]
	s_and_saveexec_b64 s[8:9], s[2:3]
	s_cbranch_execz .LBB124_38
.LBB124_73:
	v_add_u32_e32 v36, v10, v6
	v_mov_b32_e32 v37, 0
	v_lshlrev_b64 v[36:37], 2, v[36:37]
	s_waitcnt lgkmcnt(0)
	v_mov_b32_e32 v12, s13
	v_add_co_u32_e64 v36, s[6:7], s12, v36
	v_addc_co_u32_e64 v37, s[6:7], v12, v37, s[6:7]
	global_store_dword v[36:37], v35, off
	s_or_b64 exec, exec, s[8:9]
	s_and_saveexec_b64 s[8:9], s[4:5]
	s_cbranch_execnz .LBB124_39
	s_branch .LBB124_40
.LBB124_74:
	v_add_u32_e32 v32, v10, v0
	v_mov_b32_e32 v33, 0
	v_lshlrev_b64 v[32:33], 2, v[32:33]
	s_waitcnt lgkmcnt(0)
	v_mov_b32_e32 v12, s13
	v_add_co_u32_e64 v32, s[6:7], s12, v32
	v_addc_co_u32_e64 v33, s[6:7], v12, v33, s[6:7]
	global_store_dword v[32:33], v31, off
	s_or_b64 exec, exec, s[8:9]
	s_and_saveexec_b64 s[8:9], s[0:1]
	s_cbranch_execz .LBB124_43
.LBB124_75:
	v_add_u32_e32 v30, v10, v4
	v_mov_b32_e32 v31, 0
	v_lshlrev_b64 v[30:31], 2, v[30:31]
	s_waitcnt lgkmcnt(0)
	v_mov_b32_e32 v12, s13
	v_add_co_u32_e64 v30, s[6:7], s12, v30
	v_addc_co_u32_e64 v31, s[6:7], v12, v31, s[6:7]
	global_store_dword v[30:31], v29, off
	s_or_b64 exec, exec, s[8:9]
	s_and_saveexec_b64 s[8:9], s[2:3]
	s_cbranch_execz .LBB124_44
.LBB124_76:
	v_add_u32_e32 v28, v10, v6
	v_mov_b32_e32 v29, 0
	v_lshlrev_b64 v[28:29], 2, v[28:29]
	s_waitcnt lgkmcnt(0)
	v_mov_b32_e32 v12, s13
	v_add_co_u32_e64 v28, s[6:7], s12, v28
	v_addc_co_u32_e64 v29, s[6:7], v12, v29, s[6:7]
	global_store_dword v[28:29], v27, off
	s_or_b64 exec, exec, s[8:9]
	s_and_saveexec_b64 s[8:9], s[4:5]
	s_cbranch_execnz .LBB124_45
	s_branch .LBB124_46
.LBB124_77:
	v_add_u32_e32 v24, v10, v0
	v_mov_b32_e32 v25, 0
	v_lshlrev_b64 v[24:25], 2, v[24:25]
	s_waitcnt lgkmcnt(0)
	v_mov_b32_e32 v12, s13
	v_add_co_u32_e64 v24, s[6:7], s12, v24
	v_addc_co_u32_e64 v25, s[6:7], v12, v25, s[6:7]
	global_store_dword v[24:25], v23, off
	s_or_b64 exec, exec, s[8:9]
	s_and_saveexec_b64 s[8:9], s[0:1]
	s_cbranch_execz .LBB124_49
.LBB124_78:
	v_add_u32_e32 v22, v10, v4
	v_mov_b32_e32 v23, 0
	v_lshlrev_b64 v[22:23], 2, v[22:23]
	s_waitcnt lgkmcnt(0)
	v_mov_b32_e32 v12, s13
	v_add_co_u32_e64 v22, s[6:7], s12, v22
	v_addc_co_u32_e64 v23, s[6:7], v12, v23, s[6:7]
	global_store_dword v[22:23], v21, off
	s_or_b64 exec, exec, s[8:9]
	s_and_saveexec_b64 s[8:9], s[2:3]
	s_cbranch_execz .LBB124_50
.LBB124_79:
	v_add_u32_e32 v20, v10, v6
	v_mov_b32_e32 v21, 0
	v_lshlrev_b64 v[20:21], 2, v[20:21]
	s_waitcnt lgkmcnt(0)
	v_mov_b32_e32 v12, s13
	v_add_co_u32_e64 v20, s[6:7], s12, v20
	v_addc_co_u32_e64 v21, s[6:7], v12, v21, s[6:7]
	global_store_dword v[20:21], v19, off
	s_or_b64 exec, exec, s[8:9]
	s_and_saveexec_b64 s[8:9], s[4:5]
	s_cbranch_execnz .LBB124_51
	s_branch .LBB124_52
.LBB124_80:
	v_add_u32_e32 v16, v10, v0
	v_mov_b32_e32 v17, 0
	v_lshlrev_b64 v[16:17], 2, v[16:17]
	s_waitcnt lgkmcnt(0)
	v_mov_b32_e32 v12, s13
	v_add_co_u32_e64 v16, s[6:7], s12, v16
	v_addc_co_u32_e64 v17, s[6:7], v12, v17, s[6:7]
	global_store_dword v[16:17], v15, off
	s_or_b64 exec, exec, s[8:9]
	s_and_saveexec_b64 s[8:9], s[0:1]
	s_cbranch_execz .LBB124_55
.LBB124_81:
	v_add_u32_e32 v14, v10, v4
	v_mov_b32_e32 v15, 0
	v_lshlrev_b64 v[14:15], 2, v[14:15]
	s_waitcnt lgkmcnt(0)
	v_mov_b32_e32 v12, s13
	v_add_co_u32_e64 v14, s[6:7], s12, v14
	v_addc_co_u32_e64 v15, s[6:7], v12, v15, s[6:7]
	global_store_dword v[14:15], v13, off
	s_or_b64 exec, exec, s[8:9]
	s_and_saveexec_b64 s[8:9], s[2:3]
	s_cbranch_execz .LBB124_56
.LBB124_82:
	v_add_u32_e32 v12, v10, v6
	v_mov_b32_e32 v13, 0
	v_lshlrev_b64 v[12:13], 2, v[12:13]
	s_waitcnt lgkmcnt(0)
	v_mov_b32_e32 v14, s13
	v_add_co_u32_e64 v12, s[6:7], s12, v12
	v_addc_co_u32_e64 v13, s[6:7], v14, v13, s[6:7]
	global_store_dword v[12:13], v11, off
	s_or_b64 exec, exec, s[8:9]
	s_and_saveexec_b64 s[8:9], s[4:5]
	s_cbranch_execnz .LBB124_57
	s_branch .LBB124_58
.LBB124_83:
	v_add_u32_e32 v10, v2, v0
	v_mov_b32_e32 v11, 0
	v_lshlrev_b64 v[10:11], 2, v[10:11]
	s_waitcnt lgkmcnt(0)
	v_mov_b32_e32 v0, s13
	v_add_co_u32_e32 v10, vcc, s12, v10
	v_addc_co_u32_e32 v11, vcc, v0, v11, vcc
	global_store_dword v[10:11], v7, off
	s_or_b64 exec, exec, s[6:7]
	s_and_saveexec_b64 s[6:7], s[0:1]
	s_cbranch_execz .LBB124_61
.LBB124_84:
	v_add_u32_e32 v10, v2, v4
	v_mov_b32_e32 v11, 0
	v_lshlrev_b64 v[10:11], 2, v[10:11]
	s_waitcnt lgkmcnt(0)
	v_mov_b32_e32 v0, s13
	v_add_co_u32_e32 v10, vcc, s12, v10
	v_addc_co_u32_e32 v11, vcc, v0, v11, vcc
	global_store_dword v[10:11], v5, off
	s_or_b64 exec, exec, s[6:7]
	s_and_saveexec_b64 s[0:1], s[2:3]
	s_cbranch_execz .LBB124_62
.LBB124_85:
	v_add_u32_e32 v4, v2, v6
	v_mov_b32_e32 v5, 0
	v_lshlrev_b64 v[4:5], 2, v[4:5]
	s_waitcnt lgkmcnt(0)
	v_mov_b32_e32 v0, s13
	v_add_co_u32_e32 v4, vcc, s12, v4
	v_addc_co_u32_e32 v5, vcc, v0, v5, vcc
	global_store_dword v[4:5], v3, off
	s_or_b64 exec, exec, s[0:1]
	s_and_b64 exec, exec, s[4:5]
	s_cbranch_execnz .LBB124_63
	s_branch .LBB124_64
	.section	.rodata,"a",@progbits
	.p2align	6, 0x0
	.amdhsa_kernel _ZL12mul_mat_q5_1IfLb1EEvPKvS1_PT_iiiii
		.amdhsa_group_segment_fixed_size 46720
		.amdhsa_private_segment_fixed_size 0
		.amdhsa_kernarg_size 44
		.amdhsa_user_sgpr_count 6
		.amdhsa_user_sgpr_private_segment_buffer 1
		.amdhsa_user_sgpr_dispatch_ptr 0
		.amdhsa_user_sgpr_queue_ptr 0
		.amdhsa_user_sgpr_kernarg_segment_ptr 1
		.amdhsa_user_sgpr_dispatch_id 0
		.amdhsa_user_sgpr_flat_scratch_init 0
		.amdhsa_user_sgpr_kernarg_preload_length 0
		.amdhsa_user_sgpr_kernarg_preload_offset 0
		.amdhsa_user_sgpr_private_segment_size 0
		.amdhsa_uses_dynamic_stack 0
		.amdhsa_system_sgpr_private_segment_wavefront_offset 0
		.amdhsa_system_sgpr_workgroup_id_x 1
		.amdhsa_system_sgpr_workgroup_id_y 1
		.amdhsa_system_sgpr_workgroup_id_z 0
		.amdhsa_system_sgpr_workgroup_info 0
		.amdhsa_system_vgpr_workitem_id 1
		.amdhsa_next_free_vgpr 168
		.amdhsa_next_free_sgpr 18
		.amdhsa_accum_offset 168
		.amdhsa_reserve_vcc 1
		.amdhsa_reserve_flat_scratch 0
		.amdhsa_float_round_mode_32 0
		.amdhsa_float_round_mode_16_64 0
		.amdhsa_float_denorm_mode_32 3
		.amdhsa_float_denorm_mode_16_64 3
		.amdhsa_dx10_clamp 1
		.amdhsa_ieee_mode 1
		.amdhsa_fp16_overflow 0
		.amdhsa_tg_split 0
		.amdhsa_exception_fp_ieee_invalid_op 0
		.amdhsa_exception_fp_denorm_src 0
		.amdhsa_exception_fp_ieee_div_zero 0
		.amdhsa_exception_fp_ieee_overflow 0
		.amdhsa_exception_fp_ieee_underflow 0
		.amdhsa_exception_fp_ieee_inexact 0
		.amdhsa_exception_int_div_zero 0
	.end_amdhsa_kernel
	.section	.text._ZL12mul_mat_q5_1IfLb1EEvPKvS1_PT_iiiii,"axG",@progbits,_ZL12mul_mat_q5_1IfLb1EEvPKvS1_PT_iiiii,comdat
.Lfunc_end124:
	.size	_ZL12mul_mat_q5_1IfLb1EEvPKvS1_PT_iiiii, .Lfunc_end124-_ZL12mul_mat_q5_1IfLb1EEvPKvS1_PT_iiiii
                                        ; -- End function
	.section	.AMDGPU.csdata,"",@progbits
; Kernel info:
; codeLenInByte = 13304
; NumSgprs: 22
; NumVgprs: 168
; NumAgprs: 0
; TotalNumVgprs: 168
; ScratchSize: 0
; MemoryBound: 0
; FloatMode: 240
; IeeeMode: 1
; LDSByteSize: 46720 bytes/workgroup (compile time only)
; SGPRBlocks: 2
; VGPRBlocks: 20
; NumSGPRsForWavesPerEU: 22
; NumVGPRsForWavesPerEU: 168
; AccumOffset: 168
; Occupancy: 1
; WaveLimiterHint : 0
; COMPUTE_PGM_RSRC2:SCRATCH_EN: 0
; COMPUTE_PGM_RSRC2:USER_SGPR: 6
; COMPUTE_PGM_RSRC2:TRAP_HANDLER: 0
; COMPUTE_PGM_RSRC2:TGID_X_EN: 1
; COMPUTE_PGM_RSRC2:TGID_Y_EN: 1
; COMPUTE_PGM_RSRC2:TGID_Z_EN: 0
; COMPUTE_PGM_RSRC2:TIDIG_COMP_CNT: 1
; COMPUTE_PGM_RSRC3_GFX90A:ACCUM_OFFSET: 41
; COMPUTE_PGM_RSRC3_GFX90A:TG_SPLIT: 0
	.section	.text._ZL12mul_mat_q8_0IfLb0EEvPKvS1_PT_iiiii,"axG",@progbits,_ZL12mul_mat_q8_0IfLb0EEvPKvS1_PT_iiiii,comdat
	.globl	_ZL12mul_mat_q8_0IfLb0EEvPKvS1_PT_iiiii ; -- Begin function _ZL12mul_mat_q8_0IfLb0EEvPKvS1_PT_iiiii
	.p2align	8
	.type	_ZL12mul_mat_q8_0IfLb0EEvPKvS1_PT_iiiii,@function
_ZL12mul_mat_q8_0IfLb0EEvPKvS1_PT_iiiii: ; @_ZL12mul_mat_q8_0IfLb0EEvPKvS1_PT_iiiii
; %bb.0:
	s_load_dword s14, s[4:5], 0x18
	s_load_dwordx4 s[8:11], s[4:5], 0x20
	s_waitcnt lgkmcnt(0)
	s_lshl_b32 s11, s7, 6
	v_bfe_u32 v35, v0, 10, 10
	s_cmp_gt_i32 s14, 31
	s_cbranch_scc1 .LBB125_2
; %bb.1:
	v_bfe_u32 v34, v0, 10, 10
	v_and_b32_e32 v1, 0x3ff, v0
	v_add_u32_e32 v37, s11, v34
	s_mov_b64 s[0:1], 0
	s_mov_b32 s2, 0
	s_branch .LBB125_3
.LBB125_2:
	s_mov_b64 s[0:1], -1
                                        ; implicit-def: $sgpr2
                                        ; implicit-def: $vgpr34
                                        ; implicit-def: $vgpr1
                                        ; implicit-def: $vgpr37
.LBB125_3:
	s_load_dwordx2 s[12:13], s[4:5], 0x10
	s_lshl_b32 s6, s6, 7
	s_andn2_b64 vcc, exec, s[0:1]
	v_mov_b32_e32 v3, s2
	v_mov_b32_e32 v2, s2
	;; [unrolled: 1-line block ×32, first 2 shown]
	s_cbranch_vccnz .LBB125_9
; %bb.4:
	s_load_dwordx4 s[0:3], s[4:5], 0x0
	s_ashr_i32 s4, s14, 31
	s_lshr_b32 s4, s4, 27
	s_ashr_i32 s5, s9, 31
	s_add_i32 s14, s14, s4
	s_lshr_b32 s5, s5, 27
	s_ashr_i32 s4, s14, 5
	s_add_i32 s5, s9, s5
	s_ashr_i32 s9, s5, 5
	s_mul_i32 s5, s4, s6
	s_mul_hi_i32 s7, s5, 34
	s_mul_i32 s5, s5, 34
	s_waitcnt lgkmcnt(0)
	s_add_u32 s5, s0, s5
	v_and_b32_e32 v1, 0x3ff, v0
	s_addc_u32 s7, s1, s7
	v_lshlrev_b32_e32 v2, 2, v1
	s_movk_i32 s1, 0x84
	v_mul_lo_u32 v36, s4, v35
	v_mad_u32_u24 v39, v35, s1, v2
	s_lshl_b32 s1, s4, 3
	v_add_u32_e32 v38, s1, v36
	v_add_u32_e32 v40, s1, v38
	;; [unrolled: 1-line block ×11, first 2 shown]
	v_and_b32_e32 v34, 28, v2
	v_add_u32_e32 v60, s1, v58
	v_lshlrev_b32_e32 v2, 3, v35
	v_lshrrev_b32_e32 v3, 2, v1
	v_add_u32_e32 v62, s1, v60
	v_add_u32_e32 v4, v3, v2
	v_add_u16_e32 v2, v3, v2
	v_add_u32_e32 v64, s1, v62
	v_and_b32_e32 v68, 3, v1
	v_lshrrev_b16_e32 v2, 1, v2
	v_add_u32_e32 v66, s1, v64
	v_and_b32_e32 v2, 0x7fc, v2
	v_lshlrev_b32_e32 v5, 2, v68
	s_movk_i32 s1, 0x6200
	v_add3_u32 v6, v2, v5, s1
	v_add_u32_e32 v2, 64, v4
	v_mul_lo_u32 v70, s4, v4
	v_lshlrev_b32_e32 v7, 4, v4
	v_lshrrev_b32_e32 v3, 1, v2
	v_mov_b32_e32 v11, s3
	v_add_co_u32_e32 v74, vcc, s2, v34
	v_and_b32_e32 v4, 63, v4
	v_and_b32_e32 v3, 0xffc, v3
	v_add_u32_e32 v37, s11, v35
	s_add_i32 s14, s8, -1
	v_addc_co_u32_e32 v75, vcc, 0, v11, vcc
	v_or_b32_e32 v11, s11, v4
	v_lshl_or_b32 v4, v4, 4, v5
	v_add3_u32 v8, v3, v5, s1
	v_lshlrev_b32_e32 v9, 4, v2
	v_cvt_f64_i32_e32 v[2:3], s14
	v_add_u32_e32 v71, 0x6a40, v4
	v_cvt_f64_u32_e32 v[4:5], v37
	v_min_f64 v[4:5], v[4:5], v[2:3]
	v_cvt_i32_f64_e32 v4, v[4:5]
	v_mul_lo_u32 v73, s9, v4
	v_add_u32_e32 v4, 8, v37
	v_cvt_f64_u32_e32 v[4:5], v4
	v_min_f64 v[4:5], v[4:5], v[2:3]
	v_cvt_i32_f64_e32 v4, v[4:5]
	v_mul_lo_u32 v79, s9, v4
	;; [unrolled: 5-line block ×7, first 2 shown]
	v_add_u32_e32 v4, 56, v37
	v_cvt_f64_u32_e32 v[4:5], v4
	v_min_f64 v[2:3], v[4:5], v[2:3]
	v_add_u32_e32 v4, 0x60, v1
	v_add_u32_e32 v69, 0x3de0, v39
	v_min_i32_e32 v11, s14, v11
	v_cvt_i32_f64_e32 v2, v[2:3]
	v_add_u32_e32 v3, 64, v1
	v_lshrrev_b32_e32 v4, 1, v4
	v_mad_u64_u32 v[76:77], s[14:15], v11, s9, v[68:69]
	v_mul_lo_u32 v128, s9, v2
	v_add_u32_e32 v2, 32, v1
	v_lshlrev_b32_e32 v5, 4, v1
	v_and_b32_e32 v4, 0xfc, v4
	s_movk_i32 s9, 0x6800
	v_lshrrev_b32_e32 v3, 1, v3
	v_add3_u32 v132, v5, v4, s9
	v_and_b32_e32 v3, 0xfc, v3
	s_movk_i32 s9, 0x6600
	v_lshrrev_b32_e32 v2, 1, v2
	v_lshrrev_b32_e32 v0, 3, v1
	v_add3_u32 v133, v5, v3, s9
	v_and_b32_e32 v2, 0xfc, v2
	s_movk_i32 s9, 0x6400
	s_mov_b32 s0, 0
	v_and_b32_e32 v10, 31, v1
	v_lshlrev_b32_e32 v11, 7, v35
	v_add3_u32 v134, v5, v2, s9
	v_lshlrev_b32_e32 v2, 2, v0
	v_lshl_or_b32 v10, v10, 2, v11
	v_add3_u32 v135, v5, v2, s1
	v_mov_b32_e32 v2, 0x6a40
	s_mov_b32 s1, s0
	v_add_u32_e32 v41, 0x420, v39
	v_add_u32_e32 v43, 0x840, v39
	v_add_u32_e32 v45, 0xc60, v39
	v_add_u32_e32 v47, 0x1080, v39
	v_add_u32_e32 v49, 0x14a0, v39
	v_add_u32_e32 v51, 0x18c0, v39
	v_add_u32_e32 v53, 0x1ce0, v39
	v_add_u32_e32 v55, 0x2100, v39
	v_add_u32_e32 v57, 0x2520, v39
	v_add_u32_e32 v59, 0x2940, v39
	v_add_u32_e32 v61, 0x2d60, v39
	v_add_u32_e32 v63, 0x3180, v39
	v_add_u32_e32 v65, 0x35a0, v39
	v_add_u32_e32 v67, 0x39c0, v39
	v_lshl_add_u32 v72, s4, 6, v70
	v_add_u32_e32 v77, 0x4200, v10
	v_add_u32_e32 v81, 0x4600, v10
	;; [unrolled: 1-line block ×8, first 2 shown]
	v_mul_u32_u24_e32 v130, 0x84, v1
	v_add_u32_e32 v131, 0x4200, v11
	v_lshl_add_u32 v136, v35, 4, v2
	v_pk_mov_b32 v[32:33], s[0:1], s[0:1] op_sel:[0,1]
	v_add_u32_e32 v137, v6, v7
	v_add_u32_e32 v138, v8, v9
	v_pk_mov_b32 v[24:25], s[0:1], s[0:1] op_sel:[0,1]
	v_pk_mov_b32 v[16:17], s[0:1], s[0:1] op_sel:[0,1]
	;; [unrolled: 1-line block ×15, first 2 shown]
.LBB125_5:                              ; =>This Loop Header: Depth=1
                                        ;     Child Loop BB125_6 Depth 2
	s_mul_i32 s9, s0, 34
	s_mul_hi_u32 s1, s0, 34
	s_add_u32 s14, s5, s9
	s_addc_u32 s15, s7, s1
	v_mad_u64_u32 v[84:85], s[16:17], v0, 34, s[14:15]
	v_add_co_u32_e32 v78, vcc, v84, v34
	v_addc_co_u32_e32 v80, vcc, 0, v85, vcc
	v_add_co_u32_e32 v84, vcc, 2, v78
	v_addc_co_u32_e32 v85, vcc, 0, v80, vcc
	v_mad_u64_u32 v[88:89], s[16:17], v36, 34, v[84:85]
	v_mad_u64_u32 v[90:91], s[16:17], v38, 34, v[84:85]
	;; [unrolled: 1-line block ×8, first 2 shown]
	global_load_dword v78, v[88:89], off
	global_load_dword v80, v[90:91], off
	;; [unrolled: 1-line block ×8, first 2 shown]
	v_mad_u64_u32 v[88:89], s[16:17], v52, 34, v[84:85]
	v_mad_u64_u32 v[90:91], s[16:17], v54, 34, v[84:85]
	;; [unrolled: 1-line block ×8, first 2 shown]
	global_load_dword v108, v[88:89], off
	global_load_dword v109, v[90:91], off
	;; [unrolled: 1-line block ×3, first 2 shown]
                                        ; kill: killed $vgpr92_vgpr93
                                        ; kill: killed $vgpr90_vgpr91
                                        ; kill: killed $vgpr88_vgpr89
	global_load_dword v111, v[94:95], off
	global_load_dword v112, v[96:97], off
	;; [unrolled: 1-line block ×5, first 2 shown]
	v_mad_u64_u32 v[84:85], s[14:15], v68, 34, s[14:15]
	v_mad_u64_u32 v[88:89], s[14:15], v70, 34, v[84:85]
	;; [unrolled: 1-line block ×3, first 2 shown]
	v_add_u32_e32 v100, s0, v0
	global_load_ushort v116, v[88:89], off
	global_load_ushort v117, v[84:85], off
	v_add_u32_e32 v84, v100, v73
	v_add_u32_e32 v88, v100, v79
	;; [unrolled: 1-line block ×5, first 2 shown]
	v_mad_i64_i32 v[84:85], s[14:15], v84, 36, v[74:75]
	v_mad_i64_i32 v[88:89], s[14:15], v88, 36, v[74:75]
	;; [unrolled: 1-line block ×5, first 2 shown]
	v_add_u32_e32 v96, v100, v124
	v_add_u32_e32 v98, v100, v126
	;; [unrolled: 1-line block ×4, first 2 shown]
	v_mad_i64_i32 v[96:97], s[14:15], v96, 36, v[74:75]
	v_mad_i64_i32 v[98:99], s[14:15], v98, 36, v[74:75]
	;; [unrolled: 1-line block ×3, first 2 shown]
	v_mad_u64_u32 v[102:103], s[14:15], v102, 36, s[2:3]
	global_load_dword v84, v[84:85], off offset:4
	s_nop 0
	global_load_dword v85, v[88:89], off offset:4
	s_nop 0
	global_load_dword v88, v[90:91], off offset:4
	global_load_dword v89, v[92:93], off offset:4
	s_nop 0
	global_load_dword v90, v[94:95], off offset:4
	global_load_dword v91, v[102:103], off
	global_load_dword v92, v[96:97], off offset:4
	global_load_dword v93, v[98:99], off offset:4
	s_nop 0
	global_load_dword v94, v[100:101], off offset:4
	s_mov_b32 s1, -8
	v_mov_b32_e32 v139, v136
	v_mov_b32_e32 v140, v135
	;; [unrolled: 1-line block ×4, first 2 shown]
	s_waitcnt vmcnt(26)
	ds_write_b32 v39, v78
	s_waitcnt vmcnt(25)
	ds_write_b32 v41, v80
	;; [unrolled: 2-line block ×14, first 2 shown]
	v_mov_b32_e32 v143, v132
	v_mov_b32_e32 v144, v131
	;; [unrolled: 1-line block ×3, first 2 shown]
	s_waitcnt vmcnt(10)
	v_cvt_f32_f16_e32 v78, v116
	s_waitcnt vmcnt(9)
	v_cvt_f32_f16_e32 v80, v117
	ds_write_b32 v67, v114
	ds_write_b32 v69, v115
	ds_write_b32 v137, v78
	ds_write_b32 v138, v80
	s_waitcnt vmcnt(8)
	ds_write_b32 v77, v84
	s_waitcnt vmcnt(7)
	ds_write_b32 v81, v85
	s_waitcnt vmcnt(6)
	ds_write_b32 v87, v88
	s_waitcnt vmcnt(5)
	ds_write_b32 v121, v89
	s_waitcnt vmcnt(4)
	ds_write_b32 v123, v90
	s_waitcnt vmcnt(3)
	v_cvt_f32_f16_e32 v78, v91
	s_waitcnt vmcnt(2)
	ds_write_b32 v125, v92
	s_waitcnt vmcnt(1)
	ds_write_b32 v127, v93
	;; [unrolled: 2-line block ×3, first 2 shown]
	ds_write_b32 v71, v78
	s_waitcnt lgkmcnt(0)
	s_barrier
.LBB125_6:                              ;   Parent Loop BB125_5 Depth=1
                                        ; =>  This Inner Loop Header: Depth=2
	v_add_u32_e32 v80, 0x1080, v145
	ds_read2_b32 v[118:119], v139 offset1:32
	ds_read_b128 v[146:149], v144
	ds_read_b128 v[150:153], v144 offset:16
	ds_read_b32 v82, v140
	ds_read2_b32 v[90:91], v145 offset1:1
	ds_read2_b32 v[98:99], v145 offset0:2 offset1:3
	ds_read2_b32 v[104:105], v145 offset0:4 offset1:5
	;; [unrolled: 1-line block ×3, first 2 shown]
	ds_read_b32 v78, v141
	ds_read2_b32 v[84:85], v80 offset1:1
	v_add_u32_e32 v80, 0x1088, v145
	ds_read2_b32 v[92:93], v80 offset1:1
	v_add_u32_e32 v80, 0x1090, v145
	;; [unrolled: 2-line block ×3, first 2 shown]
	v_add_u32_e32 v86, 0x2100, v145
	ds_read2_b32 v[110:111], v80 offset1:1
	ds_read_b32 v80, v142
	ds_read2_b32 v[88:89], v86 offset1:1
	v_add_u32_e32 v86, 0x2108, v145
	ds_read2_b32 v[96:97], v86 offset1:1
	v_add_u32_e32 v86, 0x2110, v145
	;; [unrolled: 2-line block ×3, first 2 shown]
	v_add_u32_e32 v94, 0x3180, v145
	ds_read2_b32 v[114:115], v86 offset1:1
	ds_read_b32 v86, v143
	ds_read2_b32 v[94:95], v94 offset1:1
	v_add_u32_e32 v102, 0x3188, v145
	ds_read2_b32 v[102:103], v102 offset1:1
	v_add_u32_e32 v112, 0x3190, v145
	ds_read2_b32 v[112:113], v112 offset1:1
	v_mov_b32_e32 v156, 0
	v_mov_b32_e32 v158, 0
	;; [unrolled: 1-line block ×4, first 2 shown]
	s_waitcnt lgkmcnt(14)
	v_dot4c_i32_i8_e32 v156, v90, v146
	s_waitcnt lgkmcnt(12)
	v_dot4c_i32_i8_e32 v158, v84, v146
	;; [unrolled: 2-line block ×4, first 2 shown]
	v_add_u32_e32 v116, 0x3198, v145
	ds_read2_b32 v[116:117], v116 offset1:1
	v_dot4c_i32_i8_e32 v156, v91, v147
	v_dot4c_i32_i8_e32 v158, v85, v147
	v_dot4c_i32_i8_e32 v159, v89, v147
	v_dot4c_i32_i8_e32 v160, v95, v147
	v_dot4c_i32_i8_e32 v156, v98, v148
	v_dot4c_i32_i8_e32 v158, v92, v148
	v_dot4c_i32_i8_e32 v159, v96, v148
	s_waitcnt lgkmcnt(2)
	v_dot4c_i32_i8_e32 v160, v102, v148
	v_dot4c_i32_i8_e32 v156, v99, v149
	v_dot4c_i32_i8_e32 v158, v93, v149
	v_dot4c_i32_i8_e32 v159, v97, v149
	v_dot4c_i32_i8_e32 v160, v103, v149
	v_dot4c_i32_i8_e32 v156, v104, v150
	v_dot4c_i32_i8_e32 v158, v100, v150
	v_dot4c_i32_i8_e32 v159, v106, v150
	s_waitcnt lgkmcnt(1)
	v_dot4c_i32_i8_e32 v160, v112, v150
	;; [unrolled: 9-line block ×3, first 2 shown]
	v_dot4c_i32_i8_e32 v156, v109, v153
	v_dot4c_i32_i8_e32 v158, v111, v153
	;; [unrolled: 1-line block ×4, first 2 shown]
	ds_read_b128 v[146:149], v144 offset:1024
	ds_read_b128 v[150:153], v144 offset:1040
	v_mov_b32_e32 v157, 0
	v_cvt_f32_i32_e32 v156, v156
	v_pk_mul_f32 v[154:155], v[82:83], v[118:119] op_sel_hi:[0,1]
	s_waitcnt lgkmcnt(1)
	v_dot4c_i32_i8_e32 v157, v90, v146
	v_dot4c_i32_i8_e32 v157, v91, v147
	;; [unrolled: 1-line block ×4, first 2 shown]
	s_waitcnt lgkmcnt(0)
	v_dot4c_i32_i8_e32 v157, v104, v150
	v_dot4c_i32_i8_e32 v157, v105, v151
	;; [unrolled: 1-line block ×4, first 2 shown]
	s_add_i32 s1, s1, 8
	v_add_u32_e32 v145, 32, v145
	v_add_u32_e32 v143, 4, v143
	v_cvt_f32_i32_e32 v157, v157
	v_add_u32_e32 v142, 4, v142
	v_add_u32_e32 v141, 4, v141
	;; [unrolled: 1-line block ×3, first 2 shown]
	v_pk_fma_f32 v[32:33], v[154:155], v[156:157], v[32:33]
	v_mov_b32_e32 v156, 0
	v_dot4c_i32_i8_e32 v156, v84, v146
	v_dot4c_i32_i8_e32 v156, v85, v147
	;; [unrolled: 1-line block ×8, first 2 shown]
	v_pk_mul_f32 v[154:155], v[78:79], v[118:119] op_sel_hi:[0,1]
	s_cmp_lt_u32 s1, 24
	s_nop 0
	v_cvt_f32_i32_e32 v157, v156
	v_cvt_f32_i32_e32 v156, v158
	v_mov_b32_e32 v158, 0
	v_pk_fma_f32 v[30:31], v[154:155], v[156:157], v[30:31]
	v_mov_b32_e32 v156, 0
	v_dot4c_i32_i8_e32 v156, v88, v146
	v_dot4c_i32_i8_e32 v156, v89, v147
	;; [unrolled: 1-line block ×8, first 2 shown]
	v_pk_mul_f32 v[154:155], v[80:81], v[118:119] op_sel_hi:[0,1]
	v_pk_mul_f32 v[118:119], v[86:87], v[118:119] op_sel_hi:[0,1]
	s_nop 0
	v_cvt_f32_i32_e32 v157, v156
	v_cvt_f32_i32_e32 v156, v159
	v_mov_b32_e32 v159, 0
	v_pk_fma_f32 v[28:29], v[154:155], v[156:157], v[28:29]
	v_mov_b32_e32 v154, 0
	v_dot4c_i32_i8_e32 v154, v94, v146
	v_dot4c_i32_i8_e32 v154, v95, v147
	;; [unrolled: 1-line block ×8, first 2 shown]
	v_cvt_f32_i32_e32 v146, v160
	v_mov_b32_e32 v156, 0
	v_mov_b32_e32 v160, 0
	v_cvt_f32_i32_e32 v147, v154
	v_mov_b32_e32 v157, 0
	v_pk_fma_f32 v[26:27], v[118:119], v[146:147], v[26:27]
	ds_read2_b32 v[118:119], v139 offset0:64 offset1:96
	ds_read_b128 v[146:149], v144 offset:2048
	ds_read_b128 v[150:153], v144 offset:2064
	s_waitcnt lgkmcnt(2)
	v_pk_mul_f32 v[154:155], v[82:83], v[118:119] op_sel_hi:[0,1]
	s_waitcnt lgkmcnt(1)
	v_dot4c_i32_i8_e32 v156, v90, v146
	v_dot4c_i32_i8_e32 v158, v84, v146
	;; [unrolled: 1-line block ×16, first 2 shown]
	s_waitcnt lgkmcnt(0)
	v_dot4c_i32_i8_e32 v156, v104, v150
	v_dot4c_i32_i8_e32 v158, v100, v150
	;; [unrolled: 1-line block ×16, first 2 shown]
	ds_read_b128 v[146:149], v144 offset:3072
	ds_read_b128 v[150:153], v144 offset:3088
	v_cvt_f32_i32_e32 v156, v156
	s_waitcnt lgkmcnt(1)
	v_dot4c_i32_i8_e32 v157, v90, v146
	v_dot4c_i32_i8_e32 v157, v91, v147
	v_dot4c_i32_i8_e32 v157, v98, v148
	v_dot4c_i32_i8_e32 v157, v99, v149
	s_waitcnt lgkmcnt(0)
	v_dot4c_i32_i8_e32 v157, v104, v150
	v_dot4c_i32_i8_e32 v157, v105, v151
	;; [unrolled: 1-line block ×4, first 2 shown]
	s_nop 2
	v_cvt_f32_i32_e32 v157, v157
	v_pk_fma_f32 v[24:25], v[154:155], v[156:157], v[24:25]
	v_mov_b32_e32 v156, 0
	v_dot4c_i32_i8_e32 v156, v84, v146
	v_dot4c_i32_i8_e32 v156, v85, v147
	;; [unrolled: 1-line block ×8, first 2 shown]
	v_pk_mul_f32 v[154:155], v[78:79], v[118:119] op_sel_hi:[0,1]
	s_nop 1
	v_cvt_f32_i32_e32 v157, v156
	v_cvt_f32_i32_e32 v156, v158
	v_mov_b32_e32 v158, 0
	v_pk_fma_f32 v[22:23], v[154:155], v[156:157], v[22:23]
	v_mov_b32_e32 v156, 0
	v_dot4c_i32_i8_e32 v156, v88, v146
	v_dot4c_i32_i8_e32 v156, v89, v147
	;; [unrolled: 1-line block ×8, first 2 shown]
	v_pk_mul_f32 v[154:155], v[80:81], v[118:119] op_sel_hi:[0,1]
	v_pk_mul_f32 v[118:119], v[86:87], v[118:119] op_sel_hi:[0,1]
	s_nop 0
	v_cvt_f32_i32_e32 v157, v156
	v_cvt_f32_i32_e32 v156, v159
	v_mov_b32_e32 v159, 0
	v_pk_fma_f32 v[20:21], v[154:155], v[156:157], v[20:21]
	v_mov_b32_e32 v154, 0
	v_dot4c_i32_i8_e32 v154, v94, v146
	v_dot4c_i32_i8_e32 v154, v95, v147
	;; [unrolled: 1-line block ×8, first 2 shown]
	v_cvt_f32_i32_e32 v146, v160
	v_mov_b32_e32 v156, 0
	v_mov_b32_e32 v160, 0
	v_cvt_f32_i32_e32 v147, v154
	v_mov_b32_e32 v157, 0
	v_pk_fma_f32 v[18:19], v[118:119], v[146:147], v[18:19]
	ds_read2_b32 v[118:119], v139 offset0:128 offset1:160
	ds_read_b128 v[146:149], v144 offset:4096
	ds_read_b128 v[150:153], v144 offset:4112
	s_waitcnt lgkmcnt(2)
	v_pk_mul_f32 v[154:155], v[82:83], v[118:119] op_sel_hi:[0,1]
	s_waitcnt lgkmcnt(1)
	v_dot4c_i32_i8_e32 v156, v90, v146
	v_dot4c_i32_i8_e32 v158, v84, v146
	;; [unrolled: 1-line block ×16, first 2 shown]
	s_waitcnt lgkmcnt(0)
	v_dot4c_i32_i8_e32 v156, v104, v150
	v_dot4c_i32_i8_e32 v158, v100, v150
	;; [unrolled: 1-line block ×16, first 2 shown]
	ds_read_b128 v[146:149], v144 offset:5120
	ds_read_b128 v[150:153], v144 offset:5136
	v_cvt_f32_i32_e32 v156, v156
	s_waitcnt lgkmcnt(1)
	v_dot4c_i32_i8_e32 v157, v90, v146
	v_dot4c_i32_i8_e32 v157, v91, v147
	;; [unrolled: 1-line block ×4, first 2 shown]
	s_waitcnt lgkmcnt(0)
	v_dot4c_i32_i8_e32 v157, v104, v150
	v_dot4c_i32_i8_e32 v157, v105, v151
	;; [unrolled: 1-line block ×4, first 2 shown]
	s_nop 2
	v_cvt_f32_i32_e32 v157, v157
	v_pk_fma_f32 v[16:17], v[154:155], v[156:157], v[16:17]
	v_mov_b32_e32 v156, 0
	v_dot4c_i32_i8_e32 v156, v84, v146
	v_dot4c_i32_i8_e32 v156, v85, v147
	;; [unrolled: 1-line block ×8, first 2 shown]
	v_pk_mul_f32 v[154:155], v[78:79], v[118:119] op_sel_hi:[0,1]
	s_nop 1
	v_cvt_f32_i32_e32 v157, v156
	v_cvt_f32_i32_e32 v156, v158
	v_mov_b32_e32 v158, 0
	v_pk_fma_f32 v[14:15], v[154:155], v[156:157], v[14:15]
	v_mov_b32_e32 v156, 0
	v_dot4c_i32_i8_e32 v156, v88, v146
	v_dot4c_i32_i8_e32 v156, v89, v147
	;; [unrolled: 1-line block ×8, first 2 shown]
	v_pk_mul_f32 v[154:155], v[80:81], v[118:119] op_sel_hi:[0,1]
	v_pk_mul_f32 v[118:119], v[86:87], v[118:119] op_sel_hi:[0,1]
	s_nop 0
	v_cvt_f32_i32_e32 v157, v156
	v_cvt_f32_i32_e32 v156, v159
	v_pk_fma_f32 v[12:13], v[154:155], v[156:157], v[12:13]
	v_mov_b32_e32 v154, 0
	v_dot4c_i32_i8_e32 v154, v94, v146
	v_dot4c_i32_i8_e32 v154, v95, v147
	v_dot4c_i32_i8_e32 v154, v102, v148
	v_dot4c_i32_i8_e32 v154, v103, v149
	v_dot4c_i32_i8_e32 v154, v112, v150
	v_dot4c_i32_i8_e32 v154, v113, v151
	v_dot4c_i32_i8_e32 v154, v116, v152
	v_dot4c_i32_i8_e32 v154, v117, v153
	v_cvt_f32_i32_e32 v146, v160
	v_mov_b32_e32 v155, 0
	v_mov_b32_e32 v156, 0
	v_cvt_f32_i32_e32 v147, v154
	v_mov_b32_e32 v154, 0
	v_mov_b32_e32 v157, 0
	v_pk_fma_f32 v[10:11], v[118:119], v[146:147], v[10:11]
	ds_read2_b32 v[118:119], v139 offset0:192 offset1:224
	ds_read_b128 v[146:149], v144 offset:6144
	ds_read_b128 v[150:153], v144 offset:6160
	v_add_u32_e32 v139, 4, v139
	s_waitcnt lgkmcnt(1)
	v_dot4c_i32_i8_e32 v154, v90, v146
	v_dot4c_i32_i8_e32 v155, v84, v146
	;; [unrolled: 1-line block ×16, first 2 shown]
	s_waitcnt lgkmcnt(0)
	v_dot4c_i32_i8_e32 v154, v104, v150
	v_dot4c_i32_i8_e32 v155, v100, v150
	;; [unrolled: 1-line block ×16, first 2 shown]
	ds_read_b128 v[146:149], v144 offset:7168
	ds_read_b128 v[150:153], v144 offset:7184
	v_add_u32_e32 v144, 32, v144
	s_waitcnt lgkmcnt(1)
	v_dot4c_i32_i8_e32 v158, v90, v146
	v_dot4c_i32_i8_e32 v158, v91, v147
	v_pk_mul_f32 v[90:91], v[82:83], v[118:119] op_sel_hi:[0,1]
	v_mov_b32_e32 v82, 0
	v_dot4c_i32_i8_e32 v82, v84, v146
	v_dot4c_i32_i8_e32 v82, v85, v147
	v_pk_mul_f32 v[84:85], v[78:79], v[118:119] op_sel_hi:[0,1]
	v_mov_b32_e32 v78, 0
	v_dot4c_i32_i8_e32 v78, v88, v146
	v_dot4c_i32_i8_e32 v78, v89, v147
	;; [unrolled: 1-line block ×6, first 2 shown]
	s_waitcnt lgkmcnt(0)
	v_dot4c_i32_i8_e32 v158, v104, v150
	v_dot4c_i32_i8_e32 v78, v106, v150
	;; [unrolled: 1-line block ×10, first 2 shown]
	v_cvt_f32_i32_e32 v98, v154
	v_cvt_f32_i32_e32 v99, v158
	v_dot4c_i32_i8_e32 v82, v100, v150
	v_cvt_f32_i32_e32 v89, v78
	v_mov_b32_e32 v78, 0
	v_dot4c_i32_i8_e32 v82, v101, v151
	v_dot4c_i32_i8_e32 v78, v94, v146
	;; [unrolled: 1-line block ×6, first 2 shown]
	v_pk_fma_f32 v[8:9], v[90:91], v[98:99], v[8:9]
	v_cvt_f32_i32_e32 v90, v155
	v_cvt_f32_i32_e32 v91, v82
	v_dot4c_i32_i8_e32 v78, v103, v149
	v_cvt_f32_i32_e32 v88, v156
	v_dot4c_i32_i8_e32 v78, v112, v150
	v_dot4c_i32_i8_e32 v78, v113, v151
	;; [unrolled: 1-line block ×3, first 2 shown]
	v_pk_fma_f32 v[6:7], v[84:85], v[90:91], v[6:7]
	v_pk_mul_f32 v[84:85], v[80:81], v[118:119] op_sel_hi:[0,1]
	v_dot4c_i32_i8_e32 v78, v117, v153
	v_pk_fma_f32 v[4:5], v[84:85], v[88:89], v[4:5]
	v_cvt_f32_i32_e32 v88, v157
	v_pk_mul_f32 v[84:85], v[86:87], v[118:119] op_sel_hi:[0,1]
	v_cvt_f32_i32_e32 v89, v78
	v_pk_fma_f32 v[2:3], v[84:85], v[88:89], v[2:3]
	s_cbranch_scc1 .LBB125_6
; %bb.7:                                ;   in Loop: Header=BB125_5 Depth=1
	s_add_i32 s0, s0, 4
	s_cmp_ge_i32 s0, s4
	s_barrier
	s_cbranch_scc0 .LBB125_5
; %bb.8:
	v_mov_b32_e32 v34, v35
.LBB125_9:
	v_cmp_gt_u32_e32 vcc, s8, v37
	s_and_saveexec_b64 s[0:1], vcc
	s_cbranch_execz .LBB125_60
; %bb.10:
	v_add_u32_e32 v0, s6, v1
	v_mul_lo_u32 v35, v37, s10
	v_cmp_gt_u32_e32 vcc, s10, v0
	s_and_saveexec_b64 s[2:3], vcc
	s_cbranch_execz .LBB125_12
; %bb.11:
	v_add_u32_e32 v36, v0, v35
	v_mov_b32_e32 v37, 0
	v_lshlrev_b64 v[36:37], 2, v[36:37]
	s_waitcnt lgkmcnt(0)
	v_mov_b32_e32 v1, s13
	v_add_co_u32_e64 v36, s[0:1], s12, v36
	v_addc_co_u32_e64 v37, s[0:1], v1, v37, s[0:1]
	global_store_dword v[36:37], v32, off
.LBB125_12:
	s_or_b64 exec, exec, s[2:3]
	v_add_u32_e32 v1, 32, v0
	v_cmp_gt_u32_e64 s[0:1], s10, v1
	s_and_saveexec_b64 s[4:5], s[0:1]
	s_cbranch_execz .LBB125_14
; %bb.13:
	v_add_u32_e32 v36, v1, v35
	v_mov_b32_e32 v37, 0
	v_lshlrev_b64 v[36:37], 2, v[36:37]
	s_waitcnt lgkmcnt(0)
	v_mov_b32_e32 v32, s13
	v_add_co_u32_e64 v36, s[2:3], s12, v36
	v_addc_co_u32_e64 v37, s[2:3], v32, v37, s[2:3]
	global_store_dword v[36:37], v30, off
.LBB125_14:
	s_or_b64 exec, exec, s[4:5]
	v_add_u32_e32 v30, 64, v0
	v_cmp_gt_u32_e64 s[2:3], s10, v30
	s_and_saveexec_b64 s[6:7], s[2:3]
	;; [unrolled: 15-line block ×3, first 2 shown]
	s_cbranch_execz .LBB125_18
; %bb.17:
	v_add_u32_e32 v36, v28, v35
	v_mov_b32_e32 v37, 0
	v_lshlrev_b64 v[36:37], 2, v[36:37]
	s_waitcnt lgkmcnt(0)
	v_mov_b32_e32 v32, s13
	v_add_co_u32_e64 v36, s[6:7], s12, v36
	v_addc_co_u32_e64 v37, s[6:7], v32, v37, s[6:7]
	global_store_dword v[36:37], v26, off
.LBB125_18:
	s_or_b64 exec, exec, s[14:15]
	v_add3_u32 v26, v34, s11, 8
	v_cmp_gt_u32_e64 s[6:7], s8, v26
	s_and_b64 exec, exec, s[6:7]
	s_cbranch_execz .LBB125_60
; %bb.19:
	v_mul_lo_u32 v26, v26, s10
	s_and_saveexec_b64 s[14:15], vcc
	s_cbranch_execnz .LBB125_61
; %bb.20:
	s_or_b64 exec, exec, s[14:15]
	s_and_saveexec_b64 s[14:15], s[0:1]
	s_cbranch_execnz .LBB125_62
.LBB125_21:
	s_or_b64 exec, exec, s[14:15]
	s_and_saveexec_b64 s[14:15], s[2:3]
	s_cbranch_execnz .LBB125_63
.LBB125_22:
	s_or_b64 exec, exec, s[14:15]
	s_and_saveexec_b64 s[14:15], s[4:5]
	s_cbranch_execz .LBB125_24
.LBB125_23:
	v_add_u32_e32 v32, v26, v28
	v_mov_b32_e32 v33, 0
	v_lshlrev_b64 v[32:33], 2, v[32:33]
	s_waitcnt lgkmcnt(0)
	v_mov_b32_e32 v26, s13
	v_add_co_u32_e64 v32, s[6:7], s12, v32
	v_addc_co_u32_e64 v33, s[6:7], v26, v33, s[6:7]
	global_store_dword v[32:33], v27, off
.LBB125_24:
	s_or_b64 exec, exec, s[14:15]
	v_add3_u32 v26, v34, s11, 16
	v_cmp_gt_u32_e64 s[6:7], s8, v26
	s_and_b64 exec, exec, s[6:7]
	s_cbranch_execz .LBB125_60
; %bb.25:
	v_mul_lo_u32 v26, v26, s10
	s_and_saveexec_b64 s[14:15], vcc
	s_cbranch_execnz .LBB125_64
; %bb.26:
	s_or_b64 exec, exec, s[14:15]
	s_and_saveexec_b64 s[14:15], s[0:1]
	s_cbranch_execnz .LBB125_65
.LBB125_27:
	s_or_b64 exec, exec, s[14:15]
	s_and_saveexec_b64 s[14:15], s[2:3]
	s_cbranch_execnz .LBB125_66
.LBB125_28:
	s_or_b64 exec, exec, s[14:15]
	s_and_saveexec_b64 s[14:15], s[4:5]
	s_cbranch_execz .LBB125_30
.LBB125_29:
	v_add_u32_e32 v26, v26, v28
	v_mov_b32_e32 v27, 0
	v_lshlrev_b64 v[26:27], 2, v[26:27]
	s_waitcnt lgkmcnt(0)
	v_mov_b32_e32 v20, s13
	v_add_co_u32_e64 v26, s[6:7], s12, v26
	v_addc_co_u32_e64 v27, s[6:7], v20, v27, s[6:7]
	global_store_dword v[26:27], v18, off
.LBB125_30:
	s_or_b64 exec, exec, s[14:15]
	v_add3_u32 v18, v34, s11, 24
	v_cmp_gt_u32_e64 s[6:7], s8, v18
	s_and_b64 exec, exec, s[6:7]
	s_cbranch_execz .LBB125_60
; %bb.31:
	v_mul_lo_u32 v18, v18, s10
	s_and_saveexec_b64 s[14:15], vcc
	s_cbranch_execnz .LBB125_67
; %bb.32:
	s_or_b64 exec, exec, s[14:15]
	s_and_saveexec_b64 s[14:15], s[0:1]
	s_cbranch_execnz .LBB125_68
.LBB125_33:
	s_or_b64 exec, exec, s[14:15]
	s_and_saveexec_b64 s[14:15], s[2:3]
	s_cbranch_execnz .LBB125_69
.LBB125_34:
	s_or_b64 exec, exec, s[14:15]
	s_and_saveexec_b64 s[14:15], s[4:5]
	s_cbranch_execz .LBB125_36
.LBB125_35:
	v_add_u32_e32 v20, v18, v28
	v_mov_b32_e32 v21, 0
	v_lshlrev_b64 v[20:21], 2, v[20:21]
	s_waitcnt lgkmcnt(0)
	v_mov_b32_e32 v18, s13
	v_add_co_u32_e64 v20, s[6:7], s12, v20
	v_addc_co_u32_e64 v21, s[6:7], v18, v21, s[6:7]
	global_store_dword v[20:21], v19, off
.LBB125_36:
	s_or_b64 exec, exec, s[14:15]
	v_add3_u32 v18, v34, s11, 32
	v_cmp_gt_u32_e64 s[6:7], s8, v18
	s_and_b64 exec, exec, s[6:7]
	s_cbranch_execz .LBB125_60
; %bb.37:
	v_mul_lo_u32 v18, v18, s10
	s_and_saveexec_b64 s[14:15], vcc
	s_cbranch_execnz .LBB125_70
; %bb.38:
	s_or_b64 exec, exec, s[14:15]
	s_and_saveexec_b64 s[14:15], s[0:1]
	s_cbranch_execnz .LBB125_71
.LBB125_39:
	s_or_b64 exec, exec, s[14:15]
	s_and_saveexec_b64 s[14:15], s[2:3]
	s_cbranch_execnz .LBB125_72
.LBB125_40:
	s_or_b64 exec, exec, s[14:15]
	s_and_saveexec_b64 s[14:15], s[4:5]
	s_cbranch_execz .LBB125_42
.LBB125_41:
	v_add_u32_e32 v18, v18, v28
	v_mov_b32_e32 v19, 0
	v_lshlrev_b64 v[18:19], 2, v[18:19]
	s_waitcnt lgkmcnt(0)
	v_mov_b32_e32 v12, s13
	v_add_co_u32_e64 v18, s[6:7], s12, v18
	v_addc_co_u32_e64 v19, s[6:7], v12, v19, s[6:7]
	global_store_dword v[18:19], v10, off
.LBB125_42:
	s_or_b64 exec, exec, s[14:15]
	v_add3_u32 v10, v34, s11, 40
	v_cmp_gt_u32_e64 s[6:7], s8, v10
	s_and_b64 exec, exec, s[6:7]
	s_cbranch_execz .LBB125_60
; %bb.43:
	v_mul_lo_u32 v10, v10, s10
	s_and_saveexec_b64 s[14:15], vcc
	s_cbranch_execnz .LBB125_73
; %bb.44:
	s_or_b64 exec, exec, s[14:15]
	s_and_saveexec_b64 s[14:15], s[0:1]
	s_cbranch_execnz .LBB125_74
.LBB125_45:
	s_or_b64 exec, exec, s[14:15]
	s_and_saveexec_b64 s[14:15], s[2:3]
	s_cbranch_execnz .LBB125_75
.LBB125_46:
	s_or_b64 exec, exec, s[14:15]
	s_and_saveexec_b64 s[14:15], s[4:5]
	s_cbranch_execz .LBB125_48
.LBB125_47:
	v_add_u32_e32 v12, v10, v28
	v_mov_b32_e32 v13, 0
	v_lshlrev_b64 v[12:13], 2, v[12:13]
	s_waitcnt lgkmcnt(0)
	v_mov_b32_e32 v10, s13
	v_add_co_u32_e64 v12, s[6:7], s12, v12
	v_addc_co_u32_e64 v13, s[6:7], v10, v13, s[6:7]
	global_store_dword v[12:13], v11, off
.LBB125_48:
	s_or_b64 exec, exec, s[14:15]
	v_add3_u32 v10, v34, s11, 48
	v_cmp_gt_u32_e64 s[6:7], s8, v10
	s_and_b64 exec, exec, s[6:7]
	s_cbranch_execz .LBB125_60
; %bb.49:
	v_mul_lo_u32 v10, v10, s10
	s_and_saveexec_b64 s[14:15], vcc
	s_cbranch_execnz .LBB125_76
; %bb.50:
	s_or_b64 exec, exec, s[14:15]
	s_and_saveexec_b64 s[14:15], s[0:1]
	s_cbranch_execnz .LBB125_77
.LBB125_51:
	s_or_b64 exec, exec, s[14:15]
	s_and_saveexec_b64 s[14:15], s[2:3]
	s_cbranch_execnz .LBB125_78
.LBB125_52:
	s_or_b64 exec, exec, s[14:15]
	s_and_saveexec_b64 s[14:15], s[4:5]
	s_cbranch_execz .LBB125_54
.LBB125_53:
	v_add_u32_e32 v10, v10, v28
	v_mov_b32_e32 v11, 0
	v_lshlrev_b64 v[10:11], 2, v[10:11]
	s_waitcnt lgkmcnt(0)
	v_mov_b32_e32 v4, s13
	v_add_co_u32_e64 v10, s[6:7], s12, v10
	v_addc_co_u32_e64 v11, s[6:7], v4, v11, s[6:7]
	global_store_dword v[10:11], v2, off
.LBB125_54:
	s_or_b64 exec, exec, s[14:15]
	v_add3_u32 v2, v34, s11, 56
	v_cmp_gt_u32_e64 s[6:7], s8, v2
	s_and_b64 exec, exec, s[6:7]
	s_cbranch_execz .LBB125_60
; %bb.55:
	v_mul_lo_u32 v2, v2, s10
	s_and_saveexec_b64 s[6:7], vcc
	s_cbranch_execnz .LBB125_79
; %bb.56:
	s_or_b64 exec, exec, s[6:7]
	s_and_saveexec_b64 s[6:7], s[0:1]
	s_cbranch_execnz .LBB125_80
.LBB125_57:
	s_or_b64 exec, exec, s[6:7]
	s_and_saveexec_b64 s[0:1], s[2:3]
	s_cbranch_execnz .LBB125_81
.LBB125_58:
	s_or_b64 exec, exec, s[0:1]
	s_and_b64 exec, exec, s[4:5]
	s_cbranch_execz .LBB125_60
.LBB125_59:
	v_add_u32_e32 v0, v2, v28
	v_mov_b32_e32 v1, 0
	v_lshlrev_b64 v[0:1], 2, v[0:1]
	s_waitcnt lgkmcnt(0)
	v_mov_b32_e32 v2, s13
	v_add_co_u32_e32 v0, vcc, s12, v0
	v_addc_co_u32_e32 v1, vcc, v2, v1, vcc
	global_store_dword v[0:1], v3, off
.LBB125_60:
	s_endpgm
.LBB125_61:
	v_add_u32_e32 v36, v26, v0
	v_mov_b32_e32 v37, 0
	v_lshlrev_b64 v[36:37], 2, v[36:37]
	s_waitcnt lgkmcnt(0)
	v_mov_b32_e32 v32, s13
	v_add_co_u32_e64 v36, s[6:7], s12, v36
	v_addc_co_u32_e64 v37, s[6:7], v32, v37, s[6:7]
	global_store_dword v[36:37], v33, off
	s_or_b64 exec, exec, s[14:15]
	s_and_saveexec_b64 s[14:15], s[0:1]
	s_cbranch_execz .LBB125_21
.LBB125_62:
	v_add_u32_e32 v32, v26, v1
	v_mov_b32_e32 v33, 0
	v_lshlrev_b64 v[32:33], 2, v[32:33]
	s_waitcnt lgkmcnt(0)
	v_mov_b32_e32 v35, s13
	v_add_co_u32_e64 v32, s[6:7], s12, v32
	v_addc_co_u32_e64 v33, s[6:7], v35, v33, s[6:7]
	global_store_dword v[32:33], v31, off
	s_or_b64 exec, exec, s[14:15]
	s_and_saveexec_b64 s[14:15], s[2:3]
	s_cbranch_execz .LBB125_22
.LBB125_63:
	v_add_u32_e32 v32, v26, v30
	v_mov_b32_e32 v33, 0
	v_lshlrev_b64 v[32:33], 2, v[32:33]
	s_waitcnt lgkmcnt(0)
	v_mov_b32_e32 v31, s13
	v_add_co_u32_e64 v32, s[6:7], s12, v32
	v_addc_co_u32_e64 v33, s[6:7], v31, v33, s[6:7]
	global_store_dword v[32:33], v29, off
	s_or_b64 exec, exec, s[14:15]
	s_and_saveexec_b64 s[14:15], s[4:5]
	s_cbranch_execnz .LBB125_23
	s_branch .LBB125_24
.LBB125_64:
	v_add_u32_e32 v32, v26, v0
	v_mov_b32_e32 v33, 0
	v_lshlrev_b64 v[32:33], 2, v[32:33]
	s_waitcnt lgkmcnt(0)
	v_mov_b32_e32 v27, s13
	v_add_co_u32_e64 v32, s[6:7], s12, v32
	v_addc_co_u32_e64 v33, s[6:7], v27, v33, s[6:7]
	global_store_dword v[32:33], v24, off
	s_or_b64 exec, exec, s[14:15]
	s_and_saveexec_b64 s[14:15], s[0:1]
	s_cbranch_execz .LBB125_27
.LBB125_65:
	v_add_u32_e32 v32, v26, v1
	v_mov_b32_e32 v33, 0
	v_lshlrev_b64 v[32:33], 2, v[32:33]
	s_waitcnt lgkmcnt(0)
	v_mov_b32_e32 v24, s13
	v_add_co_u32_e64 v32, s[6:7], s12, v32
	v_addc_co_u32_e64 v33, s[6:7], v24, v33, s[6:7]
	global_store_dword v[32:33], v22, off
	s_or_b64 exec, exec, s[14:15]
	s_and_saveexec_b64 s[14:15], s[2:3]
	s_cbranch_execz .LBB125_28
.LBB125_66:
	v_add_u32_e32 v32, v26, v30
	v_mov_b32_e32 v33, 0
	v_lshlrev_b64 v[32:33], 2, v[32:33]
	s_waitcnt lgkmcnt(0)
	v_mov_b32_e32 v22, s13
	v_add_co_u32_e64 v32, s[6:7], s12, v32
	v_addc_co_u32_e64 v33, s[6:7], v22, v33, s[6:7]
	global_store_dword v[32:33], v20, off
	s_or_b64 exec, exec, s[14:15]
	s_and_saveexec_b64 s[14:15], s[4:5]
	s_cbranch_execnz .LBB125_29
	s_branch .LBB125_30
.LBB125_67:
	v_add_u32_e32 v26, v18, v0
	v_mov_b32_e32 v27, 0
	v_lshlrev_b64 v[26:27], 2, v[26:27]
	s_waitcnt lgkmcnt(0)
	v_mov_b32_e32 v20, s13
	v_add_co_u32_e64 v26, s[6:7], s12, v26
	v_addc_co_u32_e64 v27, s[6:7], v20, v27, s[6:7]
	global_store_dword v[26:27], v25, off
	s_or_b64 exec, exec, s[14:15]
	s_and_saveexec_b64 s[14:15], s[0:1]
	s_cbranch_execz .LBB125_33
.LBB125_68:
	v_add_u32_e32 v24, v18, v1
	v_mov_b32_e32 v25, 0
	v_lshlrev_b64 v[24:25], 2, v[24:25]
	s_waitcnt lgkmcnt(0)
	v_mov_b32_e32 v20, s13
	v_add_co_u32_e64 v24, s[6:7], s12, v24
	v_addc_co_u32_e64 v25, s[6:7], v20, v25, s[6:7]
	global_store_dword v[24:25], v23, off
	s_or_b64 exec, exec, s[14:15]
	s_and_saveexec_b64 s[14:15], s[2:3]
	s_cbranch_execz .LBB125_34
.LBB125_69:
	v_add_u32_e32 v22, v18, v30
	v_mov_b32_e32 v23, 0
	v_lshlrev_b64 v[22:23], 2, v[22:23]
	s_waitcnt lgkmcnt(0)
	v_mov_b32_e32 v20, s13
	v_add_co_u32_e64 v22, s[6:7], s12, v22
	v_addc_co_u32_e64 v23, s[6:7], v20, v23, s[6:7]
	global_store_dword v[22:23], v21, off
	s_or_b64 exec, exec, s[14:15]
	s_and_saveexec_b64 s[14:15], s[4:5]
	s_cbranch_execnz .LBB125_35
	s_branch .LBB125_36
.LBB125_70:
	v_add_u32_e32 v20, v18, v0
	v_mov_b32_e32 v21, 0
	v_lshlrev_b64 v[20:21], 2, v[20:21]
	s_waitcnt lgkmcnt(0)
	v_mov_b32_e32 v19, s13
	v_add_co_u32_e64 v20, s[6:7], s12, v20
	v_addc_co_u32_e64 v21, s[6:7], v19, v21, s[6:7]
	global_store_dword v[20:21], v16, off
	s_or_b64 exec, exec, s[14:15]
	s_and_saveexec_b64 s[14:15], s[0:1]
	s_cbranch_execz .LBB125_39
.LBB125_71:
	v_add_u32_e32 v20, v18, v1
	v_mov_b32_e32 v21, 0
	v_lshlrev_b64 v[20:21], 2, v[20:21]
	s_waitcnt lgkmcnt(0)
	v_mov_b32_e32 v16, s13
	v_add_co_u32_e64 v20, s[6:7], s12, v20
	v_addc_co_u32_e64 v21, s[6:7], v16, v21, s[6:7]
	global_store_dword v[20:21], v14, off
	s_or_b64 exec, exec, s[14:15]
	s_and_saveexec_b64 s[14:15], s[2:3]
	s_cbranch_execz .LBB125_40
.LBB125_72:
	v_add_u32_e32 v20, v18, v30
	v_mov_b32_e32 v21, 0
	v_lshlrev_b64 v[20:21], 2, v[20:21]
	s_waitcnt lgkmcnt(0)
	v_mov_b32_e32 v14, s13
	v_add_co_u32_e64 v20, s[6:7], s12, v20
	v_addc_co_u32_e64 v21, s[6:7], v14, v21, s[6:7]
	global_store_dword v[20:21], v12, off
	s_or_b64 exec, exec, s[14:15]
	s_and_saveexec_b64 s[14:15], s[4:5]
	s_cbranch_execnz .LBB125_41
	s_branch .LBB125_42
.LBB125_73:
	v_add_u32_e32 v18, v10, v0
	v_mov_b32_e32 v19, 0
	v_lshlrev_b64 v[18:19], 2, v[18:19]
	s_waitcnt lgkmcnt(0)
	v_mov_b32_e32 v12, s13
	v_add_co_u32_e64 v18, s[6:7], s12, v18
	v_addc_co_u32_e64 v19, s[6:7], v12, v19, s[6:7]
	global_store_dword v[18:19], v17, off
	s_or_b64 exec, exec, s[14:15]
	s_and_saveexec_b64 s[14:15], s[0:1]
	s_cbranch_execz .LBB125_45
.LBB125_74:
	v_add_u32_e32 v16, v10, v1
	v_mov_b32_e32 v17, 0
	v_lshlrev_b64 v[16:17], 2, v[16:17]
	s_waitcnt lgkmcnt(0)
	v_mov_b32_e32 v12, s13
	v_add_co_u32_e64 v16, s[6:7], s12, v16
	v_addc_co_u32_e64 v17, s[6:7], v12, v17, s[6:7]
	global_store_dword v[16:17], v15, off
	s_or_b64 exec, exec, s[14:15]
	s_and_saveexec_b64 s[14:15], s[2:3]
	s_cbranch_execz .LBB125_46
.LBB125_75:
	v_add_u32_e32 v14, v10, v30
	v_mov_b32_e32 v15, 0
	v_lshlrev_b64 v[14:15], 2, v[14:15]
	s_waitcnt lgkmcnt(0)
	v_mov_b32_e32 v12, s13
	v_add_co_u32_e64 v14, s[6:7], s12, v14
	v_addc_co_u32_e64 v15, s[6:7], v12, v15, s[6:7]
	global_store_dword v[14:15], v13, off
	s_or_b64 exec, exec, s[14:15]
	s_and_saveexec_b64 s[14:15], s[4:5]
	s_cbranch_execnz .LBB125_47
	s_branch .LBB125_48
.LBB125_76:
	v_add_u32_e32 v12, v10, v0
	v_mov_b32_e32 v13, 0
	v_lshlrev_b64 v[12:13], 2, v[12:13]
	s_waitcnt lgkmcnt(0)
	v_mov_b32_e32 v11, s13
	v_add_co_u32_e64 v12, s[6:7], s12, v12
	v_addc_co_u32_e64 v13, s[6:7], v11, v13, s[6:7]
	global_store_dword v[12:13], v8, off
	s_or_b64 exec, exec, s[14:15]
	s_and_saveexec_b64 s[14:15], s[0:1]
	s_cbranch_execz .LBB125_51
.LBB125_77:
	v_add_u32_e32 v12, v10, v1
	v_mov_b32_e32 v13, 0
	v_lshlrev_b64 v[12:13], 2, v[12:13]
	s_waitcnt lgkmcnt(0)
	v_mov_b32_e32 v8, s13
	v_add_co_u32_e64 v12, s[6:7], s12, v12
	v_addc_co_u32_e64 v13, s[6:7], v8, v13, s[6:7]
	global_store_dword v[12:13], v6, off
	s_or_b64 exec, exec, s[14:15]
	s_and_saveexec_b64 s[14:15], s[2:3]
	s_cbranch_execz .LBB125_52
.LBB125_78:
	v_add_u32_e32 v12, v10, v30
	v_mov_b32_e32 v13, 0
	v_lshlrev_b64 v[12:13], 2, v[12:13]
	s_waitcnt lgkmcnt(0)
	v_mov_b32_e32 v6, s13
	v_add_co_u32_e64 v12, s[6:7], s12, v12
	v_addc_co_u32_e64 v13, s[6:7], v6, v13, s[6:7]
	global_store_dword v[12:13], v4, off
	s_or_b64 exec, exec, s[14:15]
	s_and_saveexec_b64 s[14:15], s[4:5]
	s_cbranch_execnz .LBB125_53
	s_branch .LBB125_54
.LBB125_79:
	v_add_u32_e32 v10, v2, v0
	v_mov_b32_e32 v11, 0
	v_lshlrev_b64 v[10:11], 2, v[10:11]
	s_waitcnt lgkmcnt(0)
	v_mov_b32_e32 v0, s13
	v_add_co_u32_e32 v10, vcc, s12, v10
	v_addc_co_u32_e32 v11, vcc, v0, v11, vcc
	global_store_dword v[10:11], v9, off
	s_or_b64 exec, exec, s[6:7]
	s_and_saveexec_b64 s[6:7], s[0:1]
	s_cbranch_execz .LBB125_57
.LBB125_80:
	v_add_u32_e32 v0, v2, v1
	v_mov_b32_e32 v1, 0
	v_lshlrev_b64 v[0:1], 2, v[0:1]
	s_waitcnt lgkmcnt(0)
	v_mov_b32_e32 v4, s13
	v_add_co_u32_e32 v0, vcc, s12, v0
	v_addc_co_u32_e32 v1, vcc, v4, v1, vcc
	global_store_dword v[0:1], v7, off
	s_or_b64 exec, exec, s[6:7]
	s_and_saveexec_b64 s[0:1], s[2:3]
	s_cbranch_execz .LBB125_58
.LBB125_81:
	v_add_u32_e32 v0, v2, v30
	v_mov_b32_e32 v1, 0
	v_lshlrev_b64 v[0:1], 2, v[0:1]
	s_waitcnt lgkmcnt(0)
	v_mov_b32_e32 v4, s13
	v_add_co_u32_e32 v0, vcc, s12, v0
	v_addc_co_u32_e32 v1, vcc, v4, v1, vcc
	global_store_dword v[0:1], v5, off
	s_or_b64 exec, exec, s[0:1]
	s_and_b64 exec, exec, s[4:5]
	s_cbranch_execnz .LBB125_59
	s_branch .LBB125_60
	.section	.rodata,"a",@progbits
	.p2align	6, 0x0
	.amdhsa_kernel _ZL12mul_mat_q8_0IfLb0EEvPKvS1_PT_iiiii
		.amdhsa_group_segment_fixed_size 28224
		.amdhsa_private_segment_fixed_size 0
		.amdhsa_kernarg_size 44
		.amdhsa_user_sgpr_count 6
		.amdhsa_user_sgpr_private_segment_buffer 1
		.amdhsa_user_sgpr_dispatch_ptr 0
		.amdhsa_user_sgpr_queue_ptr 0
		.amdhsa_user_sgpr_kernarg_segment_ptr 1
		.amdhsa_user_sgpr_dispatch_id 0
		.amdhsa_user_sgpr_flat_scratch_init 0
		.amdhsa_user_sgpr_kernarg_preload_length 0
		.amdhsa_user_sgpr_kernarg_preload_offset 0
		.amdhsa_user_sgpr_private_segment_size 0
		.amdhsa_uses_dynamic_stack 0
		.amdhsa_system_sgpr_private_segment_wavefront_offset 0
		.amdhsa_system_sgpr_workgroup_id_x 1
		.amdhsa_system_sgpr_workgroup_id_y 1
		.amdhsa_system_sgpr_workgroup_id_z 0
		.amdhsa_system_sgpr_workgroup_info 0
		.amdhsa_system_vgpr_workitem_id 1
		.amdhsa_next_free_vgpr 161
		.amdhsa_next_free_sgpr 18
		.amdhsa_accum_offset 164
		.amdhsa_reserve_vcc 1
		.amdhsa_reserve_flat_scratch 0
		.amdhsa_float_round_mode_32 0
		.amdhsa_float_round_mode_16_64 0
		.amdhsa_float_denorm_mode_32 3
		.amdhsa_float_denorm_mode_16_64 3
		.amdhsa_dx10_clamp 1
		.amdhsa_ieee_mode 1
		.amdhsa_fp16_overflow 0
		.amdhsa_tg_split 0
		.amdhsa_exception_fp_ieee_invalid_op 0
		.amdhsa_exception_fp_denorm_src 0
		.amdhsa_exception_fp_ieee_div_zero 0
		.amdhsa_exception_fp_ieee_overflow 0
		.amdhsa_exception_fp_ieee_underflow 0
		.amdhsa_exception_fp_ieee_inexact 0
		.amdhsa_exception_int_div_zero 0
	.end_amdhsa_kernel
	.section	.text._ZL12mul_mat_q8_0IfLb0EEvPKvS1_PT_iiiii,"axG",@progbits,_ZL12mul_mat_q8_0IfLb0EEvPKvS1_PT_iiiii,comdat
.Lfunc_end125:
	.size	_ZL12mul_mat_q8_0IfLb0EEvPKvS1_PT_iiiii, .Lfunc_end125-_ZL12mul_mat_q8_0IfLb0EEvPKvS1_PT_iiiii
                                        ; -- End function
	.section	.AMDGPU.csdata,"",@progbits
; Kernel info:
; codeLenInByte = 6748
; NumSgprs: 22
; NumVgprs: 161
; NumAgprs: 0
; TotalNumVgprs: 161
; ScratchSize: 0
; MemoryBound: 0
; FloatMode: 240
; IeeeMode: 1
; LDSByteSize: 28224 bytes/workgroup (compile time only)
; SGPRBlocks: 2
; VGPRBlocks: 20
; NumSGPRsForWavesPerEU: 22
; NumVGPRsForWavesPerEU: 161
; AccumOffset: 164
; Occupancy: 2
; WaveLimiterHint : 0
; COMPUTE_PGM_RSRC2:SCRATCH_EN: 0
; COMPUTE_PGM_RSRC2:USER_SGPR: 6
; COMPUTE_PGM_RSRC2:TRAP_HANDLER: 0
; COMPUTE_PGM_RSRC2:TGID_X_EN: 1
; COMPUTE_PGM_RSRC2:TGID_Y_EN: 1
; COMPUTE_PGM_RSRC2:TGID_Z_EN: 0
; COMPUTE_PGM_RSRC2:TIDIG_COMP_CNT: 1
; COMPUTE_PGM_RSRC3_GFX90A:ACCUM_OFFSET: 40
; COMPUTE_PGM_RSRC3_GFX90A:TG_SPLIT: 0
	.section	.text._ZL12mul_mat_q8_0IfLb1EEvPKvS1_PT_iiiii,"axG",@progbits,_ZL12mul_mat_q8_0IfLb1EEvPKvS1_PT_iiiii,comdat
	.globl	_ZL12mul_mat_q8_0IfLb1EEvPKvS1_PT_iiiii ; -- Begin function _ZL12mul_mat_q8_0IfLb1EEvPKvS1_PT_iiiii
	.p2align	8
	.type	_ZL12mul_mat_q8_0IfLb1EEvPKvS1_PT_iiiii,@function
_ZL12mul_mat_q8_0IfLb1EEvPKvS1_PT_iiiii: ; @_ZL12mul_mat_q8_0IfLb1EEvPKvS1_PT_iiiii
; %bb.0:
	s_load_dwordx4 s[8:11], s[4:5], 0x18
	s_load_dword s14, s[4:5], 0x28
	s_lshl_b32 s15, s7, 6
	v_bfe_u32 v35, v0, 10, 10
	s_waitcnt lgkmcnt(0)
	s_cmp_gt_i32 s8, 31
	s_cbranch_scc1 .LBB126_2
; %bb.1:
	v_bfe_u32 v34, v0, 10, 10
	v_and_b32_e32 v1, 0x3ff, v0
	v_add_u32_e32 v37, s15, v34
	s_mov_b64 s[0:1], 0
	s_mov_b32 s2, 0
	s_branch .LBB126_3
.LBB126_2:
	s_mov_b64 s[0:1], -1
                                        ; implicit-def: $sgpr2
                                        ; implicit-def: $vgpr34
                                        ; implicit-def: $vgpr1
                                        ; implicit-def: $vgpr37
.LBB126_3:
	s_load_dwordx2 s[12:13], s[4:5], 0x10
	s_lshl_b32 s6, s6, 7
	s_andn2_b64 vcc, exec, s[0:1]
	v_mov_b32_e32 v3, s2
	v_mov_b32_e32 v2, s2
	;; [unrolled: 1-line block ×32, first 2 shown]
	s_cbranch_vccnz .LBB126_9
; %bb.4:
	s_load_dwordx4 s[0:3], s[4:5], 0x0
	s_ashr_i32 s4, s8, 31
	s_lshr_b32 s4, s4, 27
	s_ashr_i32 s5, s11, 31
	s_add_i32 s4, s8, s4
	s_lshr_b32 s5, s5, 27
	s_ashr_i32 s4, s4, 5
	s_add_i32 s5, s11, s5
	s_ashr_i32 s8, s5, 5
	s_mul_i32 s5, s4, s6
	s_mul_hi_i32 s7, s5, 34
	s_mul_i32 s5, s5, 34
	s_waitcnt lgkmcnt(0)
	s_add_u32 s5, s0, s5
	s_addc_u32 s7, s1, s7
	s_not_b32 s0, s6
	s_add_i32 s1, s0, s9
	v_and_b32_e32 v1, 0x3ff, v0
	v_lshlrev_b32_e32 v2, 2, v1
	v_min_i32_e32 v3, s1, v35
	s_movk_i32 s9, 0x84
	v_add_u32_e32 v6, 8, v35
	v_mul_lo_u32 v36, v3, s4
	v_mad_u64_u32 v[38:39], s[16:17], v3, s9, v[2:3]
	v_min_i32_e32 v3, s1, v6
	v_add_u32_e32 v7, 16, v35
	v_mul_lo_u32 v40, v3, s4
	v_mad_u64_u32 v[42:43], s[16:17], v3, s9, v[2:3]
	v_min_i32_e32 v3, s1, v7
	v_add_u32_e32 v8, 24, v35
	v_mul_lo_u32 v44, v3, s4
	v_mad_u64_u32 v[46:47], s[16:17], v3, s9, v[2:3]
	v_min_i32_e32 v3, s1, v8
	v_add_u32_e32 v9, 32, v35
	v_mul_lo_u32 v48, v3, s4
	v_mad_u64_u32 v[50:51], s[16:17], v3, s9, v[2:3]
	v_min_i32_e32 v3, s1, v9
	v_add_u32_e32 v10, 40, v35
	v_mul_lo_u32 v52, v3, s4
	v_mad_u64_u32 v[54:55], s[16:17], v3, s9, v[2:3]
	v_min_i32_e32 v3, s1, v10
	v_add_u32_e32 v11, 48, v35
	v_mul_lo_u32 v56, v3, s4
	v_mad_u64_u32 v[58:59], s[16:17], v3, s9, v[2:3]
	v_min_i32_e32 v3, s1, v11
	v_add_u32_e32 v12, 56, v35
	v_mul_lo_u32 v60, v3, s4
	v_mad_u64_u32 v[62:63], s[16:17], v3, s9, v[2:3]
	v_min_i32_e32 v3, s1, v12
	v_mul_lo_u32 v64, v3, s4
	v_mad_u64_u32 v[66:67], s[16:17], v3, s9, v[2:3]
	v_add_u32_e32 v3, 64, v35
	v_min_i32_e32 v3, s1, v3
	v_mul_lo_u32 v68, v3, s4
	v_mad_u64_u32 v[70:71], s[16:17], v3, s9, v[2:3]
	v_add_u32_e32 v3, 0x48, v35
	v_min_i32_e32 v3, s1, v3
	;; [unrolled: 4-line block ×8, first 2 shown]
	v_and_b32_e32 v34, 28, v2
	v_mad_u64_u32 v[98:99], s[16:17], v3, s9, v[2:3]
	v_lshrrev_b32_e32 v2, 2, v1
	v_lshl_add_u32 v4, v35, 3, v2
	v_min_i32_e32 v2, s1, v4
	v_mul_lo_u32 v96, v3, s4
	v_ashrrev_i32_e32 v3, 31, v2
	v_lshrrev_b32_e32 v3, 29, v3
	v_add_u32_e32 v3, v2, v3
	v_and_b32_e32 v100, 3, v1
	v_mul_lo_u32 v102, v2, s4
	v_ashrrev_i32_e32 v3, 3, v3
	v_lshlrev_b32_e32 v14, 4, v2
	v_add_u32_e32 v2, 64, v4
	v_lshlrev_b32_e32 v3, 2, v3
	v_lshlrev_b32_e32 v5, 2, v100
	s_movk_i32 s9, 0x6200
	v_min_i32_e32 v2, s1, v2
	v_add3_u32 v13, v3, v5, s9
	v_ashrrev_i32_e32 v3, 31, v2
	v_lshrrev_b32_e32 v3, 29, v3
	v_add_u32_e32 v3, v2, v3
	v_ashrrev_i32_e32 v3, 3, v3
	v_mov_b32_e32 v18, s3
	v_add_co_u32_e32 v106, vcc, s2, v34
	v_and_b32_e32 v4, 63, v4
	v_lshlrev_b32_e32 v3, 2, v3
	v_add_u32_e32 v37, s15, v35
	s_add_i32 s1, s10, -1
	v_addc_co_u32_e32 v107, vcc, 0, v18, vcc
	v_or_b32_e32 v18, s15, v4
	v_lshl_or_b32 v4, v4, 4, v5
	v_mul_lo_u32 v104, v2, s4
	v_add3_u32 v15, v3, v5, s9
	v_lshlrev_b32_e32 v16, 4, v2
	v_cvt_f64_i32_e32 v[2:3], s1
	v_add_u32_e32 v39, 0x6a40, v4
	v_cvt_f64_u32_e32 v[4:5], v37
	v_and_b32_e32 v17, 31, v1
	v_min_i32_e32 v18, s1, v18
	v_min_f64 v[4:5], v[4:5], v[2:3]
	v_mad_u64_u32 v[108:109], s[16:17], v18, s8, v[100:101]
	v_cvt_i32_f64_e32 v4, v[4:5]
	v_lshlrev_b32_e32 v17, 2, v17
	v_lshlrev_b32_e32 v18, 7, v35
	v_mul_lo_u32 v41, s8, v4
	v_or_b32_e32 v4, v18, v17
	v_add_u32_e32 v43, 0x4200, v4
	v_add_u32_e32 v4, 8, v37
	v_cvt_f64_u32_e32 v[4:5], v4
	v_min_f64 v[4:5], v[4:5], v[2:3]
	v_cvt_i32_f64_e32 v4, v[4:5]
	v_mul_lo_u32 v45, s8, v4
	v_lshl_or_b32 v4, v6, 7, v17
	v_add_u32_e32 v47, 0x4200, v4
	v_add_u32_e32 v4, 16, v37
	v_cvt_f64_u32_e32 v[4:5], v4
	v_min_f64 v[4:5], v[4:5], v[2:3]
	v_cvt_i32_f64_e32 v4, v[4:5]
	v_mul_lo_u32 v49, s8, v4
	v_lshl_or_b32 v4, v7, 7, v17
	;; [unrolled: 7-line block ×6, first 2 shown]
	v_add_u32_e32 v67, 0x4200, v4
	v_add_u32_e32 v4, 56, v37
	v_cvt_f64_u32_e32 v[4:5], v4
	v_min_f64 v[2:3], v[4:5], v[2:3]
	v_cvt_i32_f64_e32 v2, v[2:3]
	v_add_u32_e32 v4, 0x60, v1
	v_mul_lo_u32 v69, s8, v2
	v_lshl_or_b32 v2, v12, 7, v17
	v_add_u32_e32 v3, 64, v1
	v_lshrrev_b32_e32 v4, 1, v4
	v_add_u32_e32 v71, 0x4200, v2
	v_add_u32_e32 v2, 32, v1
	v_lshlrev_b32_e32 v5, 4, v1
	v_and_b32_e32 v4, 0xfc, v4
	s_movk_i32 s1, 0x6800
	v_lshrrev_b32_e32 v3, 1, v3
	v_add3_u32 v77, v5, v4, s1
	v_and_b32_e32 v3, 0xfc, v3
	s_movk_i32 s1, 0x6600
	v_lshrrev_b32_e32 v2, 1, v2
	v_lshrrev_b32_e32 v0, 3, v1
	v_add3_u32 v79, v5, v3, s1
	v_and_b32_e32 v2, 0xfc, v2
	s_movk_i32 s1, 0x6400
	s_mov_b32 s0, 0
	v_add3_u32 v81, v5, v2, s1
	v_lshlrev_b32_e32 v2, 2, v0
	v_add3_u32 v83, v5, v2, s9
	v_mov_b32_e32 v2, 0x6a40
	s_mov_b32 s1, s0
	v_mul_u32_u24_e32 v73, 0x84, v1
	v_add_u32_e32 v75, 0x4200, v18
	v_lshl_add_u32 v85, v35, 4, v2
	v_pk_mov_b32 v[32:33], s[0:1], s[0:1] op_sel:[0,1]
	v_add_u32_e32 v87, v13, v14
	v_add_u32_e32 v89, v15, v16
	v_pk_mov_b32 v[24:25], s[0:1], s[0:1] op_sel:[0,1]
	v_pk_mov_b32 v[16:17], s[0:1], s[0:1] op_sel:[0,1]
	;; [unrolled: 1-line block ×15, first 2 shown]
.LBB126_5:                              ; =>This Loop Header: Depth=1
                                        ;     Child Loop BB126_6 Depth 2
	s_mul_i32 s8, s0, 34
	s_mul_hi_u32 s1, s0, 34
	s_add_u32 s8, s5, s8
	s_addc_u32 s9, s7, s1
	v_mad_u64_u32 v[110:111], s[16:17], v0, 34, s[8:9]
	v_add_co_u32_e32 v91, vcc, v110, v34
	v_addc_co_u32_e32 v93, vcc, 0, v111, vcc
	v_add_co_u32_e32 v110, vcc, 2, v91
	v_addc_co_u32_e32 v111, vcc, 0, v93, vcc
	v_mad_i64_i32 v[112:113], s[16:17], v36, 34, v[110:111]
	v_mad_i64_i32 v[114:115], s[16:17], v40, 34, v[110:111]
	;; [unrolled: 1-line block ×8, first 2 shown]
	global_load_dword v91, v[112:113], off
	global_load_dword v93, v[114:115], off
	;; [unrolled: 1-line block ×8, first 2 shown]
	v_mad_i64_i32 v[112:113], s[16:17], v68, 34, v[110:111]
	v_mad_i64_i32 v[114:115], s[16:17], v72, 34, v[110:111]
	;; [unrolled: 1-line block ×8, first 2 shown]
	global_load_dword v109, v[112:113], off
	global_load_dword v128, v[114:115], off
	;; [unrolled: 1-line block ×3, first 2 shown]
                                        ; kill: killed $vgpr116_vgpr117
                                        ; kill: killed $vgpr114_vgpr115
                                        ; kill: killed $vgpr112_vgpr113
	global_load_dword v130, v[118:119], off
	global_load_dword v131, v[120:121], off
	;; [unrolled: 1-line block ×5, first 2 shown]
	v_mad_u64_u32 v[110:111], s[8:9], v100, 34, s[8:9]
	v_mad_i64_i32 v[112:113], s[8:9], v102, 34, v[110:111]
	v_mad_i64_i32 v[110:111], s[8:9], v104, 34, v[110:111]
	v_add_u32_e32 v124, s0, v0
	global_load_ushort v135, v[112:113], off
	global_load_ushort v136, v[110:111], off
	v_add_u32_e32 v110, v124, v41
	v_add_u32_e32 v112, v124, v45
	;; [unrolled: 1-line block ×5, first 2 shown]
	v_mad_i64_i32 v[110:111], s[8:9], v110, 36, v[106:107]
	v_mad_i64_i32 v[112:113], s[8:9], v112, 36, v[106:107]
	;; [unrolled: 1-line block ×5, first 2 shown]
	v_add_u32_e32 v120, v124, v61
	v_add_u32_e32 v122, v124, v65
	;; [unrolled: 1-line block ×4, first 2 shown]
	v_mad_i64_i32 v[120:121], s[8:9], v120, 36, v[106:107]
	v_mad_i64_i32 v[122:123], s[8:9], v122, 36, v[106:107]
	;; [unrolled: 1-line block ×3, first 2 shown]
	v_mad_u64_u32 v[126:127], s[8:9], v126, 36, s[2:3]
	global_load_dword v110, v[110:111], off offset:4
	s_nop 0
	global_load_dword v111, v[112:113], off offset:4
	s_nop 0
	global_load_dword v112, v[114:115], off offset:4
	global_load_dword v113, v[116:117], off offset:4
	s_nop 0
	global_load_dword v114, v[118:119], off offset:4
	global_load_dword v115, v[126:127], off
	global_load_dword v116, v[120:121], off offset:4
	global_load_dword v117, v[122:123], off offset:4
	s_nop 0
	global_load_dword v118, v[124:125], off offset:4
	s_mov_b32 s1, -8
	s_waitcnt vmcnt(26)
	ds_write_b32 v38, v91
	s_waitcnt vmcnt(25)
	ds_write_b32 v42, v93
	;; [unrolled: 2-line block ×14, first 2 shown]
	v_mov_b32_e32 v95, v81
	v_mov_b32_e32 v97, v79
	;; [unrolled: 1-line block ×5, first 2 shown]
	s_waitcnt vmcnt(10)
	v_cvt_f32_f16_e32 v91, v135
	s_waitcnt vmcnt(9)
	v_cvt_f32_f16_e32 v93, v136
	ds_write_b32 v94, v133
	ds_write_b32 v98, v134
	;; [unrolled: 1-line block ×4, first 2 shown]
	s_waitcnt vmcnt(8)
	ds_write_b32 v43, v110
	s_waitcnt vmcnt(7)
	ds_write_b32 v47, v111
	;; [unrolled: 2-line block ×5, first 2 shown]
	s_waitcnt vmcnt(3)
	v_cvt_f32_f16_e32 v91, v115
	s_waitcnt vmcnt(2)
	ds_write_b32 v63, v116
	s_waitcnt vmcnt(1)
	ds_write_b32 v67, v117
	;; [unrolled: 2-line block ×3, first 2 shown]
	ds_write_b32 v39, v91
	v_mov_b32_e32 v91, v85
	v_mov_b32_e32 v93, v83
	s_waitcnt lgkmcnt(0)
	s_barrier
.LBB126_6:                              ;   Parent Loop BB126_5 Depth=1
                                        ; =>  This Inner Loop Header: Depth=2
	v_add_u32_e32 v111, 0x1088, v103
	ds_read2_b32 v[150:151], v91 offset1:32
	ds_read_b128 v[152:155], v101
	ds_read_b128 v[156:159], v101 offset:16
	ds_read_b32 v114, v93
	ds_read2_b32 v[122:123], v103 offset1:1
	ds_read2_b32 v[130:131], v103 offset0:2 offset1:3
	ds_read2_b32 v[136:137], v103 offset0:4 offset1:5
	;; [unrolled: 1-line block ×3, first 2 shown]
	v_add_u32_e32 v109, 0x1080, v103
	ds_read_b32 v110, v95
	ds_read2_b32 v[116:117], v109 offset1:1
	ds_read2_b32 v[124:125], v111 offset1:1
	v_add_u32_e32 v111, 0x1090, v103
	ds_read2_b32 v[132:133], v111 offset1:1
	v_add_u32_e32 v111, 0x1098, v103
	v_add_u32_e32 v113, 0x2108, v103
	ds_read2_b32 v[142:143], v111 offset1:1
	v_add_u32_e32 v111, 0x2100, v103
	ds_read_b32 v112, v97
	ds_read2_b32 v[120:121], v111 offset1:1
	ds_read2_b32 v[128:129], v113 offset1:1
	v_add_u32_e32 v113, 0x2110, v103
	ds_read2_b32 v[138:139], v113 offset1:1
	v_add_u32_e32 v113, 0x2118, v103
	ds_read2_b32 v[146:147], v113 offset1:1
	v_add_u32_e32 v113, 0x3180, v103
	ds_read_b32 v118, v99
	ds_read2_b32 v[126:127], v113 offset1:1
	v_add_u32_e32 v115, 0x3188, v103
	ds_read2_b32 v[134:135], v115 offset1:1
	v_add_u32_e32 v115, 0x3190, v103
	v_mov_b32_e32 v105, 0
	v_mov_b32_e32 v109, 0
	;; [unrolled: 1-line block ×4, first 2 shown]
	ds_read2_b32 v[144:145], v115 offset1:1
	s_waitcnt lgkmcnt(14)
	v_dot4c_i32_i8_e32 v105, v122, v152
	s_waitcnt lgkmcnt(12)
	v_dot4c_i32_i8_e32 v109, v116, v152
	;; [unrolled: 2-line block ×4, first 2 shown]
	v_add_u32_e32 v115, 0x3198, v103
	v_dot4c_i32_i8_e32 v105, v123, v153
	v_dot4c_i32_i8_e32 v109, v117, v153
	;; [unrolled: 1-line block ×4, first 2 shown]
	ds_read2_b32 v[148:149], v115 offset1:1
	v_dot4c_i32_i8_e32 v105, v130, v154
	v_dot4c_i32_i8_e32 v109, v124, v154
	v_dot4c_i32_i8_e32 v111, v128, v154
	s_waitcnt lgkmcnt(2)
	v_dot4c_i32_i8_e32 v113, v134, v154
	v_dot4c_i32_i8_e32 v105, v131, v155
	v_dot4c_i32_i8_e32 v109, v125, v155
	v_dot4c_i32_i8_e32 v111, v129, v155
	v_dot4c_i32_i8_e32 v113, v135, v155
	v_dot4c_i32_i8_e32 v105, v136, v156
	v_dot4c_i32_i8_e32 v109, v132, v156
	v_dot4c_i32_i8_e32 v111, v138, v156
	s_waitcnt lgkmcnt(1)
	v_dot4c_i32_i8_e32 v113, v144, v156
	v_dot4c_i32_i8_e32 v105, v137, v157
	v_dot4c_i32_i8_e32 v109, v133, v157
	v_dot4c_i32_i8_e32 v111, v139, v157
	v_dot4c_i32_i8_e32 v113, v145, v157
	;; [unrolled: 9-line block ×3, first 2 shown]
	ds_read_b128 v[152:155], v101 offset:1024
	ds_read_b128 v[156:159], v101 offset:1040
	v_mov_b32_e32 v115, 0
	v_cvt_f32_i32_e32 v162, v105
	v_mov_b32_e32 v105, 0
	s_waitcnt lgkmcnt(1)
	v_dot4c_i32_i8_e32 v115, v122, v152
	v_dot4c_i32_i8_e32 v115, v123, v153
	;; [unrolled: 1-line block ×4, first 2 shown]
	s_waitcnt lgkmcnt(0)
	v_dot4c_i32_i8_e32 v115, v136, v156
	v_dot4c_i32_i8_e32 v105, v116, v152
	;; [unrolled: 1-line block ×10, first 2 shown]
	v_cvt_f32_i32_e32 v163, v115
	v_dot4c_i32_i8_e32 v105, v142, v158
	v_pk_mul_f32 v[160:161], v[114:115], v[150:151] op_sel_hi:[0,1]
	v_dot4c_i32_i8_e32 v105, v143, v159
	v_pk_fma_f32 v[32:33], v[160:161], v[162:163], v[32:33]
	v_cvt_f32_i32_e32 v162, v109
	v_pk_mul_f32 v[160:161], v[110:111], v[150:151] op_sel_hi:[0,1]
	v_cvt_f32_i32_e32 v163, v105
	v_mov_b32_e32 v105, 0
	v_dot4c_i32_i8_e32 v105, v120, v152
	v_dot4c_i32_i8_e32 v105, v121, v153
	;; [unrolled: 1-line block ×8, first 2 shown]
	v_pk_fma_f32 v[30:31], v[160:161], v[162:163], v[30:31]
	v_pk_mul_f32 v[160:161], v[112:113], v[150:151] op_sel_hi:[0,1]
	v_pk_mul_f32 v[150:151], v[118:119], v[150:151] op_sel_hi:[0,1]
	v_cvt_f32_i32_e32 v163, v105
	v_mov_b32_e32 v105, 0
	v_dot4c_i32_i8_e32 v105, v126, v152
	v_dot4c_i32_i8_e32 v105, v127, v153
	;; [unrolled: 1-line block ×8, first 2 shown]
	v_cvt_f32_i32_e32 v152, v113
	v_cvt_f32_i32_e32 v162, v111
	v_mov_b32_e32 v109, 0
	v_cvt_f32_i32_e32 v153, v105
	v_mov_b32_e32 v105, 0
	v_mov_b32_e32 v111, 0
	;; [unrolled: 1-line block ×3, first 2 shown]
	v_pk_fma_f32 v[26:27], v[150:151], v[152:153], v[26:27]
	ds_read2_b32 v[150:151], v91 offset0:64 offset1:96
	ds_read_b128 v[152:155], v101 offset:2048
	ds_read_b128 v[156:159], v101 offset:2064
	v_mov_b32_e32 v115, 0
	v_pk_fma_f32 v[28:29], v[160:161], v[162:163], v[28:29]
	s_add_i32 s1, s1, 8
	s_waitcnt lgkmcnt(1)
	v_dot4c_i32_i8_e32 v105, v122, v152
	v_dot4c_i32_i8_e32 v109, v116, v152
	;; [unrolled: 1-line block ×16, first 2 shown]
	s_waitcnt lgkmcnt(0)
	v_dot4c_i32_i8_e32 v105, v136, v156
	v_dot4c_i32_i8_e32 v109, v132, v156
	;; [unrolled: 1-line block ×16, first 2 shown]
	ds_read_b128 v[152:155], v101 offset:3072
	ds_read_b128 v[156:159], v101 offset:3088
	v_cvt_f32_i32_e32 v162, v105
	v_mov_b32_e32 v105, 0
	v_add_u32_e32 v103, 32, v103
	s_waitcnt lgkmcnt(1)
	v_dot4c_i32_i8_e32 v115, v122, v152
	v_dot4c_i32_i8_e32 v115, v123, v153
	;; [unrolled: 1-line block ×4, first 2 shown]
	s_waitcnt lgkmcnt(0)
	v_dot4c_i32_i8_e32 v115, v136, v156
	v_dot4c_i32_i8_e32 v105, v116, v152
	;; [unrolled: 1-line block ×10, first 2 shown]
	v_cvt_f32_i32_e32 v163, v115
	v_dot4c_i32_i8_e32 v105, v142, v158
	v_pk_mul_f32 v[160:161], v[114:115], v[150:151] op_sel_hi:[0,1]
	v_dot4c_i32_i8_e32 v105, v143, v159
	v_pk_fma_f32 v[24:25], v[160:161], v[162:163], v[24:25]
	v_cvt_f32_i32_e32 v162, v109
	v_pk_mul_f32 v[160:161], v[110:111], v[150:151] op_sel_hi:[0,1]
	v_cvt_f32_i32_e32 v163, v105
	v_mov_b32_e32 v105, 0
	v_dot4c_i32_i8_e32 v105, v120, v152
	v_dot4c_i32_i8_e32 v105, v121, v153
	;; [unrolled: 1-line block ×8, first 2 shown]
	v_pk_fma_f32 v[22:23], v[160:161], v[162:163], v[22:23]
	v_pk_mul_f32 v[160:161], v[112:113], v[150:151] op_sel_hi:[0,1]
	v_pk_mul_f32 v[150:151], v[118:119], v[150:151] op_sel_hi:[0,1]
	v_cvt_f32_i32_e32 v163, v105
	v_mov_b32_e32 v105, 0
	v_dot4c_i32_i8_e32 v105, v126, v152
	v_dot4c_i32_i8_e32 v105, v127, v153
	;; [unrolled: 1-line block ×8, first 2 shown]
	v_cvt_f32_i32_e32 v152, v113
	v_cvt_f32_i32_e32 v162, v111
	v_mov_b32_e32 v109, 0
	v_cvt_f32_i32_e32 v153, v105
	v_mov_b32_e32 v105, 0
	v_mov_b32_e32 v111, 0
	;; [unrolled: 1-line block ×3, first 2 shown]
	v_pk_fma_f32 v[18:19], v[150:151], v[152:153], v[18:19]
	ds_read2_b32 v[150:151], v91 offset0:128 offset1:160
	ds_read_b128 v[152:155], v101 offset:4096
	ds_read_b128 v[156:159], v101 offset:4112
	v_mov_b32_e32 v115, 0
	v_pk_fma_f32 v[20:21], v[160:161], v[162:163], v[20:21]
	v_add_u32_e32 v99, 4, v99
	s_waitcnt lgkmcnt(1)
	v_dot4c_i32_i8_e32 v105, v122, v152
	v_dot4c_i32_i8_e32 v109, v116, v152
	;; [unrolled: 1-line block ×16, first 2 shown]
	s_waitcnt lgkmcnt(0)
	v_dot4c_i32_i8_e32 v105, v136, v156
	v_dot4c_i32_i8_e32 v109, v132, v156
	;; [unrolled: 1-line block ×16, first 2 shown]
	ds_read_b128 v[152:155], v101 offset:5120
	ds_read_b128 v[156:159], v101 offset:5136
	v_cvt_f32_i32_e32 v162, v105
	v_mov_b32_e32 v105, 0
	v_add_u32_e32 v97, 4, v97
	s_waitcnt lgkmcnt(1)
	v_dot4c_i32_i8_e32 v115, v122, v152
	v_dot4c_i32_i8_e32 v115, v123, v153
	;; [unrolled: 1-line block ×4, first 2 shown]
	s_waitcnt lgkmcnt(0)
	v_dot4c_i32_i8_e32 v115, v136, v156
	v_dot4c_i32_i8_e32 v105, v116, v152
	;; [unrolled: 1-line block ×10, first 2 shown]
	v_cvt_f32_i32_e32 v163, v115
	v_dot4c_i32_i8_e32 v105, v142, v158
	v_pk_mul_f32 v[160:161], v[114:115], v[150:151] op_sel_hi:[0,1]
	v_dot4c_i32_i8_e32 v105, v143, v159
	v_pk_fma_f32 v[16:17], v[160:161], v[162:163], v[16:17]
	v_cvt_f32_i32_e32 v162, v109
	v_pk_mul_f32 v[160:161], v[110:111], v[150:151] op_sel_hi:[0,1]
	v_cvt_f32_i32_e32 v163, v105
	v_mov_b32_e32 v105, 0
	v_dot4c_i32_i8_e32 v105, v120, v152
	v_dot4c_i32_i8_e32 v105, v121, v153
	;; [unrolled: 1-line block ×8, first 2 shown]
	v_pk_fma_f32 v[14:15], v[160:161], v[162:163], v[14:15]
	v_pk_mul_f32 v[160:161], v[112:113], v[150:151] op_sel_hi:[0,1]
	v_cvt_f32_i32_e32 v162, v111
	v_cvt_f32_i32_e32 v163, v105
	v_mov_b32_e32 v105, 0
	v_dot4c_i32_i8_e32 v105, v126, v152
	v_dot4c_i32_i8_e32 v105, v127, v153
	;; [unrolled: 1-line block ×8, first 2 shown]
	v_cvt_f32_i32_e32 v152, v113
	v_pk_mul_f32 v[150:151], v[118:119], v[150:151] op_sel_hi:[0,1]
	v_pk_fma_f32 v[12:13], v[160:161], v[162:163], v[12:13]
	v_cvt_f32_i32_e32 v153, v105
	v_mov_b32_e32 v105, 0
	v_mov_b32_e32 v109, 0
	;; [unrolled: 1-line block ×3, first 2 shown]
	v_pk_fma_f32 v[10:11], v[150:151], v[152:153], v[10:11]
	ds_read2_b32 v[150:151], v91 offset0:192 offset1:224
	ds_read_b128 v[152:155], v101 offset:6144
	ds_read_b128 v[156:159], v101 offset:6160
	v_mov_b32_e32 v160, 0
	v_mov_b32_e32 v111, 0
	s_waitcnt lgkmcnt(2)
	v_pk_mul_f32 v[114:115], v[114:115], v[150:151] op_sel_hi:[0,1]
	s_waitcnt lgkmcnt(1)
	v_dot4c_i32_i8_e32 v105, v122, v152
	v_dot4c_i32_i8_e32 v109, v116, v152
	;; [unrolled: 1-line block ×16, first 2 shown]
	s_waitcnt lgkmcnt(0)
	v_dot4c_i32_i8_e32 v105, v136, v156
	v_dot4c_i32_i8_e32 v109, v132, v156
	;; [unrolled: 1-line block ×16, first 2 shown]
	ds_read_b128 v[152:155], v101 offset:7168
	ds_read_b128 v[156:159], v101 offset:7184
	v_add_u32_e32 v101, 32, v101
	v_add_u32_e32 v95, 4, v95
	;; [unrolled: 1-line block ×3, first 2 shown]
	s_waitcnt lgkmcnt(1)
	v_dot4c_i32_i8_e32 v111, v122, v152
	v_dot4c_i32_i8_e32 v111, v123, v153
	;; [unrolled: 1-line block ×4, first 2 shown]
	v_cvt_f32_i32_e32 v122, v105
	v_mov_b32_e32 v105, 0
	s_waitcnt lgkmcnt(0)
	v_dot4c_i32_i8_e32 v111, v136, v156
	v_dot4c_i32_i8_e32 v105, v116, v152
	;; [unrolled: 1-line block ×10, first 2 shown]
	v_cvt_f32_i32_e32 v123, v111
	v_dot4c_i32_i8_e32 v105, v142, v158
	v_dot4c_i32_i8_e32 v105, v143, v159
	v_pk_mul_f32 v[110:111], v[110:111], v[150:151] op_sel_hi:[0,1]
	v_pk_fma_f32 v[8:9], v[114:115], v[122:123], v[8:9]
	v_cvt_f32_i32_e32 v114, v109
	v_cvt_f32_i32_e32 v115, v105
	v_mov_b32_e32 v105, 0
	v_dot4c_i32_i8_e32 v105, v120, v152
	v_dot4c_i32_i8_e32 v105, v121, v153
	;; [unrolled: 1-line block ×8, first 2 shown]
	v_pk_fma_f32 v[6:7], v[110:111], v[114:115], v[6:7]
	v_pk_mul_f32 v[110:111], v[112:113], v[150:151] op_sel_hi:[0,1]
	v_cvt_f32_i32_e32 v112, v119
	v_cvt_f32_i32_e32 v113, v105
	v_mov_b32_e32 v105, 0
	v_dot4c_i32_i8_e32 v105, v126, v152
	v_dot4c_i32_i8_e32 v105, v127, v153
	;; [unrolled: 1-line block ×8, first 2 shown]
	v_pk_fma_f32 v[4:5], v[110:111], v[112:113], v[4:5]
	v_cvt_f32_i32_e32 v112, v160
	v_pk_mul_f32 v[110:111], v[118:119], v[150:151] op_sel_hi:[0,1]
	v_cvt_f32_i32_e32 v113, v105
	v_add_u32_e32 v91, 4, v91
	s_cmp_lt_u32 s1, 24
	v_pk_fma_f32 v[2:3], v[110:111], v[112:113], v[2:3]
	s_cbranch_scc1 .LBB126_6
; %bb.7:                                ;   in Loop: Header=BB126_5 Depth=1
	s_add_i32 s0, s0, 4
	s_cmp_ge_i32 s0, s4
	s_barrier
	s_cbranch_scc0 .LBB126_5
; %bb.8:
	v_mov_b32_e32 v34, v35
.LBB126_9:
	v_cmp_gt_u32_e32 vcc, s10, v37
	s_and_saveexec_b64 s[0:1], vcc
	s_cbranch_execz .LBB126_60
; %bb.10:
	v_add_u32_e32 v0, s6, v1
	v_mul_lo_u32 v35, v37, s14
	v_cmp_gt_u32_e32 vcc, s14, v0
	s_and_saveexec_b64 s[2:3], vcc
	s_cbranch_execz .LBB126_12
; %bb.11:
	v_add_u32_e32 v36, v0, v35
	v_mov_b32_e32 v37, 0
	v_lshlrev_b64 v[36:37], 2, v[36:37]
	s_waitcnt lgkmcnt(0)
	v_mov_b32_e32 v1, s13
	v_add_co_u32_e64 v36, s[0:1], s12, v36
	v_addc_co_u32_e64 v37, s[0:1], v1, v37, s[0:1]
	global_store_dword v[36:37], v32, off
.LBB126_12:
	s_or_b64 exec, exec, s[2:3]
	v_add_u32_e32 v1, 32, v0
	v_cmp_gt_u32_e64 s[0:1], s14, v1
	s_and_saveexec_b64 s[4:5], s[0:1]
	s_cbranch_execz .LBB126_14
; %bb.13:
	v_add_u32_e32 v36, v1, v35
	v_mov_b32_e32 v37, 0
	v_lshlrev_b64 v[36:37], 2, v[36:37]
	s_waitcnt lgkmcnt(0)
	v_mov_b32_e32 v32, s13
	v_add_co_u32_e64 v36, s[2:3], s12, v36
	v_addc_co_u32_e64 v37, s[2:3], v32, v37, s[2:3]
	global_store_dword v[36:37], v30, off
.LBB126_14:
	s_or_b64 exec, exec, s[4:5]
	v_add_u32_e32 v30, 64, v0
	v_cmp_gt_u32_e64 s[2:3], s14, v30
	s_and_saveexec_b64 s[6:7], s[2:3]
	;; [unrolled: 15-line block ×3, first 2 shown]
	s_cbranch_execz .LBB126_18
; %bb.17:
	v_add_u32_e32 v36, v28, v35
	v_mov_b32_e32 v37, 0
	v_lshlrev_b64 v[36:37], 2, v[36:37]
	s_waitcnt lgkmcnt(0)
	v_mov_b32_e32 v32, s13
	v_add_co_u32_e64 v36, s[6:7], s12, v36
	v_addc_co_u32_e64 v37, s[6:7], v32, v37, s[6:7]
	global_store_dword v[36:37], v26, off
.LBB126_18:
	s_or_b64 exec, exec, s[8:9]
	v_add3_u32 v26, v34, s15, 8
	v_cmp_gt_u32_e64 s[6:7], s10, v26
	s_and_b64 exec, exec, s[6:7]
	s_cbranch_execz .LBB126_60
; %bb.19:
	v_mul_lo_u32 v26, v26, s14
	s_and_saveexec_b64 s[8:9], vcc
	s_cbranch_execnz .LBB126_61
; %bb.20:
	s_or_b64 exec, exec, s[8:9]
	s_and_saveexec_b64 s[8:9], s[0:1]
	s_cbranch_execnz .LBB126_62
.LBB126_21:
	s_or_b64 exec, exec, s[8:9]
	s_and_saveexec_b64 s[8:9], s[2:3]
	s_cbranch_execnz .LBB126_63
.LBB126_22:
	s_or_b64 exec, exec, s[8:9]
	s_and_saveexec_b64 s[8:9], s[4:5]
	s_cbranch_execz .LBB126_24
.LBB126_23:
	v_add_u32_e32 v32, v26, v28
	v_mov_b32_e32 v33, 0
	v_lshlrev_b64 v[32:33], 2, v[32:33]
	s_waitcnt lgkmcnt(0)
	v_mov_b32_e32 v26, s13
	v_add_co_u32_e64 v32, s[6:7], s12, v32
	v_addc_co_u32_e64 v33, s[6:7], v26, v33, s[6:7]
	global_store_dword v[32:33], v27, off
.LBB126_24:
	s_or_b64 exec, exec, s[8:9]
	v_add3_u32 v26, v34, s15, 16
	v_cmp_gt_u32_e64 s[6:7], s10, v26
	s_and_b64 exec, exec, s[6:7]
	s_cbranch_execz .LBB126_60
; %bb.25:
	v_mul_lo_u32 v26, v26, s14
	s_and_saveexec_b64 s[8:9], vcc
	s_cbranch_execnz .LBB126_64
; %bb.26:
	s_or_b64 exec, exec, s[8:9]
	s_and_saveexec_b64 s[8:9], s[0:1]
	s_cbranch_execnz .LBB126_65
.LBB126_27:
	s_or_b64 exec, exec, s[8:9]
	s_and_saveexec_b64 s[8:9], s[2:3]
	s_cbranch_execnz .LBB126_66
.LBB126_28:
	s_or_b64 exec, exec, s[8:9]
	s_and_saveexec_b64 s[8:9], s[4:5]
	s_cbranch_execz .LBB126_30
.LBB126_29:
	v_add_u32_e32 v26, v26, v28
	v_mov_b32_e32 v27, 0
	v_lshlrev_b64 v[26:27], 2, v[26:27]
	s_waitcnt lgkmcnt(0)
	v_mov_b32_e32 v20, s13
	v_add_co_u32_e64 v26, s[6:7], s12, v26
	v_addc_co_u32_e64 v27, s[6:7], v20, v27, s[6:7]
	global_store_dword v[26:27], v18, off
.LBB126_30:
	s_or_b64 exec, exec, s[8:9]
	v_add3_u32 v18, v34, s15, 24
	v_cmp_gt_u32_e64 s[6:7], s10, v18
	s_and_b64 exec, exec, s[6:7]
	s_cbranch_execz .LBB126_60
; %bb.31:
	v_mul_lo_u32 v18, v18, s14
	s_and_saveexec_b64 s[8:9], vcc
	s_cbranch_execnz .LBB126_67
; %bb.32:
	s_or_b64 exec, exec, s[8:9]
	s_and_saveexec_b64 s[8:9], s[0:1]
	s_cbranch_execnz .LBB126_68
.LBB126_33:
	s_or_b64 exec, exec, s[8:9]
	s_and_saveexec_b64 s[8:9], s[2:3]
	s_cbranch_execnz .LBB126_69
.LBB126_34:
	s_or_b64 exec, exec, s[8:9]
	s_and_saveexec_b64 s[8:9], s[4:5]
	s_cbranch_execz .LBB126_36
.LBB126_35:
	v_add_u32_e32 v20, v18, v28
	v_mov_b32_e32 v21, 0
	v_lshlrev_b64 v[20:21], 2, v[20:21]
	s_waitcnt lgkmcnt(0)
	v_mov_b32_e32 v18, s13
	v_add_co_u32_e64 v20, s[6:7], s12, v20
	v_addc_co_u32_e64 v21, s[6:7], v18, v21, s[6:7]
	global_store_dword v[20:21], v19, off
.LBB126_36:
	s_or_b64 exec, exec, s[8:9]
	v_add3_u32 v18, v34, s15, 32
	v_cmp_gt_u32_e64 s[6:7], s10, v18
	s_and_b64 exec, exec, s[6:7]
	s_cbranch_execz .LBB126_60
; %bb.37:
	v_mul_lo_u32 v18, v18, s14
	s_and_saveexec_b64 s[8:9], vcc
	s_cbranch_execnz .LBB126_70
; %bb.38:
	s_or_b64 exec, exec, s[8:9]
	s_and_saveexec_b64 s[8:9], s[0:1]
	s_cbranch_execnz .LBB126_71
.LBB126_39:
	s_or_b64 exec, exec, s[8:9]
	s_and_saveexec_b64 s[8:9], s[2:3]
	s_cbranch_execnz .LBB126_72
.LBB126_40:
	s_or_b64 exec, exec, s[8:9]
	s_and_saveexec_b64 s[8:9], s[4:5]
	s_cbranch_execz .LBB126_42
.LBB126_41:
	v_add_u32_e32 v18, v18, v28
	v_mov_b32_e32 v19, 0
	v_lshlrev_b64 v[18:19], 2, v[18:19]
	s_waitcnt lgkmcnt(0)
	v_mov_b32_e32 v12, s13
	v_add_co_u32_e64 v18, s[6:7], s12, v18
	v_addc_co_u32_e64 v19, s[6:7], v12, v19, s[6:7]
	global_store_dword v[18:19], v10, off
.LBB126_42:
	s_or_b64 exec, exec, s[8:9]
	v_add3_u32 v10, v34, s15, 40
	v_cmp_gt_u32_e64 s[6:7], s10, v10
	s_and_b64 exec, exec, s[6:7]
	s_cbranch_execz .LBB126_60
; %bb.43:
	v_mul_lo_u32 v10, v10, s14
	s_and_saveexec_b64 s[8:9], vcc
	s_cbranch_execnz .LBB126_73
; %bb.44:
	s_or_b64 exec, exec, s[8:9]
	s_and_saveexec_b64 s[8:9], s[0:1]
	s_cbranch_execnz .LBB126_74
.LBB126_45:
	s_or_b64 exec, exec, s[8:9]
	s_and_saveexec_b64 s[8:9], s[2:3]
	s_cbranch_execnz .LBB126_75
.LBB126_46:
	s_or_b64 exec, exec, s[8:9]
	s_and_saveexec_b64 s[8:9], s[4:5]
	s_cbranch_execz .LBB126_48
.LBB126_47:
	v_add_u32_e32 v12, v10, v28
	v_mov_b32_e32 v13, 0
	v_lshlrev_b64 v[12:13], 2, v[12:13]
	s_waitcnt lgkmcnt(0)
	v_mov_b32_e32 v10, s13
	v_add_co_u32_e64 v12, s[6:7], s12, v12
	v_addc_co_u32_e64 v13, s[6:7], v10, v13, s[6:7]
	global_store_dword v[12:13], v11, off
.LBB126_48:
	s_or_b64 exec, exec, s[8:9]
	v_add3_u32 v10, v34, s15, 48
	v_cmp_gt_u32_e64 s[6:7], s10, v10
	s_and_b64 exec, exec, s[6:7]
	s_cbranch_execz .LBB126_60
; %bb.49:
	v_mul_lo_u32 v10, v10, s14
	s_and_saveexec_b64 s[8:9], vcc
	s_cbranch_execnz .LBB126_76
; %bb.50:
	s_or_b64 exec, exec, s[8:9]
	s_and_saveexec_b64 s[8:9], s[0:1]
	s_cbranch_execnz .LBB126_77
.LBB126_51:
	s_or_b64 exec, exec, s[8:9]
	s_and_saveexec_b64 s[8:9], s[2:3]
	s_cbranch_execnz .LBB126_78
.LBB126_52:
	s_or_b64 exec, exec, s[8:9]
	s_and_saveexec_b64 s[8:9], s[4:5]
	s_cbranch_execz .LBB126_54
.LBB126_53:
	v_add_u32_e32 v10, v10, v28
	v_mov_b32_e32 v11, 0
	v_lshlrev_b64 v[10:11], 2, v[10:11]
	s_waitcnt lgkmcnt(0)
	v_mov_b32_e32 v4, s13
	v_add_co_u32_e64 v10, s[6:7], s12, v10
	v_addc_co_u32_e64 v11, s[6:7], v4, v11, s[6:7]
	global_store_dword v[10:11], v2, off
.LBB126_54:
	s_or_b64 exec, exec, s[8:9]
	v_add3_u32 v2, v34, s15, 56
	v_cmp_gt_u32_e64 s[6:7], s10, v2
	s_and_b64 exec, exec, s[6:7]
	s_cbranch_execz .LBB126_60
; %bb.55:
	v_mul_lo_u32 v2, v2, s14
	s_and_saveexec_b64 s[6:7], vcc
	s_cbranch_execnz .LBB126_79
; %bb.56:
	s_or_b64 exec, exec, s[6:7]
	s_and_saveexec_b64 s[6:7], s[0:1]
	s_cbranch_execnz .LBB126_80
.LBB126_57:
	s_or_b64 exec, exec, s[6:7]
	s_and_saveexec_b64 s[0:1], s[2:3]
	s_cbranch_execnz .LBB126_81
.LBB126_58:
	s_or_b64 exec, exec, s[0:1]
	s_and_b64 exec, exec, s[4:5]
	s_cbranch_execz .LBB126_60
.LBB126_59:
	v_add_u32_e32 v0, v2, v28
	v_mov_b32_e32 v1, 0
	v_lshlrev_b64 v[0:1], 2, v[0:1]
	s_waitcnt lgkmcnt(0)
	v_mov_b32_e32 v2, s13
	v_add_co_u32_e32 v0, vcc, s12, v0
	v_addc_co_u32_e32 v1, vcc, v2, v1, vcc
	global_store_dword v[0:1], v3, off
.LBB126_60:
	s_endpgm
.LBB126_61:
	v_add_u32_e32 v36, v26, v0
	v_mov_b32_e32 v37, 0
	v_lshlrev_b64 v[36:37], 2, v[36:37]
	s_waitcnt lgkmcnt(0)
	v_mov_b32_e32 v32, s13
	v_add_co_u32_e64 v36, s[6:7], s12, v36
	v_addc_co_u32_e64 v37, s[6:7], v32, v37, s[6:7]
	global_store_dword v[36:37], v33, off
	s_or_b64 exec, exec, s[8:9]
	s_and_saveexec_b64 s[8:9], s[0:1]
	s_cbranch_execz .LBB126_21
.LBB126_62:
	v_add_u32_e32 v32, v26, v1
	v_mov_b32_e32 v33, 0
	v_lshlrev_b64 v[32:33], 2, v[32:33]
	s_waitcnt lgkmcnt(0)
	v_mov_b32_e32 v35, s13
	v_add_co_u32_e64 v32, s[6:7], s12, v32
	v_addc_co_u32_e64 v33, s[6:7], v35, v33, s[6:7]
	global_store_dword v[32:33], v31, off
	s_or_b64 exec, exec, s[8:9]
	s_and_saveexec_b64 s[8:9], s[2:3]
	s_cbranch_execz .LBB126_22
.LBB126_63:
	v_add_u32_e32 v32, v26, v30
	v_mov_b32_e32 v33, 0
	v_lshlrev_b64 v[32:33], 2, v[32:33]
	s_waitcnt lgkmcnt(0)
	v_mov_b32_e32 v31, s13
	v_add_co_u32_e64 v32, s[6:7], s12, v32
	v_addc_co_u32_e64 v33, s[6:7], v31, v33, s[6:7]
	global_store_dword v[32:33], v29, off
	s_or_b64 exec, exec, s[8:9]
	s_and_saveexec_b64 s[8:9], s[4:5]
	s_cbranch_execnz .LBB126_23
	s_branch .LBB126_24
.LBB126_64:
	v_add_u32_e32 v32, v26, v0
	v_mov_b32_e32 v33, 0
	v_lshlrev_b64 v[32:33], 2, v[32:33]
	s_waitcnt lgkmcnt(0)
	v_mov_b32_e32 v27, s13
	v_add_co_u32_e64 v32, s[6:7], s12, v32
	v_addc_co_u32_e64 v33, s[6:7], v27, v33, s[6:7]
	global_store_dword v[32:33], v24, off
	s_or_b64 exec, exec, s[8:9]
	s_and_saveexec_b64 s[8:9], s[0:1]
	s_cbranch_execz .LBB126_27
.LBB126_65:
	v_add_u32_e32 v32, v26, v1
	v_mov_b32_e32 v33, 0
	v_lshlrev_b64 v[32:33], 2, v[32:33]
	s_waitcnt lgkmcnt(0)
	v_mov_b32_e32 v24, s13
	v_add_co_u32_e64 v32, s[6:7], s12, v32
	v_addc_co_u32_e64 v33, s[6:7], v24, v33, s[6:7]
	global_store_dword v[32:33], v22, off
	s_or_b64 exec, exec, s[8:9]
	s_and_saveexec_b64 s[8:9], s[2:3]
	s_cbranch_execz .LBB126_28
.LBB126_66:
	v_add_u32_e32 v32, v26, v30
	v_mov_b32_e32 v33, 0
	v_lshlrev_b64 v[32:33], 2, v[32:33]
	s_waitcnt lgkmcnt(0)
	v_mov_b32_e32 v22, s13
	v_add_co_u32_e64 v32, s[6:7], s12, v32
	v_addc_co_u32_e64 v33, s[6:7], v22, v33, s[6:7]
	global_store_dword v[32:33], v20, off
	s_or_b64 exec, exec, s[8:9]
	s_and_saveexec_b64 s[8:9], s[4:5]
	s_cbranch_execnz .LBB126_29
	s_branch .LBB126_30
.LBB126_67:
	v_add_u32_e32 v26, v18, v0
	v_mov_b32_e32 v27, 0
	v_lshlrev_b64 v[26:27], 2, v[26:27]
	s_waitcnt lgkmcnt(0)
	v_mov_b32_e32 v20, s13
	v_add_co_u32_e64 v26, s[6:7], s12, v26
	v_addc_co_u32_e64 v27, s[6:7], v20, v27, s[6:7]
	global_store_dword v[26:27], v25, off
	s_or_b64 exec, exec, s[8:9]
	s_and_saveexec_b64 s[8:9], s[0:1]
	s_cbranch_execz .LBB126_33
.LBB126_68:
	v_add_u32_e32 v24, v18, v1
	v_mov_b32_e32 v25, 0
	v_lshlrev_b64 v[24:25], 2, v[24:25]
	s_waitcnt lgkmcnt(0)
	v_mov_b32_e32 v20, s13
	v_add_co_u32_e64 v24, s[6:7], s12, v24
	v_addc_co_u32_e64 v25, s[6:7], v20, v25, s[6:7]
	global_store_dword v[24:25], v23, off
	s_or_b64 exec, exec, s[8:9]
	s_and_saveexec_b64 s[8:9], s[2:3]
	s_cbranch_execz .LBB126_34
.LBB126_69:
	v_add_u32_e32 v22, v18, v30
	v_mov_b32_e32 v23, 0
	v_lshlrev_b64 v[22:23], 2, v[22:23]
	s_waitcnt lgkmcnt(0)
	v_mov_b32_e32 v20, s13
	v_add_co_u32_e64 v22, s[6:7], s12, v22
	v_addc_co_u32_e64 v23, s[6:7], v20, v23, s[6:7]
	global_store_dword v[22:23], v21, off
	s_or_b64 exec, exec, s[8:9]
	s_and_saveexec_b64 s[8:9], s[4:5]
	s_cbranch_execnz .LBB126_35
	s_branch .LBB126_36
.LBB126_70:
	v_add_u32_e32 v20, v18, v0
	v_mov_b32_e32 v21, 0
	v_lshlrev_b64 v[20:21], 2, v[20:21]
	s_waitcnt lgkmcnt(0)
	v_mov_b32_e32 v19, s13
	v_add_co_u32_e64 v20, s[6:7], s12, v20
	v_addc_co_u32_e64 v21, s[6:7], v19, v21, s[6:7]
	global_store_dword v[20:21], v16, off
	s_or_b64 exec, exec, s[8:9]
	s_and_saveexec_b64 s[8:9], s[0:1]
	s_cbranch_execz .LBB126_39
.LBB126_71:
	v_add_u32_e32 v20, v18, v1
	v_mov_b32_e32 v21, 0
	v_lshlrev_b64 v[20:21], 2, v[20:21]
	s_waitcnt lgkmcnt(0)
	v_mov_b32_e32 v16, s13
	v_add_co_u32_e64 v20, s[6:7], s12, v20
	v_addc_co_u32_e64 v21, s[6:7], v16, v21, s[6:7]
	global_store_dword v[20:21], v14, off
	s_or_b64 exec, exec, s[8:9]
	s_and_saveexec_b64 s[8:9], s[2:3]
	s_cbranch_execz .LBB126_40
.LBB126_72:
	v_add_u32_e32 v20, v18, v30
	v_mov_b32_e32 v21, 0
	v_lshlrev_b64 v[20:21], 2, v[20:21]
	s_waitcnt lgkmcnt(0)
	v_mov_b32_e32 v14, s13
	v_add_co_u32_e64 v20, s[6:7], s12, v20
	v_addc_co_u32_e64 v21, s[6:7], v14, v21, s[6:7]
	global_store_dword v[20:21], v12, off
	s_or_b64 exec, exec, s[8:9]
	s_and_saveexec_b64 s[8:9], s[4:5]
	s_cbranch_execnz .LBB126_41
	s_branch .LBB126_42
.LBB126_73:
	v_add_u32_e32 v18, v10, v0
	v_mov_b32_e32 v19, 0
	v_lshlrev_b64 v[18:19], 2, v[18:19]
	s_waitcnt lgkmcnt(0)
	v_mov_b32_e32 v12, s13
	v_add_co_u32_e64 v18, s[6:7], s12, v18
	v_addc_co_u32_e64 v19, s[6:7], v12, v19, s[6:7]
	global_store_dword v[18:19], v17, off
	s_or_b64 exec, exec, s[8:9]
	s_and_saveexec_b64 s[8:9], s[0:1]
	s_cbranch_execz .LBB126_45
.LBB126_74:
	v_add_u32_e32 v16, v10, v1
	v_mov_b32_e32 v17, 0
	v_lshlrev_b64 v[16:17], 2, v[16:17]
	s_waitcnt lgkmcnt(0)
	v_mov_b32_e32 v12, s13
	v_add_co_u32_e64 v16, s[6:7], s12, v16
	v_addc_co_u32_e64 v17, s[6:7], v12, v17, s[6:7]
	global_store_dword v[16:17], v15, off
	s_or_b64 exec, exec, s[8:9]
	s_and_saveexec_b64 s[8:9], s[2:3]
	s_cbranch_execz .LBB126_46
.LBB126_75:
	v_add_u32_e32 v14, v10, v30
	v_mov_b32_e32 v15, 0
	v_lshlrev_b64 v[14:15], 2, v[14:15]
	s_waitcnt lgkmcnt(0)
	v_mov_b32_e32 v12, s13
	v_add_co_u32_e64 v14, s[6:7], s12, v14
	v_addc_co_u32_e64 v15, s[6:7], v12, v15, s[6:7]
	global_store_dword v[14:15], v13, off
	s_or_b64 exec, exec, s[8:9]
	s_and_saveexec_b64 s[8:9], s[4:5]
	s_cbranch_execnz .LBB126_47
	s_branch .LBB126_48
.LBB126_76:
	v_add_u32_e32 v12, v10, v0
	v_mov_b32_e32 v13, 0
	v_lshlrev_b64 v[12:13], 2, v[12:13]
	s_waitcnt lgkmcnt(0)
	v_mov_b32_e32 v11, s13
	v_add_co_u32_e64 v12, s[6:7], s12, v12
	v_addc_co_u32_e64 v13, s[6:7], v11, v13, s[6:7]
	global_store_dword v[12:13], v8, off
	s_or_b64 exec, exec, s[8:9]
	s_and_saveexec_b64 s[8:9], s[0:1]
	s_cbranch_execz .LBB126_51
.LBB126_77:
	v_add_u32_e32 v12, v10, v1
	v_mov_b32_e32 v13, 0
	v_lshlrev_b64 v[12:13], 2, v[12:13]
	s_waitcnt lgkmcnt(0)
	v_mov_b32_e32 v8, s13
	v_add_co_u32_e64 v12, s[6:7], s12, v12
	v_addc_co_u32_e64 v13, s[6:7], v8, v13, s[6:7]
	global_store_dword v[12:13], v6, off
	s_or_b64 exec, exec, s[8:9]
	s_and_saveexec_b64 s[8:9], s[2:3]
	s_cbranch_execz .LBB126_52
.LBB126_78:
	v_add_u32_e32 v12, v10, v30
	v_mov_b32_e32 v13, 0
	v_lshlrev_b64 v[12:13], 2, v[12:13]
	s_waitcnt lgkmcnt(0)
	v_mov_b32_e32 v6, s13
	v_add_co_u32_e64 v12, s[6:7], s12, v12
	v_addc_co_u32_e64 v13, s[6:7], v6, v13, s[6:7]
	global_store_dword v[12:13], v4, off
	s_or_b64 exec, exec, s[8:9]
	s_and_saveexec_b64 s[8:9], s[4:5]
	s_cbranch_execnz .LBB126_53
	s_branch .LBB126_54
.LBB126_79:
	v_add_u32_e32 v10, v2, v0
	v_mov_b32_e32 v11, 0
	v_lshlrev_b64 v[10:11], 2, v[10:11]
	s_waitcnt lgkmcnt(0)
	v_mov_b32_e32 v0, s13
	v_add_co_u32_e32 v10, vcc, s12, v10
	v_addc_co_u32_e32 v11, vcc, v0, v11, vcc
	global_store_dword v[10:11], v9, off
	s_or_b64 exec, exec, s[6:7]
	s_and_saveexec_b64 s[6:7], s[0:1]
	s_cbranch_execz .LBB126_57
.LBB126_80:
	v_add_u32_e32 v0, v2, v1
	v_mov_b32_e32 v1, 0
	v_lshlrev_b64 v[0:1], 2, v[0:1]
	s_waitcnt lgkmcnt(0)
	v_mov_b32_e32 v4, s13
	v_add_co_u32_e32 v0, vcc, s12, v0
	v_addc_co_u32_e32 v1, vcc, v4, v1, vcc
	global_store_dword v[0:1], v7, off
	s_or_b64 exec, exec, s[6:7]
	s_and_saveexec_b64 s[0:1], s[2:3]
	s_cbranch_execz .LBB126_58
.LBB126_81:
	v_add_u32_e32 v0, v2, v30
	v_mov_b32_e32 v1, 0
	v_lshlrev_b64 v[0:1], 2, v[0:1]
	s_waitcnt lgkmcnt(0)
	v_mov_b32_e32 v4, s13
	v_add_co_u32_e32 v0, vcc, s12, v0
	v_addc_co_u32_e32 v1, vcc, v4, v1, vcc
	global_store_dword v[0:1], v5, off
	s_or_b64 exec, exec, s[0:1]
	s_and_b64 exec, exec, s[4:5]
	s_cbranch_execnz .LBB126_59
	s_branch .LBB126_60
	.section	.rodata,"a",@progbits
	.p2align	6, 0x0
	.amdhsa_kernel _ZL12mul_mat_q8_0IfLb1EEvPKvS1_PT_iiiii
		.amdhsa_group_segment_fixed_size 28224
		.amdhsa_private_segment_fixed_size 0
		.amdhsa_kernarg_size 44
		.amdhsa_user_sgpr_count 6
		.amdhsa_user_sgpr_private_segment_buffer 1
		.amdhsa_user_sgpr_dispatch_ptr 0
		.amdhsa_user_sgpr_queue_ptr 0
		.amdhsa_user_sgpr_kernarg_segment_ptr 1
		.amdhsa_user_sgpr_dispatch_id 0
		.amdhsa_user_sgpr_flat_scratch_init 0
		.amdhsa_user_sgpr_kernarg_preload_length 0
		.amdhsa_user_sgpr_kernarg_preload_offset 0
		.amdhsa_user_sgpr_private_segment_size 0
		.amdhsa_uses_dynamic_stack 0
		.amdhsa_system_sgpr_private_segment_wavefront_offset 0
		.amdhsa_system_sgpr_workgroup_id_x 1
		.amdhsa_system_sgpr_workgroup_id_y 1
		.amdhsa_system_sgpr_workgroup_id_z 0
		.amdhsa_system_sgpr_workgroup_info 0
		.amdhsa_system_vgpr_workitem_id 1
		.amdhsa_next_free_vgpr 164
		.amdhsa_next_free_sgpr 18
		.amdhsa_accum_offset 164
		.amdhsa_reserve_vcc 1
		.amdhsa_reserve_flat_scratch 0
		.amdhsa_float_round_mode_32 0
		.amdhsa_float_round_mode_16_64 0
		.amdhsa_float_denorm_mode_32 3
		.amdhsa_float_denorm_mode_16_64 3
		.amdhsa_dx10_clamp 1
		.amdhsa_ieee_mode 1
		.amdhsa_fp16_overflow 0
		.amdhsa_tg_split 0
		.amdhsa_exception_fp_ieee_invalid_op 0
		.amdhsa_exception_fp_denorm_src 0
		.amdhsa_exception_fp_ieee_div_zero 0
		.amdhsa_exception_fp_ieee_overflow 0
		.amdhsa_exception_fp_ieee_underflow 0
		.amdhsa_exception_fp_ieee_inexact 0
		.amdhsa_exception_int_div_zero 0
	.end_amdhsa_kernel
	.section	.text._ZL12mul_mat_q8_0IfLb1EEvPKvS1_PT_iiiii,"axG",@progbits,_ZL12mul_mat_q8_0IfLb1EEvPKvS1_PT_iiiii,comdat
.Lfunc_end126:
	.size	_ZL12mul_mat_q8_0IfLb1EEvPKvS1_PT_iiiii, .Lfunc_end126-_ZL12mul_mat_q8_0IfLb1EEvPKvS1_PT_iiiii
                                        ; -- End function
	.section	.AMDGPU.csdata,"",@progbits
; Kernel info:
; codeLenInByte = 7004
; NumSgprs: 22
; NumVgprs: 164
; NumAgprs: 0
; TotalNumVgprs: 164
; ScratchSize: 0
; MemoryBound: 0
; FloatMode: 240
; IeeeMode: 1
; LDSByteSize: 28224 bytes/workgroup (compile time only)
; SGPRBlocks: 2
; VGPRBlocks: 20
; NumSGPRsForWavesPerEU: 22
; NumVGPRsForWavesPerEU: 164
; AccumOffset: 164
; Occupancy: 2
; WaveLimiterHint : 0
; COMPUTE_PGM_RSRC2:SCRATCH_EN: 0
; COMPUTE_PGM_RSRC2:USER_SGPR: 6
; COMPUTE_PGM_RSRC2:TRAP_HANDLER: 0
; COMPUTE_PGM_RSRC2:TGID_X_EN: 1
; COMPUTE_PGM_RSRC2:TGID_Y_EN: 1
; COMPUTE_PGM_RSRC2:TGID_Z_EN: 0
; COMPUTE_PGM_RSRC2:TIDIG_COMP_CNT: 1
; COMPUTE_PGM_RSRC3_GFX90A:ACCUM_OFFSET: 40
; COMPUTE_PGM_RSRC3_GFX90A:TG_SPLIT: 0
	.section	.text._ZL12mul_mat_q2_KIfLb0EEvPKvS1_PT_iiiii,"axG",@progbits,_ZL12mul_mat_q2_KIfLb0EEvPKvS1_PT_iiiii,comdat
	.globl	_ZL12mul_mat_q2_KIfLb0EEvPKvS1_PT_iiiii ; -- Begin function _ZL12mul_mat_q2_KIfLb0EEvPKvS1_PT_iiiii
	.p2align	8
	.type	_ZL12mul_mat_q2_KIfLb0EEvPKvS1_PT_iiiii,@function
_ZL12mul_mat_q2_KIfLb0EEvPKvS1_PT_iiiii: ; @_ZL12mul_mat_q2_KIfLb0EEvPKvS1_PT_iiiii
; %bb.0:
	s_load_dword s14, s[4:5], 0x18
	s_load_dwordx4 s[8:11], s[4:5], 0x20
	s_waitcnt lgkmcnt(0)
	s_lshl_b32 s11, s7, 6
	v_bfe_u32 v43, v0, 10, 10
	s_cmpk_gt_i32 s14, 0xff
	s_cbranch_scc1 .LBB127_2
; %bb.1:
	v_bfe_u32 v1, v0, 10, 10
	s_mov_b32 s0, 0
	v_and_b32_e32 v41, 0x3ff, v0
	v_add_u32_e32 v45, s11, v1
	s_mov_b32 s1, s0
	s_mov_b64 s[2:3], 0
	s_branch .LBB127_3
.LBB127_2:
	s_mov_b64 s[2:3], -1
                                        ; implicit-def: $sgpr0_sgpr1
                                        ; implicit-def: $vgpr1
                                        ; implicit-def: $vgpr41
                                        ; implicit-def: $vgpr45
.LBB127_3:
	s_load_dwordx2 s[12:13], s[4:5], 0x10
	s_lshl_b32 s6, s6, 7
	s_andn2_b64 vcc, exec, s[2:3]
	v_pk_mov_b32 v[16:17], s[0:1], s[0:1] op_sel:[0,1]
	v_pk_mov_b32 v[24:25], s[0:1], s[0:1] op_sel:[0,1]
	;; [unrolled: 1-line block ×16, first 2 shown]
	s_cbranch_vccnz .LBB127_17
; %bb.4:
	s_load_dwordx4 s[0:3], s[4:5], 0x0
	s_ashr_i32 s4, s14, 31
	s_lshr_b32 s4, s4, 24
	s_add_i32 s14, s14, s4
	s_ashr_i32 s5, s9, 31
	s_ashr_i32 s4, s14, 8
	s_lshr_b32 s5, s5, 27
	s_add_i32 s5, s9, s5
	s_mul_i32 s7, s4, s6
	s_ashr_i32 s16, s5, 5
	s_mul_hi_i32 s9, s7, 0x54
	s_mulk_i32 s7, 0x54
	s_waitcnt lgkmcnt(0)
	s_add_u32 s7, s0, s7
	s_addc_u32 s9, s1, s9
	s_lshl_b32 s14, s4, 3
	v_and_b32_e32 v41, 0x3ff, v0
	v_mov_b32_e32 v0, s14
	v_mad_i32_i24 v46, s4, v43, v0
	v_add_u32_e32 v48, s14, v46
	v_add_u32_e32 v50, s14, v48
	;; [unrolled: 1-line block ×9, first 2 shown]
	v_lshlrev_b32_e32 v85, 4, v43
	v_lshrrev_b32_e32 v0, 1, v41
	v_add_u32_e32 v68, s14, v66
	v_and_b32_e32 v82, 1, v41
	v_add_u32_e32 v0, v0, v85
	v_add_u32_e32 v70, s14, v68
	v_and_b32_e32 v1, 0x7f, v0
	v_lshlrev_b32_e32 v3, 2, v82
	v_lshrrev_b32_e32 v0, 2, v0
	v_add_u32_e32 v72, s14, v70
	v_mul_i32_i24_e32 v84, s4, v1
	v_lshl_or_b32 v1, v1, 3, v3
	v_and_b32_e32 v0, 28, v0
	s_movk_i32 s17, 0x7280
	v_lshrrev_b32_e32 v91, 3, v41
	v_add_u32_e32 v74, s14, v72
	v_add3_u32 v87, v1, v0, s17
	v_lshl_add_u32 v0, v43, 2, v91
	v_and_b32_e32 v1, 7, v41
	v_add_u32_e32 v76, s14, v74
	v_cmp_lt_u32_e32 vcc, 3, v1
	v_and_b32_e32 v3, 0x7fc, v0
	v_lshlrev_b32_e32 v1, 2, v1
	s_movk_i32 s14, 0x6200
	s_lshl_b32 s15, s4, 5
	v_lshlrev_b32_e32 v2, 2, v41
	s_movk_i32 s1, 0x84
	v_add3_u32 v4, v3, v1, s14
	v_add_u32_e32 v3, 32, v0
	v_mov_b32_e32 v6, s15
	v_and_b32_e32 v42, 60, v2
	v_mad_u32_u24 v47, v43, s1, v2
	v_and_b32_e32 v90, 12, v2
	v_mul_i32_i24_e32 v92, s4, v0
	v_lshlrev_b32_e32 v5, 5, v0
	v_mad_i32_i24 v94, s4, v0, v6
	v_and_b32_e32 v6, 0xffc, v3
	v_lshlrev_b32_e32 v7, 5, v3
	v_add_u32_e32 v3, 64, v0
	v_add_u32_e32 v0, 0x60, v0
	v_and_b32_e32 v2, 28, v2
	v_cndmask_b32_e64 v86, 0, 1, vcc
	v_and_b32_e32 v8, 0xffc, v3
	v_lshlrev_b32_e32 v9, 5, v3
	v_and_b32_e32 v3, 0xffc, v0
	v_add_co_u32_e32 v100, vcc, s2, v2
	v_lshrrev_b32_e32 v2, 2, v41
	v_add3_u32 v10, v3, v1, s14
	v_mov_b32_e32 v3, s3
	v_lshl_add_u32 v2, v43, 3, v2
	v_addc_co_u32_e32 v101, vcc, 0, v3, vcc
	v_and_b32_e32 v3, 63, v2
	v_add3_u32 v6, v6, v1, s14
	v_add3_u32 v8, v8, v1, s14
	s_add_i32 s14, s8, -1
	v_or_b32_e32 v13, s11, v3
	v_add_u32_e32 v96, s15, v94
	v_and_b32_e32 v2, 3, v41
	v_min_i32_e32 v13, s14, v13
	v_add_u32_e32 v98, s15, v96
	v_lshlrev_b32_e32 v11, 5, v0
	v_cvt_f64_i32_e32 v[0:1], s14
	v_mad_u64_u32 v[102:103], s[14:15], v13, s16, v[2:3]
	v_lshlrev_b32_e32 v2, 2, v2
	v_add_u32_e32 v45, s11, v43
	v_lshl_or_b32 v2, v3, 4, v2
	v_add_u32_e32 v93, 0x76a0, v2
	v_cvt_f64_u32_e32 v[2:3], v45
	v_min_f64 v[2:3], v[2:3], v[0:1]
	v_cvt_i32_f64_e32 v2, v[2:3]
	v_mul_lo_u32 v95, s16, v2
	v_add_u32_e32 v2, 8, v45
	v_cvt_f64_u32_e32 v[2:3], v2
	v_min_f64 v[2:3], v[2:3], v[0:1]
	v_cvt_i32_f64_e32 v2, v[2:3]
	v_mul_lo_u32 v103, s16, v2
	;; [unrolled: 5-line block ×7, first 2 shown]
	v_add_u32_e32 v2, 56, v45
	v_cvt_f64_u32_e32 v[2:3], v2
	v_min_f64 v[0:1], v[2:3], v[0:1]
	v_lshrrev_b32_e32 v40, 4, v41
	v_cvt_i32_f64_e32 v0, v[0:1]
	v_mul_lo_u32 v131, s16, v0
	v_lshlrev_b32_e32 v0, 3, v41
	v_lshlrev_b32_e32 v15, 2, v40
	v_add_u32_e32 v1, 32, v41
	v_add3_u32 v134, v15, v0, s17
	v_mov_b32_e32 v0, 0x1080
	v_mad_u32_u24 v135, v41, s1, v0
	v_lshrrev_b32_e32 v0, 2, v1
	v_lshlrev_b32_e32 v2, 3, v1
	v_and_b32_e32 v0, 0x7c, v0
	v_and_b32_e32 v12, 31, v41
	v_lshlrev_b32_e32 v97, 7, v43
	v_add_u32_e32 v3, 64, v41
	v_add3_u32 v136, v2, v0, s17
	v_mov_b32_e32 v0, 0x2100
	v_lshl_or_b32 v12, v12, 2, v97
	v_mad_u32_u24 v137, v41, s1, v0
	v_lshrrev_b32_e32 v0, 2, v3
	v_add_u32_e32 v99, 0x4200, v12
	v_add_u32_e32 v105, 0x4600, v12
	v_add_u32_e32 v109, 0x4a00, v12
	v_add_u32_e32 v124, 0x4e00, v12
	v_add_u32_e32 v126, 0x5200, v12
	v_add_u32_e32 v128, 0x5600, v12
	v_add_u32_e32 v130, 0x5a00, v12
	v_add_u32_e32 v132, 0x5e00, v12
	v_lshlrev_b32_e32 v12, 3, v3
	v_and_b32_e32 v0, 0x7c, v0
	s_mov_b32 s0, 0
	v_add_u32_e32 v13, 0x60, v41
	v_add3_u32 v138, v12, v0, s17
	v_mov_b32_e32 v0, 0x3180
	v_mad_u32_u24 v139, v41, s1, v0
	v_lshrrev_b32_e32 v0, 2, v13
	s_mov_b32 s1, s0
	v_lshlrev_b32_e32 v14, 3, v13
	v_and_b32_e32 v0, 0x7c, v0
	v_and_b32_e32 v144, 0x1fc, v13
	v_lshlrev_b32_e32 v146, 5, v41
	v_and_b32_e32 v147, 0x1fc, v3
	v_and_b32_e32 v149, 0x1fc, v1
	;; [unrolled: 1-line block ×3, first 2 shown]
	v_pk_mov_b32 v[78:79], s[0:1], s[0:1] op_sel:[0,1]
	s_movk_i32 s5, 0x54
	v_mul_i32_i24_e32 v44, s4, v43
	v_add_u32_e32 v49, 0x420, v47
	v_add_u32_e32 v51, 0x840, v47
	;; [unrolled: 1-line block ×15, first 2 shown]
	v_mul_u32_u24_e32 v133, 0x84, v41
	v_add3_u32 v140, v14, v0, s17
	v_lshrrev_b32_e32 v141, 3, v1
	v_lshrrev_b32_e32 v142, 3, v3
	;; [unrolled: 1-line block ×3, first 2 shown]
	v_or_b32_e32 v145, 0x4200, v144
	v_or_b32_e32 v148, 0x4200, v147
	;; [unrolled: 1-line block ×4, first 2 shown]
	v_add_u32_e32 v153, 0x6e08, v144
	v_add_u32_e32 v154, 0x6a08, v147
	v_add_u32_e32 v155, 0x6608, v149
	v_add_u32_e32 v156, 0x6208, v151
	v_add_u32_e32 v157, 0x76a0, v85
	v_add_u32_e32 v158, 0x4200, v97
	v_add_u32_e32 v159, v146, v144
	v_add_u32_e32 v160, v146, v147
	v_add_u32_e32 v161, v146, v149
	v_add_u32_e32 v162, v146, v151
	v_add_u32_e32 v163, v4, v5
	v_add_u32_e32 v164, v6, v7
	v_add_u32_e32 v165, v8, v9
	v_add_u32_e32 v166, v10, v11
	s_mov_b32 s1, 0x1010101
	v_mov_b32_e32 v167, 4
	v_mov_b32_e32 v168, 15
	v_pk_mov_b32 v[38:39], v[78:79], v[78:79] op_sel:[0,1]
	v_pk_mov_b32 v[30:31], v[78:79], v[78:79] op_sel:[0,1]
	;; [unrolled: 1-line block ×15, first 2 shown]
	s_branch .LBB127_6
.LBB127_5:                              ;   in Loop: Header=BB127_6 Depth=1
	s_add_i32 s0, s0, 2
	s_cmp_ge_i32 s0, s4
	s_cbranch_scc1 .LBB127_16
.LBB127_6:                              ; =>This Loop Header: Depth=1
                                        ;     Child Loop BB127_7 Depth 2
                                        ;     Child Loop BB127_9 Depth 2
	;; [unrolled: 1-line block ×4, first 2 shown]
	s_mul_i32 s14, s0, 0x54
	s_mul_hi_u32 s15, s0, 0x54
	s_add_u32 s14, s7, s14
	s_addc_u32 s15, s9, s15
	v_pk_mov_b32 v[0:1], s[14:15], s[14:15] op_sel:[0,1]
	v_mad_u64_u32 v[2:3], s[14:15], v40, s5, v[0:1]
	v_add_co_u32_e32 v2, vcc, v2, v42
	v_addc_co_u32_e32 v3, vcc, 0, v3, vcc
	v_add_co_u32_e32 v2, vcc, 16, v2
	v_addc_co_u32_e32 v3, vcc, 0, v3, vcc
	v_mad_u64_u32 v[4:5], s[14:15], v44, s5, v[2:3]
	v_mad_u64_u32 v[6:7], s[14:15], v46, s5, v[2:3]
	;; [unrolled: 1-line block ×8, first 2 shown]
	global_load_dword v104, v[4:5], off
	global_load_dword v106, v[6:7], off
	;; [unrolled: 1-line block ×8, first 2 shown]
	v_mad_u64_u32 v[4:5], s[14:15], v60, s5, v[2:3]
	v_mad_u64_u32 v[6:7], s[14:15], v62, s5, v[2:3]
	;; [unrolled: 1-line block ×8, first 2 shown]
	global_load_dword v120, v[4:5], off
	global_load_dword v121, v[6:7], off
	;; [unrolled: 1-line block ×8, first 2 shown]
	v_mad_u64_u32 v[2:3], s[14:15], v84, s5, v[0:1]
	v_mad_u64_u32 v[0:1], s[14:15], v86, s5, v[0:1]
	v_add_co_u32_e32 v0, vcc, v0, v90
	v_addc_co_u32_e32 v1, vcc, 0, v1, vcc
	v_mad_u64_u32 v[2:3], s[14:15], v82, s5, v[2:3]
	v_mad_u64_u32 v[4:5], s[14:15], v92, s5, v[0:1]
	;; [unrolled: 1-line block ×5, first 2 shown]
	s_lshl_b32 s14, s0, 3
	v_add_u32_e32 v112, s14, v91
	global_load_dword v173, v[2:3], off offset:80
	global_load_dword v174, v[4:5], off
	global_load_dword v175, v[6:7], off
	s_nop 0
	global_load_dword v8, v[8:9], off
	s_nop 0
	global_load_dword v176, v[0:1], off
	v_add_u32_e32 v0, v112, v95
	v_add_u32_e32 v2, v112, v103
	;; [unrolled: 1-line block ×6, first 2 shown]
	v_mad_i64_i32 v[0:1], s[16:17], v0, 36, v[100:101]
	v_mad_i64_i32 v[2:3], s[16:17], v2, 36, v[100:101]
	;; [unrolled: 1-line block ×5, first 2 shown]
	v_add_u32_e32 v12, v112, v127
	v_add_u32_e32 v14, v112, v129
	;; [unrolled: 1-line block ×3, first 2 shown]
	v_mad_i64_i32 v[12:13], s[16:17], v12, 36, v[100:101]
	v_mad_i64_i32 v[14:15], s[16:17], v14, 36, v[100:101]
	;; [unrolled: 1-line block ×3, first 2 shown]
	v_mad_u64_u32 v[114:115], s[16:17], v9, 36, s[2:3]
	global_load_dword v0, v[0:1], off offset:4
	s_nop 0
	global_load_dword v1, v[2:3], off offset:4
	s_nop 0
	global_load_dword v2, v[4:5], off offset:4
	global_load_dword v3, v[6:7], off offset:4
	s_nop 0
	global_load_dword v4, v[10:11], off offset:4
	global_load_dword v5, v[114:115], off
	global_load_dword v6, v[12:13], off offset:4
	global_load_dword v7, v[14:15], off offset:4
	s_nop 0
	global_load_dword v10, v[112:113], off offset:4
	s_waitcnt vmcnt(29)
	ds_write_b32 v47, v104
	s_waitcnt vmcnt(28)
	ds_write_b32 v49, v106
	;; [unrolled: 2-line block ×26, first 2 shown]
	s_waitcnt vmcnt(3)
	v_cvt_f32_f16_e32 v0, v5
	s_mov_b32 s17, -2
	v_mov_b32_e32 v11, v97
	v_mov_b32_e32 v13, v85
	s_mov_b32 s15, 0
	s_waitcnt vmcnt(2)
	ds_write_b32 v128, v6
	s_waitcnt vmcnt(1)
	ds_write_b32 v130, v7
	;; [unrolled: 2-line block ×3, first 2 shown]
	ds_write_b32 v93, v0
	s_waitcnt lgkmcnt(0)
	s_barrier
.LBB127_7:                              ;   Parent Loop BB127_6 Depth=1
                                        ; =>  This Inner Loop Header: Depth=2
	s_and_b32 s16, s15, -16
	v_add_u32_e32 v104, s16, v146
	s_add_i32 s16, s17, 2
	s_and_b32 s18, s16, 0x3ffffff8
	s_lshl_b32 s18, s18, 2
	v_add_u32_e32 v0, 0x7400, v13
	v_add_u32_e32 v8, s18, v133
	ds_read2_b32 v[112:113], v0 offset0:168 offset1:200
	ds_read_b128 v[4:7], v11 offset:16896
	ds_read_b128 v[0:3], v11 offset:16912
	ds_read2_b32 v[14:15], v8 offset1:1
	ds_read2_b32 v[114:115], v8 offset0:4 offset1:5
	s_lshr_b32 s19, s16, 2
	s_and_b32 s19, s19, 0x3ffffffc
	v_mov_b32_e32 v116, 0
	s_waitcnt lgkmcnt(1)
	v_ashrrev_i32_e32 v10, s16, v14
	v_and_b32_e32 v173, 0x3030303, v10
	v_ashrrev_i32_e32 v10, s16, v15
	ds_read2_b32 v[14:15], v8 offset0:2 offset1:3
	v_and_b32_e32 v170, 0x3030303, v10
	v_mov_b32_e32 v216, 0
	v_mov_b32_e32 v217, 0
	;; [unrolled: 1-line block ×3, first 2 shown]
	s_waitcnt lgkmcnt(0)
	v_ashrrev_i32_e32 v10, s16, v14
	v_and_b32_e32 v171, 0x3030303, v10
	v_ashrrev_i32_e32 v10, s16, v15
	v_and_b32_e32 v172, 0x3030303, v10
	;; [unrolled: 2-line block ×3, first 2 shown]
	v_ashrrev_i32_e32 v10, s16, v115
	ds_read2_b32 v[114:115], v8 offset0:6 offset1:7
	v_and_b32_e32 v122, 0x3030303, v10
	v_add_u32_e32 v10, s19, v134
	v_mov_b32_e32 v218, 0
	v_mov_b32_e32 v219, 0
	s_waitcnt lgkmcnt(0)
	v_ashrrev_i32_e32 v8, s16, v114
	v_and_b32_e32 v123, 0x3030303, v8
	v_ashrrev_i32_e32 v8, s16, v115
	v_and_b32_e32 v169, 0x3030303, v8
	v_add3_u32 v8, v152, s17, v104
	ds_read_b32 v10, v10
	ds_read_u16 v12, v8 offset:8194
	s_add_i32 s15, s15, 2
	s_cmp_lt_u32 s16, 6
	s_waitcnt lgkmcnt(0)
	v_bfe_u32 v8, v12, 4, 4
	v_mul_lo_u32 v174, v8, s1
	v_mov_b32_e32 v8, 0
	v_and_b32_e32 v189, 15, v12
	v_lshrrev_b32_sdwa v14, v167, v12 dst_sel:DWORD dst_unused:UNUSED_PAD src0_sel:DWORD src1_sel:BYTE_1
	v_and_b32_sdwa v190, v12, v168 dst_sel:DWORD dst_unused:UNUSED_PAD src0_sel:BYTE_1 src1_sel:DWORD
	v_add_u32_e32 v12, s18, v135
	v_dot4c_i32_i8_e32 v8, v173, v4
	v_mul_lo_u32 v187, v14, s1
	v_mov_b32_e32 v14, 0
	ds_read2_b32 v[118:119], v12 offset1:1
	v_dot4c_i32_i8_e32 v8, v170, v5
	v_dot4c_i32_i8_e32 v14, v15, v0
	;; [unrolled: 1-line block ×8, first 2 shown]
	v_mul_lo_u32 v8, v189, v8
	v_dot4c_i32_i8_e32 v116, v174, v5
	v_mad_u64_u32 v[114:115], s[20:21], v190, v14, v[8:9]
	s_waitcnt lgkmcnt(0)
	v_ashrrev_i32_e32 v14, s16, v118
	v_and_b32_e32 v186, 0x3030303, v14
	v_ashrrev_i32_e32 v14, s16, v119
	ds_read2_b32 v[118:119], v12 offset0:2 offset1:3
	v_and_b32_e32 v183, 0x3030303, v14
	v_cvt_f32_i32_e32 v115, v114
	v_dot4c_i32_i8_e32 v116, v174, v6
	v_dot4c_i32_i8_e32 v116, v174, v7
	s_waitcnt lgkmcnt(0)
	v_ashrrev_i32_e32 v14, s16, v118
	v_and_b32_e32 v184, 0x3030303, v14
	v_ashrrev_i32_e32 v14, s16, v119
	ds_read2_b32 v[118:119], v12 offset0:4 offset1:5
	v_and_b32_e32 v185, 0x3030303, v14
	v_dot4c_i32_i8_e32 v116, v187, v0
	v_dot4c_i32_i8_e32 v116, v187, v1
	;; [unrolled: 1-line block ×3, first 2 shown]
	s_waitcnt lgkmcnt(0)
	v_ashrrev_i32_e32 v14, s16, v118
	v_and_b32_e32 v175, 0x3030303, v14
	v_ashrrev_i32_e32 v14, s16, v119
	ds_read2_b32 v[118:119], v12 offset0:6 offset1:7
	v_and_b32_e32 v176, 0x3030303, v14
	v_add_u32_e32 v14, s19, v136
	v_dot4c_i32_i8_e32 v116, v187, v3
	v_cvt_f32_f16_e32 v8, v10
	s_waitcnt lgkmcnt(0)
	v_ashrrev_i32_e32 v12, s16, v118
	v_and_b32_e32 v177, 0x3030303, v12
	v_ashrrev_i32_e32 v12, s16, v119
	v_and_b32_e32 v178, 0x3030303, v12
	v_add3_u32 v12, v150, s17, v104
	ds_read_b32 v14, v14
	ds_read_u16 v106, v12 offset:9218
	v_mov_b32_e32 v118, 0
	v_cvt_f32_f16_sdwa v10, v10 dst_sel:DWORD dst_unused:UNUSED_PAD src0_sel:WORD_1
	s_waitcnt lgkmcnt(0)
	v_bfe_u32 v12, v106, 4, 4
	v_mul_lo_u32 v188, v12, s1
	v_mov_b32_e32 v12, 0
	v_lshrrev_b32_sdwa v108, v167, v106 dst_sel:DWORD dst_unused:UNUSED_PAD src0_sel:DWORD src1_sel:BYTE_1
	v_dot4c_i32_i8_e32 v12, v186, v4
	v_mul_lo_u32 v199, v108, s1
	v_mov_b32_e32 v108, 0
	v_dot4c_i32_i8_e32 v12, v183, v5
	v_dot4c_i32_i8_e32 v108, v175, v0
	;; [unrolled: 1-line block ×5, first 2 shown]
	v_and_b32_e32 v202, 15, v106
	v_dot4c_i32_i8_e32 v108, v177, v2
	v_dot4c_i32_i8_e32 v108, v178, v3
	v_mul_lo_u32 v12, v202, v12
	v_and_b32_sdwa v203, v106, v168 dst_sel:DWORD dst_unused:UNUSED_PAD src0_sel:BYTE_1 src1_sel:DWORD
	v_add_u32_e32 v106, s18, v137
	v_mad_u64_u32 v[120:121], s[20:21], v203, v108, v[12:13]
	v_cvt_f32_i32_e32 v117, v120
	ds_read2_b32 v[120:121], v106 offset1:1
	v_dot4c_i32_i8_e32 v118, v188, v4
	v_dot4c_i32_i8_e32 v118, v188, v5
	;; [unrolled: 1-line block ×4, first 2 shown]
	s_waitcnt lgkmcnt(0)
	v_ashrrev_i32_e32 v108, s16, v120
	v_and_b32_e32 v198, 0x3030303, v108
	v_ashrrev_i32_e32 v108, s16, v121
	ds_read2_b32 v[120:121], v106 offset0:2 offset1:3
	v_and_b32_e32 v195, 0x3030303, v108
	v_dot4c_i32_i8_e32 v118, v199, v0
	v_dot4c_i32_i8_e32 v118, v199, v1
	;; [unrolled: 1-line block ×3, first 2 shown]
	s_waitcnt lgkmcnt(0)
	v_ashrrev_i32_e32 v108, s16, v120
	v_and_b32_e32 v196, 0x3030303, v108
	v_ashrrev_i32_e32 v108, s16, v121
	ds_read2_b32 v[120:121], v106 offset0:4 offset1:5
	v_and_b32_e32 v197, 0x3030303, v108
	v_dot4c_i32_i8_e32 v118, v199, v3
	v_cvt_f32_f16_e32 v12, v14
	v_cvt_f32_f16_sdwa v14, v14 dst_sel:DWORD dst_unused:UNUSED_PAD src0_sel:WORD_1
	s_waitcnt lgkmcnt(0)
	v_ashrrev_i32_e32 v108, s16, v120
	v_and_b32_e32 v191, 0x3030303, v108
	v_ashrrev_i32_e32 v108, s16, v121
	ds_read2_b32 v[120:121], v106 offset0:6 offset1:7
	v_and_b32_e32 v192, 0x3030303, v108
	v_add_u32_e32 v108, s19, v138
	s_waitcnt lgkmcnt(0)
	v_ashrrev_i32_e32 v106, s16, v120
	v_and_b32_e32 v193, 0x3030303, v106
	v_ashrrev_i32_e32 v106, s16, v121
	v_and_b32_e32 v194, 0x3030303, v106
	v_add3_u32 v106, v148, s17, v104
	ds_read_b32 v110, v108
	ds_read_u16 v108, v106 offset:10242
	v_add3_u32 v104, v145, s17, v104
	s_mov_b32 s17, s16
	s_waitcnt lgkmcnt(0)
	v_bfe_u32 v106, v108, 4, 4
	v_mul_lo_u32 v201, v106, s1
	v_mov_b32_e32 v106, 0
	v_lshrrev_b32_sdwa v114, v167, v108 dst_sel:DWORD dst_unused:UNUSED_PAD src0_sel:DWORD src1_sel:BYTE_1
	v_dot4c_i32_i8_e32 v106, v198, v4
	v_mul_lo_u32 v209, v114, s1
	v_mov_b32_e32 v114, 0
	v_dot4c_i32_i8_e32 v106, v195, v5
	v_dot4c_i32_i8_e32 v114, v191, v0
	v_dot4c_i32_i8_e32 v106, v196, v6
	v_dot4c_i32_i8_e32 v114, v192, v1
	v_dot4c_i32_i8_e32 v106, v197, v7
	v_and_b32_e32 v211, 15, v108
	v_dot4c_i32_i8_e32 v114, v193, v2
	v_dot4c_i32_i8_e32 v114, v194, v3
	v_mul_lo_u32 v106, v211, v106
	v_and_b32_sdwa v212, v108, v168 dst_sel:DWORD dst_unused:UNUSED_PAD src0_sel:BYTE_1 src1_sel:DWORD
	v_dot4c_i32_i8_e32 v216, v201, v4
	v_mad_u64_u32 v[120:121], s[20:21], v212, v114, v[106:107]
	v_add_u32_e32 v106, s18, v139
	v_cvt_f32_i32_e32 v119, v120
	ds_read2_b32 v[120:121], v106 offset1:1
	v_dot4c_i32_i8_e32 v216, v201, v5
	v_dot4c_i32_i8_e32 v216, v201, v6
	;; [unrolled: 1-line block ×4, first 2 shown]
	s_waitcnt lgkmcnt(0)
	v_ashrrev_i32_e32 v114, s16, v120
	v_and_b32_e32 v208, 0x3030303, v114
	v_ashrrev_i32_e32 v114, s16, v121
	ds_read2_b32 v[120:121], v106 offset0:2 offset1:3
	v_and_b32_e32 v205, 0x3030303, v114
	v_dot4c_i32_i8_e32 v216, v209, v1
	v_dot4c_i32_i8_e32 v216, v209, v2
	;; [unrolled: 1-line block ×3, first 2 shown]
	s_waitcnt lgkmcnt(0)
	v_ashrrev_i32_e32 v114, s16, v120
	v_and_b32_e32 v206, 0x3030303, v114
	v_ashrrev_i32_e32 v114, s16, v121
	ds_read2_b32 v[120:121], v106 offset0:4 offset1:5
	v_and_b32_e32 v207, 0x3030303, v114
	v_cvt_f32_f16_e32 v108, v110
	v_cvt_f32_f16_sdwa v110, v110 dst_sel:DWORD dst_unused:UNUSED_PAD src0_sel:WORD_1
	s_waitcnt lgkmcnt(0)
	v_ashrrev_i32_e32 v114, s16, v120
	v_and_b32_e32 v179, 0x3030303, v114
	v_ashrrev_i32_e32 v114, s16, v121
	ds_read2_b32 v[120:121], v106 offset0:6 offset1:7
	v_and_b32_e32 v180, 0x3030303, v114
	s_waitcnt lgkmcnt(0)
	v_ashrrev_i32_e32 v106, s16, v120
	v_and_b32_e32 v181, 0x3030303, v106
	v_ashrrev_i32_e32 v106, s16, v121
	v_and_b32_e32 v182, 0x3030303, v106
	v_add_u32_e32 v106, s19, v140
	ds_read_b32 v106, v106
	ds_read_u16 v104, v104 offset:11266
	v_mov_b32_e32 v120, 0
	s_waitcnt lgkmcnt(0)
	v_bfe_u32 v114, v104, 4, 4
	v_mul_lo_u32 v210, v114, s1
	v_mov_b32_e32 v114, 0
	v_dot4c_i32_i8_e32 v114, v208, v4
	v_dot4c_i32_i8_e32 v217, v210, v4
	;; [unrolled: 1-line block ×4, first 2 shown]
	v_lshrrev_b32_sdwa v5, v167, v104 dst_sel:DWORD dst_unused:UNUSED_PAD src0_sel:DWORD src1_sel:BYTE_1
	v_mul_lo_u32 v200, v5, s1
	v_mov_b32_e32 v5, 0
	v_dot4c_i32_i8_e32 v217, v210, v6
	v_dot4c_i32_i8_e32 v5, v179, v0
	;; [unrolled: 1-line block ×6, first 2 shown]
	v_and_b32_e32 v213, 15, v104
	v_dot4c_i32_i8_e32 v217, v200, v0
	v_dot4c_i32_i8_e32 v5, v181, v2
	v_mul_lo_u32 v4, v213, v114
	v_dot4c_i32_i8_e32 v217, v200, v1
	v_dot4c_i32_i8_e32 v5, v182, v3
	v_and_b32_sdwa v204, v104, v168 dst_sel:DWORD dst_unused:UNUSED_PAD src0_sel:BYTE_1 src1_sel:DWORD
	v_dot4c_i32_i8_e32 v217, v200, v2
	v_dot4c_i32_i8_e32 v217, v200, v3
	v_mad_u64_u32 v[0:1], s[18:19], v204, v5, v[4:5]
	v_cvt_f32_i32_e32 v121, v0
	ds_read_b128 v[4:7], v11 offset:17920
	ds_read_b128 v[0:3], v11 offset:17936
	v_mov_b32_e32 v114, 0
	v_cvt_f32_f16_e32 v104, v106
	v_cvt_f32_f16_sdwa v106, v106 dst_sel:DWORD dst_unused:UNUSED_PAD src0_sel:WORD_1
	s_waitcnt lgkmcnt(1)
	v_dot4c_i32_i8_e32 v120, v174, v4
	v_dot4c_i32_i8_e32 v120, v174, v5
	v_dot4c_i32_i8_e32 v114, v173, v4
	v_dot4c_i32_i8_e32 v120, v174, v6
	v_dot4c_i32_i8_e32 v114, v170, v5
	v_dot4c_i32_i8_e32 v120, v174, v7
	s_waitcnt lgkmcnt(0)
	v_dot4c_i32_i8_e32 v214, v15, v0
	v_dot4c_i32_i8_e32 v114, v171, v6
	;; [unrolled: 1-line block ×8, first 2 shown]
	v_mul_lo_u32 v114, v114, v189
	v_dot4c_i32_i8_e32 v214, v169, v3
	v_dot4c_i32_i8_e32 v120, v187, v3
	s_nop 1
	v_mad_u64_u32 v[214:215], s[18:19], v214, v190, v[114:115]
	v_cvt_f32_i32_e32 v114, v214
	v_cvt_f32_i32_e32 v215, v116
	;; [unrolled: 1-line block ×3, first 2 shown]
	v_mov_b32_e32 v120, 0
	v_dot4c_i32_i8_e32 v120, v188, v4
	v_dot4c_i32_i8_e32 v120, v188, v5
	v_pk_mul_f32 v[214:215], v[10:11], v[214:215] op_sel_hi:[0,1]
	v_pk_fma_f32 v[214:215], v[8:9], v[114:115], v[214:215] op_sel_hi:[0,1,1] neg_lo:[0,0,1] neg_hi:[0,0,1]
	v_mov_b32_e32 v115, v112
	v_mov_b32_e32 v112, 0
	;; [unrolled: 1-line block ×3, first 2 shown]
	v_dot4c_i32_i8_e32 v112, v186, v4
	v_dot4c_i32_i8_e32 v120, v188, v6
	v_mov_b32_e32 v113, 0
	v_dot4c_i32_i8_e32 v112, v183, v5
	v_dot4c_i32_i8_e32 v120, v188, v7
	;; [unrolled: 1-line block ×10, first 2 shown]
	v_mul_lo_u32 v112, v112, v202
	v_dot4c_i32_i8_e32 v113, v178, v3
	v_dot4c_i32_i8_e32 v120, v199, v3
	v_pk_fma_f32 v[78:79], v[114:115], v[214:215], v[78:79]
	s_nop 0
	v_mad_u64_u32 v[112:113], s[18:19], v113, v203, v[112:113]
	v_cvt_f32_i32_e32 v116, v112
	v_cvt_f32_i32_e32 v113, v118
	;; [unrolled: 1-line block ×3, first 2 shown]
	v_pk_mul_f32 v[112:113], v[14:15], v[112:113] op_sel_hi:[0,1]
	v_pk_fma_f32 v[112:113], v[12:13], v[116:117], v[112:113] op_sel_hi:[0,1,1] neg_lo:[0,0,1] neg_hi:[0,0,1]
	v_mov_b32_e32 v116, 0
	v_dot4c_i32_i8_e32 v116, v201, v4
	v_pk_fma_f32 v[88:89], v[114:115], v[112:113], v[88:89]
	v_mov_b32_e32 v112, 0
	v_dot4c_i32_i8_e32 v116, v201, v5
	v_dot4c_i32_i8_e32 v112, v198, v4
	;; [unrolled: 1-line block ×3, first 2 shown]
	v_mov_b32_e32 v113, 0
	v_dot4c_i32_i8_e32 v112, v195, v5
	v_dot4c_i32_i8_e32 v116, v201, v7
	v_dot4c_i32_i8_e32 v113, v191, v0
	v_dot4c_i32_i8_e32 v112, v196, v6
	v_dot4c_i32_i8_e32 v116, v209, v0
	v_dot4c_i32_i8_e32 v113, v192, v1
	v_dot4c_i32_i8_e32 v112, v197, v7
	v_dot4c_i32_i8_e32 v116, v209, v1
	v_dot4c_i32_i8_e32 v113, v193, v2
	v_dot4c_i32_i8_e32 v116, v209, v2
	v_mul_lo_u32 v112, v112, v211
	v_dot4c_i32_i8_e32 v113, v194, v3
	v_dot4c_i32_i8_e32 v116, v209, v3
	v_mov_b32_e32 v117, 0
	s_nop 0
	v_mad_u64_u32 v[112:113], s[18:19], v113, v212, v[112:113]
	v_cvt_f32_i32_e32 v118, v112
	v_cvt_f32_i32_e32 v113, v216
	;; [unrolled: 1-line block ×3, first 2 shown]
	v_mov_b32_e32 v216, 0
	v_pk_mul_f32 v[112:113], v[110:111], v[112:113] op_sel_hi:[0,1]
	v_pk_fma_f32 v[112:113], v[108:109], v[118:119], v[112:113] op_sel_hi:[0,1,1] neg_lo:[0,0,1] neg_hi:[0,0,1]
	v_pk_fma_f32 v[80:81], v[114:115], v[112:113], v[80:81]
	v_mov_b32_e32 v113, 0
	v_mov_b32_e32 v112, 0
	v_dot4c_i32_i8_e32 v113, v210, v4
	v_dot4c_i32_i8_e32 v112, v208, v4
	;; [unrolled: 1-line block ×5, first 2 shown]
	v_mov_b32_e32 v5, 0
	v_dot4c_i32_i8_e32 v113, v210, v7
	v_dot4c_i32_i8_e32 v5, v179, v0
	v_dot4c_i32_i8_e32 v112, v206, v6
	v_dot4c_i32_i8_e32 v113, v200, v0
	v_dot4c_i32_i8_e32 v5, v180, v1
	v_dot4c_i32_i8_e32 v112, v207, v7
	v_dot4c_i32_i8_e32 v113, v200, v1
	v_dot4c_i32_i8_e32 v5, v181, v2
	v_dot4c_i32_i8_e32 v113, v200, v2
	v_mul_lo_u32 v4, v112, v213
	v_dot4c_i32_i8_e32 v5, v182, v3
	v_dot4c_i32_i8_e32 v113, v200, v3
	v_mov_b32_e32 v119, 0
	s_nop 0
	v_mad_u64_u32 v[0:1], s[18:19], v5, v204, v[4:5]
	v_cvt_f32_i32_e32 v120, v0
	v_cvt_f32_i32_e32 v1, v217
	;; [unrolled: 1-line block ×3, first 2 shown]
	v_mov_b32_e32 v217, 0
	v_pk_mul_f32 v[0:1], v[106:107], v[0:1] op_sel_hi:[0,1]
	v_pk_fma_f32 v[0:1], v[104:105], v[120:121], v[0:1] op_sel_hi:[0,1,1] neg_lo:[0,0,1] neg_hi:[0,0,1]
	v_pk_fma_f32 v[64:65], v[114:115], v[0:1], v[64:65]
	v_add_u32_e32 v0, 0x7600, v13
	ds_read2_b32 v[112:113], v0 offset0:104 offset1:136
	ds_read_b128 v[4:7], v11 offset:18944
	ds_read_b128 v[0:3], v11 offset:18960
	v_mov_b32_e32 v114, 0
	v_mov_b32_e32 v115, 0
	s_waitcnt lgkmcnt(1)
	v_dot4c_i32_i8_e32 v114, v173, v4
	v_dot4c_i32_i8_e32 v114, v170, v5
	s_waitcnt lgkmcnt(0)
	v_dot4c_i32_i8_e32 v115, v15, v0
	v_dot4c_i32_i8_e32 v114, v171, v6
	;; [unrolled: 1-line block ×7, first 2 shown]
	v_mul_lo_u32 v114, v114, v189
	v_dot4c_i32_i8_e32 v216, v188, v4
	v_mad_u64_u32 v[114:115], s[18:19], v115, v190, v[114:115]
	v_cvt_f32_i32_e32 v120, v114
	v_mov_b32_e32 v114, 0
	v_dot4c_i32_i8_e32 v114, v186, v4
	v_mov_b32_e32 v115, 0
	v_dot4c_i32_i8_e32 v114, v183, v5
	v_dot4c_i32_i8_e32 v115, v175, v0
	;; [unrolled: 1-line block ×8, first 2 shown]
	v_mul_lo_u32 v114, v114, v202
	v_dot4c_i32_i8_e32 v218, v210, v4
	v_mad_u64_u32 v[114:115], s[18:19], v115, v203, v[114:115]
	v_cvt_f32_i32_e32 v118, v114
	v_mov_b32_e32 v114, 0
	v_dot4c_i32_i8_e32 v114, v198, v4
	v_mov_b32_e32 v115, 0
	v_dot4c_i32_i8_e32 v114, v195, v5
	v_dot4c_i32_i8_e32 v115, v191, v0
	v_dot4c_i32_i8_e32 v114, v196, v6
	v_dot4c_i32_i8_e32 v115, v192, v1
	v_dot4c_i32_i8_e32 v114, v197, v7
	v_dot4c_i32_i8_e32 v115, v193, v2
	v_dot4c_i32_i8_e32 v115, v194, v3
	v_dot4c_i32_i8_e32 v117, v174, v5
	v_mul_lo_u32 v114, v114, v211
	v_dot4c_i32_i8_e32 v216, v188, v5
	v_mad_u64_u32 v[114:115], s[18:19], v115, v212, v[114:115]
	v_cvt_f32_i32_e32 v116, v114
	v_mov_b32_e32 v114, 0
	v_dot4c_i32_i8_e32 v114, v208, v4
	v_dot4c_i32_i8_e32 v217, v201, v5
	v_dot4c_i32_i8_e32 v114, v205, v5
	v_dot4c_i32_i8_e32 v218, v210, v5
	v_mov_b32_e32 v5, 0
	v_dot4c_i32_i8_e32 v117, v174, v6
	v_dot4c_i32_i8_e32 v216, v188, v6
	;; [unrolled: 1-line block ×20, first 2 shown]
	v_mul_lo_u32 v4, v114, v213
	v_dot4c_i32_i8_e32 v218, v200, v1
	v_dot4c_i32_i8_e32 v5, v182, v3
	;; [unrolled: 1-line block ×6, first 2 shown]
	v_mad_u64_u32 v[0:1], s[18:19], v5, v204, v[4:5]
	v_dot4c_i32_i8_e32 v117, v187, v3
	v_dot4c_i32_i8_e32 v216, v199, v3
	v_dot4c_i32_i8_e32 v217, v209, v3
	v_dot4c_i32_i8_e32 v218, v200, v3
	v_cvt_f32_i32_e32 v114, v0
	ds_read_b128 v[4:7], v11 offset:19968
	ds_read_b128 v[0:3], v11 offset:19984
	v_mov_b32_e32 v115, 0
	s_waitcnt lgkmcnt(1)
	v_dot4c_i32_i8_e32 v115, v173, v4
	v_dot4c_i32_i8_e32 v115, v170, v5
	;; [unrolled: 1-line block ×8, first 2 shown]
	s_waitcnt lgkmcnt(0)
	v_dot4c_i32_i8_e32 v119, v187, v0
	v_mul_lo_u32 v214, v115, v189
	v_mov_b32_e32 v115, 0
	v_dot4c_i32_i8_e32 v115, v15, v0
	v_dot4c_i32_i8_e32 v115, v122, v1
	;; [unrolled: 1-line block ×7, first 2 shown]
	s_nop 1
	v_mad_u64_u32 v[214:215], s[18:19], v115, v190, v[214:215]
	v_cvt_f32_i32_e32 v121, v214
	v_cvt_f32_i32_e32 v215, v119
	;; [unrolled: 1-line block ×3, first 2 shown]
	v_mov_b32_e32 v115, 0
	v_dot4c_i32_i8_e32 v115, v186, v4
	v_mov_b32_e32 v117, 0
	v_dot4c_i32_i8_e32 v115, v183, v5
	v_pk_mul_f32 v[214:215], v[10:11], v[214:215] op_sel_hi:[0,1]
	v_dot4c_i32_i8_e32 v117, v188, v4
	v_dot4c_i32_i8_e32 v115, v184, v6
	v_pk_fma_f32 v[120:121], v[8:9], v[120:121], v[214:215] op_sel_hi:[0,1,1] neg_lo:[0,0,1] neg_hi:[0,0,1]
	v_dot4c_i32_i8_e32 v117, v188, v5
	v_dot4c_i32_i8_e32 v115, v185, v7
	v_pk_fma_f32 v[38:39], v[112:113], v[120:121], v[38:39]
	v_dot4c_i32_i8_e32 v117, v188, v6
	v_dot4c_i32_i8_e32 v117, v188, v7
	v_mul_lo_u32 v120, v115, v202
	v_mov_b32_e32 v115, 0
	v_dot4c_i32_i8_e32 v115, v175, v0
	v_dot4c_i32_i8_e32 v117, v199, v0
	v_dot4c_i32_i8_e32 v115, v176, v1
	v_dot4c_i32_i8_e32 v117, v199, v1
	v_dot4c_i32_i8_e32 v115, v177, v2
	v_dot4c_i32_i8_e32 v117, v199, v2
	v_dot4c_i32_i8_e32 v115, v178, v3
	v_dot4c_i32_i8_e32 v117, v199, v3
	v_add_u32_e32 v214, 0x7800, v13
	v_mov_b32_e32 v215, 0
	v_mad_u64_u32 v[120:121], s[18:19], v115, v203, v[120:121]
	v_cvt_f32_i32_e32 v119, v120
	v_cvt_f32_i32_e32 v121, v117
	;; [unrolled: 1-line block ×3, first 2 shown]
	v_mov_b32_e32 v115, 0
	v_dot4c_i32_i8_e32 v115, v198, v4
	v_dot4c_i32_i8_e32 v115, v195, v5
	v_pk_mul_f32 v[120:121], v[14:15], v[120:121] op_sel_hi:[0,1]
	v_pk_fma_f32 v[118:119], v[12:13], v[118:119], v[120:121] op_sel_hi:[0,1,1] neg_lo:[0,0,1] neg_hi:[0,0,1]
	v_mov_b32_e32 v120, 0
	v_dot4c_i32_i8_e32 v120, v201, v4
	v_dot4c_i32_i8_e32 v115, v196, v6
	;; [unrolled: 1-line block ×4, first 2 shown]
	v_pk_fma_f32 v[36:37], v[112:113], v[118:119], v[36:37]
	v_dot4c_i32_i8_e32 v120, v201, v6
	v_dot4c_i32_i8_e32 v120, v201, v7
	v_mul_lo_u32 v118, v115, v211
	v_mov_b32_e32 v115, 0
	v_dot4c_i32_i8_e32 v115, v191, v0
	v_dot4c_i32_i8_e32 v120, v209, v0
	;; [unrolled: 1-line block ×8, first 2 shown]
	s_nop 1
	v_mad_u64_u32 v[118:119], s[18:19], v115, v212, v[118:119]
	v_cvt_f32_i32_e32 v117, v118
	v_cvt_f32_i32_e32 v119, v120
	;; [unrolled: 1-line block ×3, first 2 shown]
	v_mov_b32_e32 v115, 0
	v_dot4c_i32_i8_e32 v115, v208, v4
	v_dot4c_i32_i8_e32 v115, v205, v5
	v_pk_mul_f32 v[118:119], v[110:111], v[118:119] op_sel_hi:[0,1]
	v_pk_fma_f32 v[116:117], v[108:109], v[116:117], v[118:119] op_sel_hi:[0,1,1] neg_lo:[0,0,1] neg_hi:[0,0,1]
	v_pk_fma_f32 v[34:35], v[112:113], v[116:117], v[34:35]
	v_mov_b32_e32 v116, 0
	v_dot4c_i32_i8_e32 v116, v210, v4
	v_dot4c_i32_i8_e32 v116, v210, v5
	;; [unrolled: 1-line block ×3, first 2 shown]
	v_mov_b32_e32 v5, 0
	v_dot4c_i32_i8_e32 v116, v210, v7
	v_dot4c_i32_i8_e32 v5, v179, v0
	;; [unrolled: 1-line block ×9, first 2 shown]
	v_mul_lo_u32 v4, v115, v213
	v_dot4c_i32_i8_e32 v5, v182, v3
	v_dot4c_i32_i8_e32 v116, v200, v3
	v_mov_b32_e32 v117, 0
	v_mov_b32_e32 v119, 0
	v_mad_u64_u32 v[0:1], s[18:19], v5, v204, v[4:5]
	v_cvt_f32_i32_e32 v115, v0
	v_cvt_f32_i32_e32 v1, v116
	v_cvt_f32_i32_e32 v0, v218
	v_mov_b32_e32 v218, 0
	v_pk_mul_f32 v[0:1], v[106:107], v[0:1] op_sel_hi:[0,1]
	v_pk_fma_f32 v[0:1], v[104:105], v[114:115], v[0:1] op_sel_hi:[0,1,1] neg_lo:[0,0,1] neg_hi:[0,0,1]
	v_pk_fma_f32 v[32:33], v[112:113], v[0:1], v[32:33]
	ds_read2_b32 v[112:113], v214 offset0:40 offset1:72
	ds_read_b128 v[4:7], v11 offset:20992
	ds_read_b128 v[0:3], v11 offset:21008
	v_mov_b32_e32 v114, 0
	v_mov_b32_e32 v115, 0
	s_waitcnt lgkmcnt(1)
	v_dot4c_i32_i8_e32 v114, v173, v4
	v_dot4c_i32_i8_e32 v114, v170, v5
	s_waitcnt lgkmcnt(0)
	v_dot4c_i32_i8_e32 v115, v15, v0
	v_dot4c_i32_i8_e32 v114, v171, v6
	;; [unrolled: 1-line block ×7, first 2 shown]
	v_mul_lo_u32 v114, v114, v189
	v_dot4c_i32_i8_e32 v215, v188, v4
	v_mad_u64_u32 v[114:115], s[18:19], v115, v190, v[114:115]
	v_cvt_f32_i32_e32 v120, v114
	v_mov_b32_e32 v114, 0
	v_dot4c_i32_i8_e32 v114, v186, v4
	v_mov_b32_e32 v115, 0
	v_dot4c_i32_i8_e32 v114, v183, v5
	v_dot4c_i32_i8_e32 v115, v175, v0
	;; [unrolled: 1-line block ×8, first 2 shown]
	v_mul_lo_u32 v114, v114, v202
	v_dot4c_i32_i8_e32 v219, v210, v4
	v_mad_u64_u32 v[114:115], s[18:19], v115, v203, v[114:115]
	v_cvt_f32_i32_e32 v118, v114
	v_mov_b32_e32 v114, 0
	v_dot4c_i32_i8_e32 v114, v198, v4
	v_mov_b32_e32 v115, 0
	v_dot4c_i32_i8_e32 v114, v195, v5
	v_dot4c_i32_i8_e32 v115, v191, v0
	;; [unrolled: 1-line block ×8, first 2 shown]
	v_mul_lo_u32 v114, v114, v211
	v_dot4c_i32_i8_e32 v215, v188, v5
	v_mad_u64_u32 v[114:115], s[18:19], v115, v212, v[114:115]
	v_cvt_f32_i32_e32 v116, v114
	v_mov_b32_e32 v114, 0
	v_dot4c_i32_i8_e32 v114, v208, v4
	v_dot4c_i32_i8_e32 v218, v201, v5
	;; [unrolled: 1-line block ×4, first 2 shown]
	v_mov_b32_e32 v5, 0
	v_dot4c_i32_i8_e32 v117, v174, v6
	v_dot4c_i32_i8_e32 v215, v188, v6
	;; [unrolled: 1-line block ×20, first 2 shown]
	v_mul_lo_u32 v4, v114, v213
	v_dot4c_i32_i8_e32 v219, v200, v1
	v_dot4c_i32_i8_e32 v5, v182, v3
	;; [unrolled: 1-line block ×6, first 2 shown]
	v_mad_u64_u32 v[0:1], s[18:19], v5, v204, v[4:5]
	v_dot4c_i32_i8_e32 v117, v187, v3
	v_dot4c_i32_i8_e32 v215, v199, v3
	;; [unrolled: 1-line block ×4, first 2 shown]
	v_cvt_f32_i32_e32 v114, v0
	ds_read_b128 v[4:7], v11 offset:22016
	ds_read_b128 v[0:3], v11 offset:22032
	v_mov_b32_e32 v115, 0
	s_waitcnt lgkmcnt(1)
	v_dot4c_i32_i8_e32 v115, v173, v4
	v_dot4c_i32_i8_e32 v115, v170, v5
	;; [unrolled: 1-line block ×8, first 2 shown]
	s_waitcnt lgkmcnt(0)
	v_dot4c_i32_i8_e32 v119, v187, v0
	v_mul_lo_u32 v216, v115, v189
	v_mov_b32_e32 v115, 0
	v_dot4c_i32_i8_e32 v115, v15, v0
	v_dot4c_i32_i8_e32 v115, v122, v1
	v_dot4c_i32_i8_e32 v119, v187, v1
	v_dot4c_i32_i8_e32 v115, v123, v2
	v_dot4c_i32_i8_e32 v119, v187, v2
	v_dot4c_i32_i8_e32 v115, v169, v3
	v_dot4c_i32_i8_e32 v119, v187, v3
	s_nop 1
	v_mad_u64_u32 v[216:217], s[18:19], v115, v190, v[216:217]
	v_cvt_f32_i32_e32 v121, v216
	v_cvt_f32_i32_e32 v217, v119
	;; [unrolled: 1-line block ×3, first 2 shown]
	v_mov_b32_e32 v115, 0
	v_dot4c_i32_i8_e32 v115, v186, v4
	v_mov_b32_e32 v117, 0
	v_dot4c_i32_i8_e32 v115, v183, v5
	v_pk_mul_f32 v[216:217], v[10:11], v[216:217] op_sel_hi:[0,1]
	v_dot4c_i32_i8_e32 v117, v188, v4
	v_dot4c_i32_i8_e32 v115, v184, v6
	v_pk_fma_f32 v[120:121], v[8:9], v[120:121], v[216:217] op_sel_hi:[0,1,1] neg_lo:[0,0,1] neg_hi:[0,0,1]
	v_dot4c_i32_i8_e32 v117, v188, v5
	v_dot4c_i32_i8_e32 v115, v185, v7
	v_pk_fma_f32 v[30:31], v[112:113], v[120:121], v[30:31]
	v_dot4c_i32_i8_e32 v117, v188, v6
	v_dot4c_i32_i8_e32 v117, v188, v7
	v_mul_lo_u32 v120, v115, v202
	v_mov_b32_e32 v115, 0
	v_dot4c_i32_i8_e32 v115, v175, v0
	v_dot4c_i32_i8_e32 v117, v199, v0
	;; [unrolled: 1-line block ×8, first 2 shown]
	v_mov_b32_e32 v216, 0
	s_nop 0
	v_mad_u64_u32 v[120:121], s[18:19], v115, v203, v[120:121]
	v_cvt_f32_i32_e32 v119, v120
	v_cvt_f32_i32_e32 v121, v117
	;; [unrolled: 1-line block ×3, first 2 shown]
	v_mov_b32_e32 v115, 0
	v_dot4c_i32_i8_e32 v115, v198, v4
	v_dot4c_i32_i8_e32 v115, v195, v5
	v_pk_mul_f32 v[120:121], v[14:15], v[120:121] op_sel_hi:[0,1]
	v_pk_fma_f32 v[118:119], v[12:13], v[118:119], v[120:121] op_sel_hi:[0,1,1] neg_lo:[0,0,1] neg_hi:[0,0,1]
	v_mov_b32_e32 v120, 0
	v_dot4c_i32_i8_e32 v120, v201, v4
	v_dot4c_i32_i8_e32 v115, v196, v6
	;; [unrolled: 1-line block ×4, first 2 shown]
	v_pk_fma_f32 v[28:29], v[112:113], v[118:119], v[28:29]
	v_dot4c_i32_i8_e32 v120, v201, v6
	v_dot4c_i32_i8_e32 v120, v201, v7
	v_mul_lo_u32 v118, v115, v211
	v_mov_b32_e32 v115, 0
	v_dot4c_i32_i8_e32 v115, v191, v0
	v_dot4c_i32_i8_e32 v120, v209, v0
	;; [unrolled: 1-line block ×8, first 2 shown]
	v_mov_b32_e32 v215, 0
	s_nop 0
	v_mad_u64_u32 v[118:119], s[18:19], v115, v212, v[118:119]
	v_cvt_f32_i32_e32 v117, v118
	v_cvt_f32_i32_e32 v119, v120
	;; [unrolled: 1-line block ×3, first 2 shown]
	v_mov_b32_e32 v115, 0
	v_dot4c_i32_i8_e32 v115, v208, v4
	v_dot4c_i32_i8_e32 v115, v205, v5
	v_pk_mul_f32 v[118:119], v[110:111], v[118:119] op_sel_hi:[0,1]
	v_pk_fma_f32 v[116:117], v[108:109], v[116:117], v[118:119] op_sel_hi:[0,1,1] neg_lo:[0,0,1] neg_hi:[0,0,1]
	v_pk_fma_f32 v[26:27], v[112:113], v[116:117], v[26:27]
	v_mov_b32_e32 v116, 0
	v_dot4c_i32_i8_e32 v116, v210, v4
	v_dot4c_i32_i8_e32 v116, v210, v5
	;; [unrolled: 1-line block ×3, first 2 shown]
	v_mov_b32_e32 v5, 0
	v_dot4c_i32_i8_e32 v116, v210, v7
	v_dot4c_i32_i8_e32 v5, v179, v0
	;; [unrolled: 1-line block ×9, first 2 shown]
	v_mul_lo_u32 v4, v115, v213
	v_dot4c_i32_i8_e32 v5, v182, v3
	v_dot4c_i32_i8_e32 v116, v200, v3
	v_mov_b32_e32 v117, 0
	v_mov_b32_e32 v119, 0
	v_mad_u64_u32 v[0:1], s[18:19], v5, v204, v[4:5]
	v_cvt_f32_i32_e32 v115, v0
	v_cvt_f32_i32_e32 v1, v116
	;; [unrolled: 1-line block ×3, first 2 shown]
	v_pk_mul_f32 v[0:1], v[106:107], v[0:1] op_sel_hi:[0,1]
	v_pk_fma_f32 v[0:1], v[104:105], v[114:115], v[0:1] op_sel_hi:[0,1,1] neg_lo:[0,0,1] neg_hi:[0,0,1]
	v_pk_fma_f32 v[24:25], v[112:113], v[0:1], v[24:25]
	ds_read2_b32 v[112:113], v214 offset0:104 offset1:136
	ds_read_b128 v[4:7], v11 offset:23040
	ds_read_b128 v[0:3], v11 offset:23056
	v_mov_b32_e32 v114, 0
	v_mov_b32_e32 v115, 0
	;; [unrolled: 1-line block ×3, first 2 shown]
	s_waitcnt lgkmcnt(1)
	v_dot4c_i32_i8_e32 v114, v173, v4
	v_dot4c_i32_i8_e32 v114, v170, v5
	s_waitcnt lgkmcnt(0)
	v_dot4c_i32_i8_e32 v115, v15, v0
	v_dot4c_i32_i8_e32 v114, v171, v6
	;; [unrolled: 1-line block ×7, first 2 shown]
	v_mul_lo_u32 v114, v114, v189
	v_dot4c_i32_i8_e32 v215, v188, v4
	v_mad_u64_u32 v[114:115], s[18:19], v115, v190, v[114:115]
	v_cvt_f32_i32_e32 v120, v114
	v_mov_b32_e32 v114, 0
	v_dot4c_i32_i8_e32 v114, v186, v4
	v_mov_b32_e32 v115, 0
	v_dot4c_i32_i8_e32 v114, v183, v5
	v_dot4c_i32_i8_e32 v115, v175, v0
	;; [unrolled: 1-line block ×8, first 2 shown]
	v_mul_lo_u32 v114, v114, v202
	v_dot4c_i32_i8_e32 v214, v210, v4
	v_mad_u64_u32 v[114:115], s[18:19], v115, v203, v[114:115]
	v_cvt_f32_i32_e32 v118, v114
	v_mov_b32_e32 v114, 0
	v_dot4c_i32_i8_e32 v114, v198, v4
	v_mov_b32_e32 v115, 0
	v_dot4c_i32_i8_e32 v114, v195, v5
	v_dot4c_i32_i8_e32 v115, v191, v0
	;; [unrolled: 1-line block ×8, first 2 shown]
	v_mul_lo_u32 v114, v114, v211
	v_dot4c_i32_i8_e32 v215, v188, v5
	v_mad_u64_u32 v[114:115], s[18:19], v115, v212, v[114:115]
	v_cvt_f32_i32_e32 v116, v114
	v_mov_b32_e32 v114, 0
	v_dot4c_i32_i8_e32 v114, v208, v4
	v_dot4c_i32_i8_e32 v216, v201, v5
	;; [unrolled: 1-line block ×4, first 2 shown]
	v_mov_b32_e32 v5, 0
	v_dot4c_i32_i8_e32 v117, v174, v6
	v_dot4c_i32_i8_e32 v215, v188, v6
	;; [unrolled: 1-line block ×20, first 2 shown]
	v_mul_lo_u32 v4, v114, v213
	v_dot4c_i32_i8_e32 v214, v200, v1
	v_dot4c_i32_i8_e32 v5, v182, v3
	;; [unrolled: 1-line block ×6, first 2 shown]
	v_mad_u64_u32 v[0:1], s[18:19], v5, v204, v[4:5]
	v_dot4c_i32_i8_e32 v117, v187, v3
	v_dot4c_i32_i8_e32 v215, v199, v3
	;; [unrolled: 1-line block ×4, first 2 shown]
	v_cvt_f32_i32_e32 v114, v0
	ds_read_b128 v[4:7], v11 offset:24064
	ds_read_b128 v[0:3], v11 offset:24080
	v_mov_b32_e32 v115, 0
	s_waitcnt lgkmcnt(1)
	v_dot4c_i32_i8_e32 v115, v173, v4
	v_dot4c_i32_i8_e32 v115, v170, v5
	;; [unrolled: 1-line block ×8, first 2 shown]
	s_waitcnt lgkmcnt(0)
	v_dot4c_i32_i8_e32 v119, v187, v0
	v_mul_lo_u32 v170, v115, v189
	v_mov_b32_e32 v115, 0
	v_dot4c_i32_i8_e32 v115, v15, v0
	v_dot4c_i32_i8_e32 v115, v122, v1
	;; [unrolled: 1-line block ×7, first 2 shown]
	v_mov_b32_e32 v15, 0
	v_dot4c_i32_i8_e32 v15, v175, v0
	v_mad_u64_u32 v[122:123], s[18:19], v115, v190, v[170:171]
	v_cvt_f32_i32_e32 v121, v122
	v_cvt_f32_i32_e32 v123, v119
	;; [unrolled: 1-line block ×3, first 2 shown]
	v_dot4c_i32_i8_e32 v15, v176, v1
	v_dot4c_i32_i8_e32 v15, v177, v2
	;; [unrolled: 1-line block ×3, first 2 shown]
	v_pk_mul_f32 v[122:123], v[10:11], v[122:123] op_sel_hi:[0,1]
	v_mov_b32_e32 v10, 0
	v_dot4c_i32_i8_e32 v10, v188, v4
	v_pk_fma_f32 v[120:121], v[8:9], v[120:121], v[122:123] op_sel_hi:[0,1,1] neg_lo:[0,0,1] neg_hi:[0,0,1]
	v_mov_b32_e32 v8, 0
	v_dot4c_i32_i8_e32 v10, v188, v5
	v_dot4c_i32_i8_e32 v8, v186, v4
	;; [unrolled: 1-line block ×10, first 2 shown]
	v_pk_fma_f32 v[22:23], v[112:113], v[120:121], v[22:23]
	v_mul_lo_u32 v8, v8, v202
	v_dot4c_i32_i8_e32 v10, v199, v3
	v_mad_u64_u32 v[120:121], s[18:19], v15, v203, v[8:9]
	v_cvt_f32_i32_e32 v119, v120
	s_nop 0
	v_cvt_f32_i32_e32 v121, v10
	v_cvt_f32_i32_e32 v120, v215
	v_mov_b32_e32 v10, 0
	v_dot4c_i32_i8_e32 v10, v201, v4
	v_mov_b32_e32 v8, 0
	v_pk_mul_f32 v[14:15], v[14:15], v[120:121] op_sel_hi:[0,1]
	v_dot4c_i32_i8_e32 v10, v201, v5
	v_pk_fma_f32 v[14:15], v[12:13], v[118:119], v[14:15] op_sel_hi:[0,1,1] neg_lo:[0,0,1] neg_hi:[0,0,1]
	v_dot4c_i32_i8_e32 v8, v198, v4
	v_dot4c_i32_i8_e32 v10, v201, v6
	v_mov_b32_e32 v12, 0
	v_dot4c_i32_i8_e32 v8, v195, v5
	v_dot4c_i32_i8_e32 v10, v201, v7
	;; [unrolled: 1-line block ×10, first 2 shown]
	v_mul_lo_u32 v8, v8, v211
	v_dot4c_i32_i8_e32 v12, v194, v3
	v_pk_fma_f32 v[20:21], v[112:113], v[14:15], v[20:21]
	v_dot4c_i32_i8_e32 v10, v209, v3
	v_add_u32_e32 v13, 4, v13
	v_mad_u64_u32 v[14:15], s[18:19], v12, v212, v[8:9]
	s_nop 0
	v_cvt_f32_i32_e32 v15, v10
	v_mov_b32_e32 v10, 0
	v_mov_b32_e32 v8, 0
	v_dot4c_i32_i8_e32 v10, v210, v4
	v_dot4c_i32_i8_e32 v8, v208, v4
	;; [unrolled: 1-line block ×5, first 2 shown]
	v_mov_b32_e32 v5, 0
	v_dot4c_i32_i8_e32 v10, v210, v7
	v_dot4c_i32_i8_e32 v5, v179, v0
	;; [unrolled: 1-line block ×9, first 2 shown]
	v_mul_lo_u32 v4, v8, v213
	v_dot4c_i32_i8_e32 v5, v182, v3
	v_dot4c_i32_i8_e32 v10, v200, v3
	v_cvt_f32_i32_e32 v117, v14
	v_cvt_f32_i32_e32 v14, v216
	v_mad_u64_u32 v[0:1], s[18:19], v5, v204, v[4:5]
	v_cvt_f32_i32_e32 v115, v0
	v_cvt_f32_i32_e32 v1, v10
	;; [unrolled: 1-line block ×3, first 2 shown]
	v_pk_mul_f32 v[14:15], v[110:111], v[14:15] op_sel_hi:[0,1]
	v_pk_fma_f32 v[14:15], v[108:109], v[116:117], v[14:15] op_sel_hi:[0,1,1] neg_lo:[0,0,1] neg_hi:[0,0,1]
	v_pk_fma_f32 v[18:19], v[112:113], v[14:15], v[18:19]
	v_pk_mul_f32 v[0:1], v[106:107], v[0:1] op_sel_hi:[0,1]
	v_pk_fma_f32 v[0:1], v[104:105], v[114:115], v[0:1] op_sel_hi:[0,1,1] neg_lo:[0,0,1] neg_hi:[0,0,1]
	v_pk_fma_f32 v[16:17], v[112:113], v[0:1], v[16:17]
	v_add_u32_e32 v11, 32, v11
	s_cbranch_scc1 .LBB127_7
; %bb.8:                                ;   in Loop: Header=BB127_6 Depth=1
	v_add_u32_e32 v8, s14, v141
	v_add_u32_e32 v0, v8, v95
	;; [unrolled: 1-line block ×9, first 2 shown]
	v_mad_i64_i32 v[112:113], s[16:17], v8, 36, v[100:101]
	v_add_u32_e32 v8, 4, v9
	v_mad_i64_i32 v[0:1], s[16:17], v0, 36, v[100:101]
	v_mad_i64_i32 v[2:3], s[16:17], v2, 36, v[100:101]
	v_mad_i64_i32 v[4:5], s[16:17], v4, 36, v[100:101]
	v_mad_i64_i32 v[6:7], s[16:17], v6, 36, v[100:101]
	v_mad_u64_u32 v[114:115], s[16:17], v8, 36, s[2:3]
	s_barrier
	v_mad_i64_i32 v[10:11], s[16:17], v10, 36, v[100:101]
	v_mad_i64_i32 v[12:13], s[16:17], v12, 36, v[100:101]
	;; [unrolled: 1-line block ×3, first 2 shown]
	global_load_dword v8, v[114:115], off
	s_nop 0
	global_load_dword v0, v[0:1], off offset:4
	s_nop 0
	global_load_dword v1, v[2:3], off offset:4
	;; [unrolled: 2-line block ×3, first 2 shown]
	global_load_dword v3, v[6:7], off offset:4
	s_nop 0
	global_load_dword v4, v[10:11], off offset:4
	global_load_dword v5, v[12:13], off offset:4
	;; [unrolled: 1-line block ×4, first 2 shown]
	s_mov_b32 s15, 8
	s_mov_b32 s16, 0
	v_mov_b32_e32 v11, v158
	v_mov_b32_e32 v13, v157
	s_waitcnt vmcnt(8)
	v_cvt_f32_f16_e32 v8, v8
	s_waitcnt vmcnt(7)
	ds_write_b32 v99, v0
	s_waitcnt vmcnt(6)
	ds_write_b32 v105, v1
	;; [unrolled: 2-line block ×8, first 2 shown]
	ds_write_b32 v93, v8
	s_waitcnt lgkmcnt(0)
	s_barrier
.LBB127_9:                              ;   Parent Loop BB127_6 Depth=1
                                        ; =>  This Inner Loop Header: Depth=2
	s_add_i32 s17, s16, 8
	s_and_b32 s19, s17, 0x3ffffff8
	s_lshl_b32 s19, s19, 2
	v_add_u32_e32 v8, s19, v133
	ds_read2_b32 v[112:113], v13 offset1:32
	ds_read_b128 v[4:7], v11
	ds_read_b128 v[0:3], v11 offset:16
	ds_read2_b32 v[14:15], v8 offset1:1
	s_lshr_b32 s20, s17, 2
	s_and_b32 s18, s15, -16
	v_add_u32_e32 v104, s16, v146
	s_and_b32 s20, s20, 0x3ffffffc
	s_waitcnt lgkmcnt(0)
	v_ashrrev_i32_e32 v10, s16, v14
	v_and_b32_e32 v185, 0x3030303, v10
	v_ashrrev_i32_e32 v10, s16, v15
	ds_read2_b32 v[14:15], v8 offset0:2 offset1:3
	v_and_b32_e32 v182, 0x3030303, v10
	v_mov_b32_e32 v211, 0
	v_mov_b32_e32 v213, 0
	v_mov_b32_e32 v215, 0
	s_waitcnt lgkmcnt(0)
	v_ashrrev_i32_e32 v10, s16, v14
	v_and_b32_e32 v183, 0x3030303, v10
	v_ashrrev_i32_e32 v10, s16, v15
	ds_read2_b32 v[14:15], v8 offset0:4 offset1:5
	v_and_b32_e32 v184, 0x3030303, v10
	v_mov_b32_e32 v219, 0
	v_mov_b32_e32 v115, 0
	;; [unrolled: 1-line block ×3, first 2 shown]
	s_waitcnt lgkmcnt(0)
	v_ashrrev_i32_e32 v10, s16, v14
	v_and_b32_e32 v175, 0x3030303, v10
	v_ashrrev_i32_e32 v10, s16, v15
	ds_read2_b32 v[14:15], v8 offset0:6 offset1:7
	v_and_b32_e32 v176, 0x3030303, v10
	v_add_u32_e32 v10, s20, v134
	v_mov_b32_e32 v214, 0
	v_mov_b32_e32 v218, 0
	s_waitcnt lgkmcnt(0)
	v_ashrrev_i32_e32 v8, s16, v14
	v_and_b32_e32 v177, 0x3030303, v8
	v_ashrrev_i32_e32 v8, s16, v15
	v_and_b32_e32 v178, 0x3030303, v8
	v_add3_u32 v8, v156, s18, v104
	ds_read_b32 v10, v10
	ds_read_u16 v8, v8
	v_dot4c_i32_i8_e32 v115, v185, v4
	v_dot4c_i32_i8_e32 v115, v182, v5
	;; [unrolled: 1-line block ×3, first 2 shown]
	s_waitcnt lgkmcnt(1)
	v_cvt_f32_f16_sdwa v14, v10 dst_sel:DWORD dst_unused:UNUSED_PAD src0_sel:WORD_1
	s_waitcnt lgkmcnt(0)
	v_bfe_u32 v12, v8, 4, 4
	v_mul_lo_u32 v203, v12, s1
	v_and_b32_e32 v194, 15, v8
	v_lshrrev_b32_sdwa v12, v167, v8 dst_sel:DWORD dst_unused:UNUSED_PAD src0_sel:DWORD src1_sel:BYTE_1
	v_and_b32_sdwa v204, v8, v168 dst_sel:DWORD dst_unused:UNUSED_PAD src0_sel:BYTE_1 src1_sel:DWORD
	v_add_u32_e32 v8, s19, v135
	v_mul_lo_u32 v202, v12, s1
	v_mov_b32_e32 v12, 0
	ds_read2_b32 v[116:117], v8 offset1:1
	v_dot4c_i32_i8_e32 v12, v175, v0
	v_dot4c_i32_i8_e32 v12, v176, v1
	;; [unrolled: 1-line block ×7, first 2 shown]
	v_mul_lo_u32 v114, v204, v12
	v_cvt_f32_f16_e32 v12, v10
	s_waitcnt lgkmcnt(0)
	v_ashrrev_i32_e32 v10, s16, v116
	v_and_b32_e32 v199, 0x3030303, v10
	v_ashrrev_i32_e32 v10, s16, v117
	ds_read2_b32 v[116:117], v8 offset0:2 offset1:3
	v_and_b32_e32 v196, 0x3030303, v10
	v_dot4c_i32_i8_e32 v212, v199, v4
	v_dot4c_i32_i8_e32 v211, v203, v7
	;; [unrolled: 1-line block ×3, first 2 shown]
	s_waitcnt lgkmcnt(0)
	v_ashrrev_i32_e32 v10, s16, v116
	v_and_b32_e32 v197, 0x3030303, v10
	v_ashrrev_i32_e32 v10, s16, v117
	ds_read2_b32 v[116:117], v8 offset0:4 offset1:5
	v_and_b32_e32 v198, 0x3030303, v10
	v_dot4c_i32_i8_e32 v211, v202, v1
	v_dot4c_i32_i8_e32 v212, v196, v5
	;; [unrolled: 1-line block ×3, first 2 shown]
	s_waitcnt lgkmcnt(0)
	v_ashrrev_i32_e32 v10, s16, v116
	v_and_b32_e32 v189, 0x3030303, v10
	v_ashrrev_i32_e32 v10, s16, v117
	ds_read2_b32 v[116:117], v8 offset0:6 offset1:7
	v_and_b32_e32 v190, 0x3030303, v10
	v_add_u32_e32 v10, s20, v136
	v_dot4c_i32_i8_e32 v212, v197, v6
	v_dot4c_i32_i8_e32 v115, v184, v7
	s_waitcnt lgkmcnt(0)
	v_ashrrev_i32_e32 v8, s16, v116
	v_and_b32_e32 v191, 0x3030303, v8
	v_ashrrev_i32_e32 v8, s16, v117
	v_and_b32_e32 v192, 0x3030303, v8
	v_add3_u32 v8, v155, s18, v104
	ds_read_b32 v10, v10
	ds_read_u16 v8, v8
	v_dot4c_i32_i8_e32 v211, v202, v3
	v_dot4c_i32_i8_e32 v212, v198, v7
	v_mov_b32_e32 v220, 0
	s_waitcnt lgkmcnt(1)
	v_cvt_f32_f16_e32 v108, v10
	s_waitcnt lgkmcnt(0)
	v_bfe_u32 v15, v8, 4, 4
	v_mul_lo_u32 v201, v15, s1
	v_and_b32_e32 v207, 15, v8
	v_lshrrev_b32_sdwa v15, v167, v8 dst_sel:DWORD dst_unused:UNUSED_PAD src0_sel:DWORD src1_sel:BYTE_1
	v_and_b32_sdwa v210, v8, v168 dst_sel:DWORD dst_unused:UNUSED_PAD src0_sel:BYTE_1 src1_sel:DWORD
	v_add_u32_e32 v8, s19, v137
	ds_read2_b32 v[118:119], v8 offset1:1
	ds_read2_b32 v[120:121], v8 offset0:6 offset1:7
	v_cvt_f32_f16_sdwa v110, v10 dst_sel:DWORD dst_unused:UNUSED_PAD src0_sel:WORD_1
	v_mul_lo_u32 v209, v15, s1
	v_mov_b32_e32 v15, 0
	s_waitcnt lgkmcnt(1)
	v_ashrrev_i32_e32 v10, s16, v118
	v_and_b32_e32 v208, 0x3030303, v10
	v_ashrrev_i32_e32 v10, s16, v119
	ds_read2_b32 v[118:119], v8 offset0:2 offset1:3
	v_and_b32_e32 v122, 0x3030303, v10
	v_dot4c_i32_i8_e32 v15, v189, v0
	v_dot4c_i32_i8_e32 v15, v190, v1
	v_dot4c_i32_i8_e32 v15, v191, v2
	s_waitcnt lgkmcnt(0)
	v_ashrrev_i32_e32 v10, s16, v118
	v_and_b32_e32 v123, 0x3030303, v10
	v_ashrrev_i32_e32 v10, s16, v119
	ds_read2_b32 v[118:119], v8 offset0:4 offset1:5
	v_dot4c_i32_i8_e32 v15, v192, v3
	v_and_b32_e32 v169, 0x3030303, v10
	v_ashrrev_i32_e32 v8, s16, v120
	v_dot4c_i32_i8_e32 v213, v201, v4
	s_waitcnt lgkmcnt(0)
	v_ashrrev_i32_e32 v10, s16, v118
	v_mul_lo_u32 v116, v210, v15
	v_and_b32_e32 v15, 0x3030303, v10
	v_ashrrev_i32_e32 v10, s16, v119
	v_and_b32_e32 v119, 0x3030303, v8
	v_ashrrev_i32_e32 v8, s16, v121
	v_and_b32_e32 v117, 0x3030303, v10
	v_and_b32_e32 v121, 0x3030303, v8
	v_add3_u32 v8, v154, s18, v104
	v_add_u32_e32 v10, s20, v138
	ds_read_b32 v10, v10
	ds_read_u16 v8, v8
	v_add3_u32 v104, v153, s18, v104
	v_dot4c_i32_i8_e32 v213, v201, v5
	v_dot4c_i32_i8_e32 v214, v208, v4
	;; [unrolled: 1-line block ×3, first 2 shown]
	s_waitcnt lgkmcnt(0)
	v_bfe_u32 v106, v8, 4, 4
	v_mul_lo_u32 v174, v106, s1
	v_lshrrev_b32_sdwa v106, v167, v8 dst_sel:DWORD dst_unused:UNUSED_PAD src0_sel:DWORD src1_sel:BYTE_1
	v_mul_lo_u32 v193, v106, s1
	v_mov_b32_e32 v106, 0
	v_dot4c_i32_i8_e32 v106, v15, v0
	v_dot4c_i32_i8_e32 v106, v117, v1
	;; [unrolled: 1-line block ×4, first 2 shown]
	v_and_b32_sdwa v195, v8, v168 dst_sel:DWORD dst_unused:UNUSED_PAD src0_sel:BYTE_1 src1_sel:DWORD
	v_dot4c_i32_i8_e32 v215, v174, v4
	v_dot4c_i32_i8_e32 v215, v174, v5
	v_mul_lo_u32 v118, v195, v106
	v_add_u32_e32 v106, s19, v139
	ds_read2_b32 v[170:171], v106 offset1:1
	ds_read2_b32 v[172:173], v106 offset0:6 offset1:7
	v_dot4c_i32_i8_e32 v215, v174, v6
	v_dot4c_i32_i8_e32 v213, v201, v7
	;; [unrolled: 1-line block ×3, first 2 shown]
	s_waitcnt lgkmcnt(1)
	v_ashrrev_i32_e32 v120, s16, v170
	v_and_b32_e32 v187, 0x3030303, v120
	v_ashrrev_i32_e32 v120, s16, v171
	ds_read2_b32 v[170:171], v106 offset0:2 offset1:3
	v_and_b32_e32 v179, 0x3030303, v120
	v_dot4c_i32_i8_e32 v218, v187, v4
	v_dot4c_i32_i8_e32 v213, v209, v0
	;; [unrolled: 1-line block ×3, first 2 shown]
	s_waitcnt lgkmcnt(0)
	v_ashrrev_i32_e32 v120, s16, v170
	v_and_b32_e32 v180, 0x3030303, v120
	v_ashrrev_i32_e32 v120, s16, v171
	ds_read2_b32 v[170:171], v106 offset0:4 offset1:5
	v_ashrrev_i32_e32 v106, s16, v172
	v_and_b32_e32 v172, 0x3030303, v106
	v_ashrrev_i32_e32 v106, s16, v173
	v_and_b32_e32 v173, 0x3030303, v106
	v_add_u32_e32 v106, s20, v140
	ds_read_b32 v106, v106
	ds_read_u16 v104, v104
	v_and_b32_e32 v181, 0x3030303, v120
	s_waitcnt lgkmcnt(2)
	v_ashrrev_i32_e32 v120, s16, v170
	v_and_b32_e32 v170, 0x3030303, v120
	v_ashrrev_i32_e32 v120, s16, v171
	v_and_b32_e32 v171, 0x3030303, v120
	s_waitcnt lgkmcnt(0)
	v_bfe_u32 v120, v104, 4, 4
	v_mul_lo_u32 v188, v120, s1
	v_dot4c_i32_i8_e32 v219, v188, v4
	v_dot4c_i32_i8_e32 v219, v188, v5
	v_lshrrev_b32_sdwa v4, v167, v104 dst_sel:DWORD dst_unused:UNUSED_PAD src0_sel:DWORD src1_sel:BYTE_1
	v_dot4c_i32_i8_e32 v219, v188, v6
	v_mul_lo_u32 v205, v4, s1
	v_mov_b32_e32 v4, 0
	v_dot4c_i32_i8_e32 v219, v188, v7
	v_dot4c_i32_i8_e32 v4, v170, v0
	;; [unrolled: 1-line block ×16, first 2 shown]
	v_and_b32_sdwa v206, v104, v168 dst_sel:DWORD dst_unused:UNUSED_PAD src0_sel:BYTE_1 src1_sel:DWORD
	v_dot4c_i32_i8_e32 v213, v209, v3
	v_dot4c_i32_i8_e32 v214, v169, v7
	;; [unrolled: 1-line block ×5, first 2 shown]
	v_mul_lo_u32 v120, v206, v4
	ds_read_b128 v[4:7], v11 offset:1024
	ds_read_b128 v[0:3], v11 offset:1040
	v_mov_b32_e32 v216, 0
	v_mov_b32_e32 v217, 0
	v_mad_u64_u32 v[114:115], s[18:19], v194, v115, v[114:115]
	s_waitcnt lgkmcnt(1)
	v_dot4c_i32_i8_e32 v220, v203, v4
	v_dot4c_i32_i8_e32 v220, v203, v5
	;; [unrolled: 1-line block ×6, first 2 shown]
	s_waitcnt lgkmcnt(0)
	v_dot4c_i32_i8_e32 v217, v175, v0
	v_dot4c_i32_i8_e32 v216, v183, v6
	v_dot4c_i32_i8_e32 v220, v202, v0
	v_dot4c_i32_i8_e32 v217, v176, v1
	v_dot4c_i32_i8_e32 v216, v184, v7
	v_dot4c_i32_i8_e32 v220, v202, v1
	v_dot4c_i32_i8_e32 v217, v177, v2
	v_dot4c_i32_i8_e32 v220, v202, v2
	v_mul_lo_u32 v216, v216, v194
	v_dot4c_i32_i8_e32 v217, v178, v3
	v_dot4c_i32_i8_e32 v220, v202, v3
	v_cvt_f32_i32_e32 v115, v114
	v_cvt_f32_i32_e32 v213, v213
	v_mad_u64_u32 v[216:217], s[18:19], v217, v204, v[216:217]
	v_cvt_f32_i32_e32 v114, v216
	v_cvt_f32_i32_e32 v217, v211
	;; [unrolled: 1-line block ×3, first 2 shown]
	v_mov_b32_e32 v211, 0
	v_dot4c_i32_i8_e32 v211, v201, v4
	v_dot4c_i32_i8_e32 v211, v201, v5
	v_pk_mul_f32 v[216:217], v[14:15], v[216:217] op_sel_hi:[0,1]
	v_pk_fma_f32 v[216:217], v[12:13], v[114:115], v[216:217] op_sel_hi:[0,1,1] neg_lo:[0,0,1] neg_hi:[0,0,1]
	v_mov_b32_e32 v115, v112
	v_mov_b32_e32 v112, 0
	v_dot4c_i32_i8_e32 v211, v201, v6
	v_mov_b32_e32 v114, v113
	v_dot4c_i32_i8_e32 v112, v199, v4
	v_dot4c_i32_i8_e32 v211, v201, v7
	v_mov_b32_e32 v113, 0
	v_dot4c_i32_i8_e32 v112, v196, v5
	v_dot4c_i32_i8_e32 v113, v189, v0
	v_dot4c_i32_i8_e32 v211, v209, v0
	v_dot4c_i32_i8_e32 v112, v197, v6
	v_dot4c_i32_i8_e32 v113, v190, v1
	v_dot4c_i32_i8_e32 v211, v209, v1
	v_dot4c_i32_i8_e32 v112, v198, v7
	v_dot4c_i32_i8_e32 v113, v191, v2
	v_dot4c_i32_i8_e32 v211, v209, v2
	v_dot4c_i32_i8_e32 v113, v192, v3
	v_mul_lo_u32 v112, v112, v207
	v_dot4c_i32_i8_e32 v211, v209, v3
	v_pk_fma_f32 v[78:79], v[114:115], v[216:217], v[78:79]
	v_mad_u64_u32 v[112:113], s[18:19], v113, v210, v[112:113]
	v_mad_u64_u32 v[216:217], s[18:19], v207, v212, v[116:117]
	v_cvt_f32_i32_e32 v212, v211
	v_cvt_f32_i32_e32 v113, v216
	;; [unrolled: 1-line block ×3, first 2 shown]
	v_mov_b32_e32 v116, 0
	v_pk_mul_f32 v[212:213], v[110:111], v[212:213] op_sel_hi:[0,1]
	v_dot4c_i32_i8_e32 v116, v174, v4
	v_pk_fma_f32 v[112:113], v[108:109], v[112:113], v[212:213] op_sel_hi:[0,1,1] neg_lo:[0,0,1] neg_hi:[0,0,1]
	v_pk_fma_f32 v[88:89], v[114:115], v[112:113], v[88:89]
	v_mov_b32_e32 v112, 0
	v_dot4c_i32_i8_e32 v116, v174, v5
	v_dot4c_i32_i8_e32 v112, v208, v4
	;; [unrolled: 1-line block ×3, first 2 shown]
	v_mov_b32_e32 v113, 0
	v_dot4c_i32_i8_e32 v112, v122, v5
	v_dot4c_i32_i8_e32 v116, v174, v7
	;; [unrolled: 1-line block ×6, first 2 shown]
	v_and_b32_e32 v186, 15, v8
	v_dot4c_i32_i8_e32 v112, v169, v7
	v_dot4c_i32_i8_e32 v116, v193, v1
	;; [unrolled: 1-line block ×4, first 2 shown]
	v_mul_lo_u32 v112, v112, v186
	v_dot4c_i32_i8_e32 v113, v121, v3
	v_dot4c_i32_i8_e32 v116, v193, v3
	v_mad_u64_u32 v[212:213], s[18:19], v186, v214, v[118:119]
	s_nop 0
	v_mad_u64_u32 v[112:113], s[18:19], v113, v195, v[112:113]
	v_cvt_f32_f16_e32 v8, v10
	v_cvt_f32_f16_sdwa v10, v10 dst_sel:DWORD dst_unused:UNUSED_PAD src0_sel:WORD_1
	v_cvt_f32_i32_e32 v113, v212
	v_cvt_f32_i32_e32 v213, v215
	v_cvt_f32_i32_e32 v212, v116
	v_cvt_f32_i32_e32 v112, v112
	v_and_b32_e32 v200, 15, v104
	v_cvt_f32_f16_e32 v104, v106
	v_pk_mul_f32 v[212:213], v[10:11], v[212:213] op_sel_hi:[0,1]
	v_pk_fma_f32 v[112:113], v[8:9], v[112:113], v[212:213] op_sel_hi:[0,1,1] neg_lo:[0,0,1] neg_hi:[0,0,1]
	v_pk_fma_f32 v[80:81], v[114:115], v[112:113], v[80:81]
	v_mov_b32_e32 v113, 0
	v_mov_b32_e32 v112, 0
	v_dot4c_i32_i8_e32 v113, v188, v4
	v_dot4c_i32_i8_e32 v112, v187, v4
	;; [unrolled: 1-line block ×5, first 2 shown]
	v_mov_b32_e32 v5, 0
	v_dot4c_i32_i8_e32 v113, v188, v7
	v_dot4c_i32_i8_e32 v5, v170, v0
	;; [unrolled: 1-line block ×9, first 2 shown]
	v_mul_lo_u32 v4, v112, v200
	v_dot4c_i32_i8_e32 v5, v173, v3
	v_dot4c_i32_i8_e32 v113, v205, v3
	v_mad_u64_u32 v[2:3], s[18:19], v200, v218, v[120:121]
	s_nop 0
	v_mad_u64_u32 v[0:1], s[18:19], v5, v206, v[4:5]
	v_cvt_f32_f16_sdwa v106, v106 dst_sel:DWORD dst_unused:UNUSED_PAD src0_sel:WORD_1
	v_cvt_f32_i32_e32 v1, v2
	v_cvt_f32_i32_e32 v3, v219
	;; [unrolled: 1-line block ×4, first 2 shown]
	v_mov_b32_e32 v211, 0
	v_mov_b32_e32 v217, 0
	v_pk_mul_f32 v[2:3], v[106:107], v[2:3] op_sel_hi:[0,1]
	v_pk_fma_f32 v[0:1], v[104:105], v[0:1], v[2:3] op_sel_hi:[0,1,1] neg_lo:[0,0,1] neg_hi:[0,0,1]
	v_pk_fma_f32 v[64:65], v[114:115], v[0:1], v[64:65]
	ds_read2_b32 v[112:113], v13 offset0:64 offset1:96
	ds_read_b128 v[0:3], v11 offset:2048
	ds_read_b128 v[4:7], v11 offset:2064
	v_mov_b32_e32 v114, 0
	v_mov_b32_e32 v219, 0
	;; [unrolled: 1-line block ×3, first 2 shown]
	s_waitcnt lgkmcnt(1)
	v_dot4c_i32_i8_e32 v211, v203, v0
	s_waitcnt lgkmcnt(0)
	v_dot4c_i32_i8_e32 v114, v175, v4
	v_dot4c_i32_i8_e32 v114, v176, v5
	;; [unrolled: 1-line block ×7, first 2 shown]
	v_mul_lo_u32 v120, v114, v204
	v_mov_b32_e32 v114, 0
	v_dot4c_i32_i8_e32 v114, v189, v4
	v_dot4c_i32_i8_e32 v114, v190, v5
	;; [unrolled: 1-line block ×3, first 2 shown]
	v_mov_b32_e32 v115, 0
	v_dot4c_i32_i8_e32 v211, v203, v1
	v_mov_b32_e32 v216, 0
	v_dot4c_i32_i8_e32 v217, v201, v1
	v_dot4c_i32_i8_e32 v114, v192, v7
	v_mov_b32_e32 v218, 0
	v_dot4c_i32_i8_e32 v219, v174, v1
	v_mov_b32_e32 v220, 0
	v_dot4c_i32_i8_e32 v221, v188, v1
	v_dot4c_i32_i8_e32 v115, v185, v0
	;; [unrolled: 1-line block ×5, first 2 shown]
	v_mul_lo_u32 v118, v114, v210
	v_dot4c_i32_i8_e32 v218, v208, v0
	v_dot4c_i32_i8_e32 v219, v174, v2
	v_mov_b32_e32 v114, 0
	v_dot4c_i32_i8_e32 v220, v187, v0
	v_dot4c_i32_i8_e32 v221, v188, v2
	v_mov_b32_e32 v0, 0
	v_dot4c_i32_i8_e32 v211, v203, v3
	v_dot4c_i32_i8_e32 v217, v201, v3
	;; [unrolled: 1-line block ×38, first 2 shown]
	v_mul_lo_u32 v116, v114, v195
	v_dot4c_i32_i8_e32 v220, v181, v3
	v_dot4c_i32_i8_e32 v221, v205, v7
	v_mul_lo_u32 v114, v0, v206
	ds_read_b128 v[4:7], v11 offset:3072
	ds_read_b128 v[0:3], v11 offset:3088
	v_mov_b32_e32 v222, 0
	v_mov_b32_e32 v212, 0
	;; [unrolled: 1-line block ×3, first 2 shown]
	s_waitcnt lgkmcnt(1)
	v_dot4c_i32_i8_e32 v222, v203, v4
	v_dot4c_i32_i8_e32 v212, v185, v4
	;; [unrolled: 1-line block ×5, first 2 shown]
	s_waitcnt lgkmcnt(0)
	v_dot4c_i32_i8_e32 v213, v175, v0
	v_dot4c_i32_i8_e32 v212, v183, v6
	;; [unrolled: 1-line block ×4, first 2 shown]
	v_mad_u64_u32 v[214:215], s[18:19], v115, v194, v[120:121]
	v_mov_b32_e32 v115, 0
	v_dot4c_i32_i8_e32 v212, v184, v7
	v_dot4c_i32_i8_e32 v222, v202, v0
	;; [unrolled: 1-line block ×4, first 2 shown]
	v_mul_lo_u32 v212, v212, v194
	v_dot4c_i32_i8_e32 v222, v202, v1
	v_dot4c_i32_i8_e32 v213, v178, v3
	;; [unrolled: 1-line block ×5, first 2 shown]
	v_mad_u64_u32 v[212:213], s[18:19], v213, v204, v[212:213]
	v_dot4c_i32_i8_e32 v222, v202, v3
	v_cvt_f32_i32_e32 v213, v212
	v_cvt_f32_i32_e32 v212, v214
	v_cvt_f32_i32_e32 v214, v211
	v_mov_b32_e32 v211, 0
	v_dot4c_i32_i8_e32 v115, v198, v7
	v_cvt_f32_i32_e32 v215, v222
	v_dot4c_i32_i8_e32 v211, v201, v4
	v_dot4c_i32_i8_e32 v211, v201, v5
	v_mul_lo_u32 v120, v115, v207
	v_mov_b32_e32 v115, 0
	v_dot4c_i32_i8_e32 v115, v189, v0
	v_dot4c_i32_i8_e32 v211, v201, v6
	;; [unrolled: 1-line block ×5, first 2 shown]
	v_pk_mul_f32 v[214:215], v[14:15], v[214:215] op_sel_hi:[0,1]
	v_dot4c_i32_i8_e32 v211, v209, v0
	v_dot4c_i32_i8_e32 v115, v192, v3
	v_pk_fma_f32 v[212:213], v[12:13], v[212:213], v[214:215] op_sel_hi:[0,1,1] neg_lo:[0,0,1] neg_hi:[0,0,1]
	v_dot4c_i32_i8_e32 v211, v209, v1
	v_dot4c_i32_i8_e32 v211, v209, v2
	v_mad_u64_u32 v[214:215], s[18:19], v115, v210, v[120:121]
	v_mov_b32_e32 v115, 0
	v_dot4c_i32_i8_e32 v115, v208, v4
	v_pk_fma_f32 v[38:39], v[112:113], v[212:213], v[38:39]
	v_dot4c_i32_i8_e32 v211, v209, v3
	v_mad_u64_u32 v[212:213], s[18:19], v216, v207, v[118:119]
	v_dot4c_i32_i8_e32 v115, v122, v5
	v_cvt_f32_i32_e32 v213, v214
	v_cvt_f32_i32_e32 v215, v211
	;; [unrolled: 1-line block ×3, first 2 shown]
	v_dot4c_i32_i8_e32 v115, v123, v6
	v_cvt_f32_i32_e32 v212, v212
	v_dot4c_i32_i8_e32 v115, v169, v7
	v_pk_mul_f32 v[214:215], v[110:111], v[214:215] op_sel_hi:[0,1]
	v_mov_b32_e32 v120, 0
	v_pk_fma_f32 v[212:213], v[108:109], v[212:213], v[214:215] op_sel_hi:[0,1,1] neg_lo:[0,0,1] neg_hi:[0,0,1]
	v_mul_lo_u32 v118, v115, v186
	v_mov_b32_e32 v115, 0
	v_dot4c_i32_i8_e32 v115, v15, v0
	v_dot4c_i32_i8_e32 v115, v117, v1
	;; [unrolled: 1-line block ×3, first 2 shown]
	v_pk_fma_f32 v[36:37], v[112:113], v[212:213], v[36:37]
	v_dot4c_i32_i8_e32 v115, v121, v3
	v_mad_u64_u32 v[212:213], s[18:19], v218, v186, v[116:117]
	v_mov_b32_e32 v116, 0
	v_dot4c_i32_i8_e32 v120, v174, v4
	v_mad_u64_u32 v[214:215], s[18:19], v115, v195, v[118:119]
	v_mov_b32_e32 v115, 0
	v_dot4c_i32_i8_e32 v116, v188, v4
	v_dot4c_i32_i8_e32 v120, v174, v5
	;; [unrolled: 1-line block ×7, first 2 shown]
	v_mov_b32_e32 v5, 0
	v_dot4c_i32_i8_e32 v120, v174, v7
	v_dot4c_i32_i8_e32 v116, v188, v7
	;; [unrolled: 1-line block ×12, first 2 shown]
	v_mul_lo_u32 v4, v115, v200
	v_dot4c_i32_i8_e32 v116, v205, v2
	v_dot4c_i32_i8_e32 v5, v173, v3
	;; [unrolled: 1-line block ×4, first 2 shown]
	v_mad_u64_u32 v[0:1], s[18:19], v220, v200, v[114:115]
	v_mad_u64_u32 v[2:3], s[18:19], v5, v206, v[4:5]
	v_cvt_f32_i32_e32 v213, v214
	v_cvt_f32_i32_e32 v215, v120
	v_cvt_f32_i32_e32 v214, v219
	v_cvt_f32_i32_e32 v1, v2
	v_cvt_f32_i32_e32 v3, v116
	v_cvt_f32_i32_e32 v2, v221
	v_cvt_f32_i32_e32 v212, v212
	v_cvt_f32_i32_e32 v0, v0
	v_pk_mul_f32 v[214:215], v[10:11], v[214:215] op_sel_hi:[0,1]
	v_pk_mul_f32 v[2:3], v[106:107], v[2:3] op_sel_hi:[0,1]
	v_pk_fma_f32 v[212:213], v[8:9], v[212:213], v[214:215] op_sel_hi:[0,1,1] neg_lo:[0,0,1] neg_hi:[0,0,1]
	v_pk_fma_f32 v[0:1], v[104:105], v[0:1], v[2:3] op_sel_hi:[0,1,1] neg_lo:[0,0,1] neg_hi:[0,0,1]
	v_pk_fma_f32 v[34:35], v[112:113], v[212:213], v[34:35]
	v_pk_fma_f32 v[32:33], v[112:113], v[0:1], v[32:33]
	ds_read2_b32 v[112:113], v13 offset0:128 offset1:160
	ds_read_b128 v[0:3], v11 offset:4096
	ds_read_b128 v[4:7], v11 offset:4112
	v_mov_b32_e32 v114, 0
	v_mov_b32_e32 v211, 0
	;; [unrolled: 1-line block ×4, first 2 shown]
	s_waitcnt lgkmcnt(0)
	v_dot4c_i32_i8_e32 v114, v175, v4
	v_dot4c_i32_i8_e32 v114, v176, v5
	;; [unrolled: 1-line block ×4, first 2 shown]
	v_mov_b32_e32 v221, 0
	v_dot4c_i32_i8_e32 v211, v203, v0
	v_dot4c_i32_i8_e32 v217, v201, v0
	v_mul_lo_u32 v120, v114, v204
	v_mov_b32_e32 v114, 0
	v_dot4c_i32_i8_e32 v114, v189, v4
	v_dot4c_i32_i8_e32 v114, v190, v5
	;; [unrolled: 1-line block ×5, first 2 shown]
	v_mov_b32_e32 v115, 0
	v_dot4c_i32_i8_e32 v211, v203, v1
	v_mov_b32_e32 v216, 0
	v_dot4c_i32_i8_e32 v217, v201, v1
	v_dot4c_i32_i8_e32 v114, v192, v7
	v_mov_b32_e32 v218, 0
	v_dot4c_i32_i8_e32 v219, v174, v1
	v_mov_b32_e32 v220, 0
	v_dot4c_i32_i8_e32 v221, v188, v1
	v_dot4c_i32_i8_e32 v115, v185, v0
	;; [unrolled: 1-line block ×5, first 2 shown]
	v_mul_lo_u32 v118, v114, v210
	v_dot4c_i32_i8_e32 v218, v208, v0
	v_dot4c_i32_i8_e32 v219, v174, v2
	v_mov_b32_e32 v114, 0
	v_dot4c_i32_i8_e32 v220, v187, v0
	v_dot4c_i32_i8_e32 v221, v188, v2
	v_mov_b32_e32 v0, 0
	v_dot4c_i32_i8_e32 v211, v203, v3
	v_dot4c_i32_i8_e32 v217, v201, v3
	v_dot4c_i32_i8_e32 v219, v174, v3
	v_dot4c_i32_i8_e32 v114, v15, v4
	v_dot4c_i32_i8_e32 v221, v188, v3
	v_dot4c_i32_i8_e32 v0, v170, v4
	v_dot4c_i32_i8_e32 v211, v202, v4
	v_dot4c_i32_i8_e32 v217, v209, v4
	v_dot4c_i32_i8_e32 v219, v193, v4
	v_dot4c_i32_i8_e32 v114, v117, v5
	v_dot4c_i32_i8_e32 v221, v205, v4
	v_dot4c_i32_i8_e32 v0, v171, v5
	v_dot4c_i32_i8_e32 v115, v182, v1
	v_dot4c_i32_i8_e32 v211, v202, v5
	v_dot4c_i32_i8_e32 v216, v196, v1
	v_dot4c_i32_i8_e32 v217, v209, v5
	v_dot4c_i32_i8_e32 v218, v122, v1
	v_dot4c_i32_i8_e32 v219, v193, v5
	v_dot4c_i32_i8_e32 v114, v119, v6
	v_dot4c_i32_i8_e32 v220, v179, v1
	v_dot4c_i32_i8_e32 v221, v205, v5
	v_dot4c_i32_i8_e32 v0, v172, v6
	v_dot4c_i32_i8_e32 v115, v183, v2
	v_dot4c_i32_i8_e32 v211, v202, v6
	v_dot4c_i32_i8_e32 v216, v197, v2
	v_dot4c_i32_i8_e32 v217, v209, v6
	v_dot4c_i32_i8_e32 v218, v123, v2
	v_dot4c_i32_i8_e32 v219, v193, v6
	v_dot4c_i32_i8_e32 v114, v121, v7
	v_dot4c_i32_i8_e32 v220, v180, v2
	v_dot4c_i32_i8_e32 v221, v205, v6
	v_dot4c_i32_i8_e32 v0, v173, v7
	v_dot4c_i32_i8_e32 v115, v184, v3
	v_dot4c_i32_i8_e32 v211, v202, v7
	v_dot4c_i32_i8_e32 v216, v198, v3
	v_dot4c_i32_i8_e32 v217, v209, v7
	v_dot4c_i32_i8_e32 v218, v169, v3
	v_dot4c_i32_i8_e32 v219, v193, v7
	v_mul_lo_u32 v116, v114, v195
	v_dot4c_i32_i8_e32 v220, v181, v3
	v_dot4c_i32_i8_e32 v221, v205, v7
	v_mul_lo_u32 v114, v0, v206
	ds_read_b128 v[4:7], v11 offset:5120
	ds_read_b128 v[0:3], v11 offset:5136
	v_mov_b32_e32 v222, 0
	v_mov_b32_e32 v212, 0
	v_mov_b32_e32 v213, 0
	s_waitcnt lgkmcnt(1)
	v_dot4c_i32_i8_e32 v222, v203, v4
	v_dot4c_i32_i8_e32 v212, v185, v4
	;; [unrolled: 1-line block ×5, first 2 shown]
	s_waitcnt lgkmcnt(0)
	v_dot4c_i32_i8_e32 v213, v175, v0
	v_dot4c_i32_i8_e32 v212, v183, v6
	;; [unrolled: 1-line block ×4, first 2 shown]
	v_mad_u64_u32 v[214:215], s[18:19], v115, v194, v[120:121]
	v_mov_b32_e32 v115, 0
	v_dot4c_i32_i8_e32 v212, v184, v7
	v_dot4c_i32_i8_e32 v222, v202, v0
	;; [unrolled: 1-line block ×4, first 2 shown]
	v_mul_lo_u32 v212, v212, v194
	v_dot4c_i32_i8_e32 v222, v202, v1
	v_dot4c_i32_i8_e32 v213, v178, v3
	;; [unrolled: 1-line block ×5, first 2 shown]
	v_mad_u64_u32 v[212:213], s[18:19], v213, v204, v[212:213]
	v_dot4c_i32_i8_e32 v222, v202, v3
	v_cvt_f32_i32_e32 v213, v212
	v_cvt_f32_i32_e32 v212, v214
	;; [unrolled: 1-line block ×3, first 2 shown]
	v_mov_b32_e32 v211, 0
	v_dot4c_i32_i8_e32 v115, v198, v7
	v_cvt_f32_i32_e32 v215, v222
	v_dot4c_i32_i8_e32 v211, v201, v4
	v_dot4c_i32_i8_e32 v211, v201, v5
	v_mul_lo_u32 v120, v115, v207
	v_mov_b32_e32 v115, 0
	v_dot4c_i32_i8_e32 v115, v189, v0
	v_dot4c_i32_i8_e32 v211, v201, v6
	;; [unrolled: 1-line block ×5, first 2 shown]
	v_pk_mul_f32 v[214:215], v[14:15], v[214:215] op_sel_hi:[0,1]
	v_dot4c_i32_i8_e32 v211, v209, v0
	v_dot4c_i32_i8_e32 v115, v192, v3
	v_pk_fma_f32 v[212:213], v[12:13], v[212:213], v[214:215] op_sel_hi:[0,1,1] neg_lo:[0,0,1] neg_hi:[0,0,1]
	v_dot4c_i32_i8_e32 v211, v209, v1
	v_dot4c_i32_i8_e32 v211, v209, v2
	v_mad_u64_u32 v[214:215], s[18:19], v115, v210, v[120:121]
	v_mov_b32_e32 v115, 0
	v_dot4c_i32_i8_e32 v115, v208, v4
	v_pk_fma_f32 v[30:31], v[112:113], v[212:213], v[30:31]
	v_dot4c_i32_i8_e32 v211, v209, v3
	v_mad_u64_u32 v[212:213], s[18:19], v216, v207, v[118:119]
	v_dot4c_i32_i8_e32 v115, v122, v5
	v_cvt_f32_i32_e32 v213, v214
	v_cvt_f32_i32_e32 v215, v211
	;; [unrolled: 1-line block ×3, first 2 shown]
	v_dot4c_i32_i8_e32 v115, v123, v6
	v_cvt_f32_i32_e32 v212, v212
	v_dot4c_i32_i8_e32 v115, v169, v7
	v_pk_mul_f32 v[214:215], v[110:111], v[214:215] op_sel_hi:[0,1]
	v_mov_b32_e32 v120, 0
	v_pk_fma_f32 v[212:213], v[108:109], v[212:213], v[214:215] op_sel_hi:[0,1,1] neg_lo:[0,0,1] neg_hi:[0,0,1]
	v_mul_lo_u32 v118, v115, v186
	v_mov_b32_e32 v115, 0
	v_dot4c_i32_i8_e32 v115, v15, v0
	v_dot4c_i32_i8_e32 v115, v117, v1
	;; [unrolled: 1-line block ×3, first 2 shown]
	v_pk_fma_f32 v[28:29], v[112:113], v[212:213], v[28:29]
	v_dot4c_i32_i8_e32 v115, v121, v3
	v_mad_u64_u32 v[212:213], s[18:19], v218, v186, v[116:117]
	v_mov_b32_e32 v116, 0
	v_dot4c_i32_i8_e32 v120, v174, v4
	v_mad_u64_u32 v[214:215], s[18:19], v115, v195, v[118:119]
	v_mov_b32_e32 v115, 0
	v_dot4c_i32_i8_e32 v116, v188, v4
	v_dot4c_i32_i8_e32 v120, v174, v5
	v_dot4c_i32_i8_e32 v115, v187, v4
	v_dot4c_i32_i8_e32 v116, v188, v5
	v_dot4c_i32_i8_e32 v120, v174, v6
	v_dot4c_i32_i8_e32 v115, v179, v5
	v_dot4c_i32_i8_e32 v116, v188, v6
	v_mov_b32_e32 v5, 0
	v_dot4c_i32_i8_e32 v120, v174, v7
	v_dot4c_i32_i8_e32 v116, v188, v7
	;; [unrolled: 1-line block ×12, first 2 shown]
	v_mul_lo_u32 v4, v115, v200
	v_dot4c_i32_i8_e32 v116, v205, v2
	v_dot4c_i32_i8_e32 v5, v173, v3
	;; [unrolled: 1-line block ×4, first 2 shown]
	v_mad_u64_u32 v[0:1], s[18:19], v220, v200, v[114:115]
	v_mad_u64_u32 v[2:3], s[18:19], v5, v206, v[4:5]
	v_cvt_f32_i32_e32 v213, v214
	v_cvt_f32_i32_e32 v215, v120
	;; [unrolled: 1-line block ×8, first 2 shown]
	v_pk_mul_f32 v[214:215], v[10:11], v[214:215] op_sel_hi:[0,1]
	v_pk_mul_f32 v[2:3], v[106:107], v[2:3] op_sel_hi:[0,1]
	v_pk_fma_f32 v[212:213], v[8:9], v[212:213], v[214:215] op_sel_hi:[0,1,1] neg_lo:[0,0,1] neg_hi:[0,0,1]
	v_pk_fma_f32 v[0:1], v[104:105], v[0:1], v[2:3] op_sel_hi:[0,1,1] neg_lo:[0,0,1] neg_hi:[0,0,1]
	v_pk_fma_f32 v[26:27], v[112:113], v[212:213], v[26:27]
	v_pk_fma_f32 v[24:25], v[112:113], v[0:1], v[24:25]
	ds_read2_b32 v[112:113], v13 offset0:192 offset1:224
	ds_read_b128 v[0:3], v11 offset:6144
	ds_read_b128 v[4:7], v11 offset:6160
	v_mov_b32_e32 v114, 0
	v_mov_b32_e32 v215, 0
	;; [unrolled: 1-line block ×4, first 2 shown]
	s_waitcnt lgkmcnt(0)
	v_dot4c_i32_i8_e32 v114, v175, v4
	v_dot4c_i32_i8_e32 v114, v176, v5
	;; [unrolled: 1-line block ×4, first 2 shown]
	v_mov_b32_e32 v115, 0
	v_dot4c_i32_i8_e32 v215, v203, v0
	v_dot4c_i32_i8_e32 v217, v201, v0
	v_mul_lo_u32 v120, v114, v204
	v_mov_b32_e32 v114, 0
	v_dot4c_i32_i8_e32 v114, v189, v4
	v_dot4c_i32_i8_e32 v114, v190, v5
	;; [unrolled: 1-line block ×5, first 2 shown]
	v_mov_b32_e32 v214, 0
	v_dot4c_i32_i8_e32 v215, v203, v1
	v_mov_b32_e32 v216, 0
	v_dot4c_i32_i8_e32 v217, v201, v1
	v_dot4c_i32_i8_e32 v114, v192, v7
	v_mov_b32_e32 v213, 0
	v_dot4c_i32_i8_e32 v212, v174, v1
	v_mov_b32_e32 v211, 0
	v_dot4c_i32_i8_e32 v115, v188, v1
	v_dot4c_i32_i8_e32 v214, v185, v0
	;; [unrolled: 1-line block ×5, first 2 shown]
	v_mul_lo_u32 v118, v114, v210
	v_dot4c_i32_i8_e32 v213, v208, v0
	v_dot4c_i32_i8_e32 v212, v174, v2
	v_mov_b32_e32 v114, 0
	v_dot4c_i32_i8_e32 v211, v187, v0
	v_dot4c_i32_i8_e32 v115, v188, v2
	v_mov_b32_e32 v0, 0
	v_dot4c_i32_i8_e32 v215, v203, v3
	v_dot4c_i32_i8_e32 v217, v201, v3
	;; [unrolled: 1-line block ×38, first 2 shown]
	v_mul_lo_u32 v116, v114, v195
	v_dot4c_i32_i8_e32 v211, v181, v3
	v_dot4c_i32_i8_e32 v115, v205, v7
	v_mul_lo_u32 v114, v0, v206
	ds_read_b128 v[4:7], v11 offset:7168
	ds_read_b128 v[0:3], v11 offset:7184
	v_mov_b32_e32 v218, 0
	s_add_i32 s15, s15, 2
	s_add_i32 s16, s16, 2
	s_waitcnt lgkmcnt(1)
	v_dot4c_i32_i8_e32 v218, v185, v4
	v_mov_b32_e32 v185, 0
	v_dot4c_i32_i8_e32 v185, v203, v4
	v_dot4c_i32_i8_e32 v218, v182, v5
	;; [unrolled: 1-line block ×5, first 2 shown]
	v_mov_b32_e32 v183, 0
	v_dot4c_i32_i8_e32 v185, v203, v7
	s_waitcnt lgkmcnt(0)
	v_dot4c_i32_i8_e32 v183, v175, v0
	v_dot4c_i32_i8_e32 v185, v202, v0
	;; [unrolled: 1-line block ×7, first 2 shown]
	v_mul_lo_u32 v182, v218, v194
	v_dot4c_i32_i8_e32 v183, v178, v3
	v_dot4c_i32_i8_e32 v185, v202, v3
	v_mad_u64_u32 v[176:177], s[18:19], v214, v194, v[120:121]
	s_nop 0
	v_mad_u64_u32 v[182:183], s[18:19], v183, v204, v[182:183]
	v_cvt_f32_i32_e32 v177, v182
	v_cvt_f32_i32_e32 v183, v185
	;; [unrolled: 1-line block ×4, first 2 shown]
	v_mov_b32_e32 v120, 0
	v_dot4c_i32_i8_e32 v120, v189, v0
	v_pk_mul_f32 v[182:183], v[14:15], v[182:183] op_sel_hi:[0,1]
	v_mov_b32_e32 v14, 0
	v_dot4c_i32_i8_e32 v14, v201, v4
	v_pk_fma_f32 v[176:177], v[12:13], v[176:177], v[182:183] op_sel_hi:[0,1,1] neg_lo:[0,0,1] neg_hi:[0,0,1]
	v_mov_b32_e32 v12, 0
	v_dot4c_i32_i8_e32 v14, v201, v5
	v_dot4c_i32_i8_e32 v12, v199, v4
	v_dot4c_i32_i8_e32 v14, v201, v6
	v_dot4c_i32_i8_e32 v12, v196, v5
	v_dot4c_i32_i8_e32 v14, v201, v7
	v_dot4c_i32_i8_e32 v12, v197, v6
	v_dot4c_i32_i8_e32 v14, v209, v0
	v_dot4c_i32_i8_e32 v120, v190, v1
	v_dot4c_i32_i8_e32 v12, v198, v7
	v_dot4c_i32_i8_e32 v14, v209, v1
	v_dot4c_i32_i8_e32 v120, v191, v2
	v_dot4c_i32_i8_e32 v14, v209, v2
	v_mul_lo_u32 v12, v12, v207
	v_dot4c_i32_i8_e32 v120, v192, v3
	v_pk_fma_f32 v[22:23], v[112:113], v[176:177], v[22:23]
	v_dot4c_i32_i8_e32 v14, v209, v3
	v_mad_u64_u32 v[176:177], s[18:19], v216, v207, v[118:119]
	v_mad_u64_u32 v[182:183], s[18:19], v120, v210, v[12:13]
	v_cvt_f32_i32_e32 v177, v182
	v_cvt_f32_i32_e32 v183, v14
	v_cvt_f32_i32_e32 v182, v217
	v_cvt_f32_i32_e32 v176, v176
	v_mov_b32_e32 v12, 0
	v_dot4c_i32_i8_e32 v12, v208, v4
	v_pk_mul_f32 v[182:183], v[110:111], v[182:183] op_sel_hi:[0,1]
	v_pk_fma_f32 v[176:177], v[108:109], v[176:177], v[182:183] op_sel_hi:[0,1,1] neg_lo:[0,0,1] neg_hi:[0,0,1]
	v_mov_b32_e32 v108, 0
	v_dot4c_i32_i8_e32 v108, v174, v4
	v_dot4c_i32_i8_e32 v108, v174, v5
	;; [unrolled: 1-line block ×3, first 2 shown]
	v_mov_b32_e32 v110, 0
	v_dot4c_i32_i8_e32 v12, v122, v5
	v_dot4c_i32_i8_e32 v108, v174, v7
	;; [unrolled: 1-line block ×10, first 2 shown]
	v_mul_lo_u32 v12, v12, v186
	v_dot4c_i32_i8_e32 v110, v121, v3
	v_dot4c_i32_i8_e32 v108, v193, v3
	v_mad_u64_u32 v[14:15], s[18:19], v213, v186, v[116:117]
	s_nop 0
	v_mad_u64_u32 v[116:117], s[18:19], v110, v195, v[12:13]
	v_cvt_f32_i32_e32 v15, v116
	v_cvt_f32_i32_e32 v117, v108
	;; [unrolled: 1-line block ×4, first 2 shown]
	v_pk_fma_f32 v[20:21], v[112:113], v[176:177], v[20:21]
	v_add_u32_e32 v13, 4, v13
	v_pk_mul_f32 v[116:117], v[10:11], v[116:117] op_sel_hi:[0,1]
	v_mov_b32_e32 v10, 0
	v_pk_fma_f32 v[14:15], v[8:9], v[14:15], v[116:117] op_sel_hi:[0,1,1] neg_lo:[0,0,1] neg_hi:[0,0,1]
	v_mov_b32_e32 v8, 0
	v_dot4c_i32_i8_e32 v10, v188, v4
	v_dot4c_i32_i8_e32 v8, v187, v4
	;; [unrolled: 1-line block ×5, first 2 shown]
	v_mov_b32_e32 v5, 0
	v_dot4c_i32_i8_e32 v10, v188, v7
	v_dot4c_i32_i8_e32 v5, v170, v0
	;; [unrolled: 1-line block ×9, first 2 shown]
	v_mul_lo_u32 v4, v8, v200
	v_dot4c_i32_i8_e32 v5, v173, v3
	v_dot4c_i32_i8_e32 v10, v205, v3
	v_mad_u64_u32 v[0:1], s[18:19], v211, v200, v[114:115]
	s_nop 0
	v_mad_u64_u32 v[2:3], s[18:19], v5, v206, v[4:5]
	v_cvt_f32_i32_e32 v1, v2
	v_cvt_f32_i32_e32 v3, v10
	;; [unrolled: 1-line block ×4, first 2 shown]
	v_pk_fma_f32 v[18:19], v[112:113], v[14:15], v[18:19]
	v_add_u32_e32 v11, 32, v11
	v_pk_mul_f32 v[2:3], v[106:107], v[2:3] op_sel_hi:[0,1]
	v_pk_fma_f32 v[0:1], v[104:105], v[0:1], v[2:3] op_sel_hi:[0,1,1] neg_lo:[0,0,1] neg_hi:[0,0,1]
	v_pk_fma_f32 v[16:17], v[112:113], v[0:1], v[16:17]
	s_cmp_lt_u32 s17, 14
	s_cbranch_scc1 .LBB127_9
; %bb.10:                               ;   in Loop: Header=BB127_6 Depth=1
	s_or_b32 s15, s0, 1
	s_cmp_ge_i32 s15, s4
	s_barrier
	s_cbranch_scc1 .LBB127_5
; %bb.11:                               ;   in Loop: Header=BB127_6 Depth=1
	v_add_u32_e32 v8, s14, v142
	v_add_u32_e32 v0, v8, v95
	;; [unrolled: 1-line block ×9, first 2 shown]
	v_mad_i64_i32 v[112:113], s[16:17], v8, 36, v[100:101]
	v_add_u32_e32 v8, 8, v9
	v_mad_i64_i32 v[0:1], s[16:17], v0, 36, v[100:101]
	v_mad_i64_i32 v[2:3], s[16:17], v2, 36, v[100:101]
	;; [unrolled: 1-line block ×4, first 2 shown]
	v_mad_u64_u32 v[114:115], s[16:17], v8, 36, s[2:3]
	v_mad_i64_i32 v[10:11], s[16:17], v10, 36, v[100:101]
	v_mad_i64_i32 v[12:13], s[16:17], v12, 36, v[100:101]
	;; [unrolled: 1-line block ×3, first 2 shown]
	global_load_dword v8, v[114:115], off
	s_nop 0
	global_load_dword v0, v[0:1], off offset:4
	s_nop 0
	global_load_dword v1, v[2:3], off offset:4
	;; [unrolled: 2-line block ×3, first 2 shown]
	global_load_dword v3, v[6:7], off offset:4
	s_nop 0
	global_load_dword v4, v[10:11], off offset:4
	global_load_dword v5, v[12:13], off offset:4
	;; [unrolled: 1-line block ×4, first 2 shown]
	s_mov_b32 s15, 16
	s_mov_b32 s17, 14
	v_mov_b32_e32 v11, v158
	v_mov_b32_e32 v13, v157
	s_waitcnt vmcnt(8)
	v_cvt_f32_f16_e32 v8, v8
	s_waitcnt vmcnt(7)
	ds_write_b32 v99, v0
	s_waitcnt vmcnt(6)
	ds_write_b32 v105, v1
	;; [unrolled: 2-line block ×8, first 2 shown]
	ds_write_b32 v93, v8
	s_waitcnt lgkmcnt(0)
	s_barrier
.LBB127_12:                             ;   Parent Loop BB127_6 Depth=1
                                        ; =>  This Inner Loop Header: Depth=2
	s_add_i32 s16, s17, 2
	s_and_b32 s19, s16, 0x3ffffff8
	s_lshl_b32 s19, s19, 2
	v_add_u32_e32 v8, s19, v133
	ds_read2_b32 v[112:113], v13 offset1:32
	ds_read_b128 v[4:7], v11
	ds_read_b128 v[0:3], v11 offset:16
	ds_read2_b32 v[14:15], v8 offset1:1
	s_and_b32 s18, s15, -16
	v_add_u32_e32 v12, s18, v146
	s_add_i32 s18, s17, -14
	s_lshr_b32 s20, s16, 2
	s_waitcnt lgkmcnt(0)
	v_ashrrev_i32_e32 v10, s18, v14
	v_and_b32_e32 v184, 0x3030303, v10
	v_ashrrev_i32_e32 v10, s18, v15
	ds_read2_b32 v[14:15], v8 offset0:2 offset1:3
	v_and_b32_e32 v181, 0x3030303, v10
	s_and_b32 s20, s20, 0x3ffffffc
	v_mov_b32_e32 v201, 0
	v_mov_b32_e32 v203, 0
	s_waitcnt lgkmcnt(0)
	v_ashrrev_i32_e32 v10, s18, v14
	v_and_b32_e32 v182, 0x3030303, v10
	v_ashrrev_i32_e32 v10, s18, v15
	ds_read2_b32 v[14:15], v8 offset0:4 offset1:5
	v_and_b32_e32 v183, 0x3030303, v10
	v_mov_b32_e32 v211, 0
	v_mov_b32_e32 v215, 0
	;; [unrolled: 1-line block ×3, first 2 shown]
	s_waitcnt lgkmcnt(0)
	v_ashrrev_i32_e32 v10, s18, v14
	v_and_b32_e32 v177, 0x3030303, v10
	v_ashrrev_i32_e32 v10, s18, v15
	ds_read2_b32 v[14:15], v8 offset0:6 offset1:7
	v_and_b32_e32 v178, 0x3030303, v10
	v_add_u32_e32 v10, s20, v134
	v_mov_b32_e32 v202, 0
	v_mov_b32_e32 v209, 0
	s_waitcnt lgkmcnt(0)
	v_ashrrev_i32_e32 v8, s18, v14
	v_and_b32_e32 v179, 0x3030303, v8
	v_ashrrev_i32_e32 v8, s18, v15
	v_and_b32_e32 v180, 0x3030303, v8
	v_add3_u32 v8, v151, s17, v12
	ds_read_b32 v10, v10
	ds_read_u16 v114, v8 offset:25074
	v_mov_b32_e32 v214, 0
	v_dot4c_i32_i8_e32 v115, v184, v4
	v_mov_b32_e32 v206, 0
	s_waitcnt lgkmcnt(1)
	v_cvt_f32_f16_e32 v104, v10
	s_waitcnt lgkmcnt(0)
	v_bfe_u32 v8, v114, 4, 4
	v_mul_lo_u32 v190, v8, s1
	v_lshrrev_b32_sdwa v8, v167, v114 dst_sel:DWORD dst_unused:UNUSED_PAD src0_sel:DWORD src1_sel:BYTE_1
	v_mul_lo_u32 v197, v8, s1
	v_add_u32_e32 v8, s19, v135
	ds_read2_b32 v[14:15], v8 offset1:1
	v_cvt_f32_f16_sdwa v106, v10 dst_sel:DWORD dst_unused:UNUSED_PAD src0_sel:WORD_1
	v_dot4c_i32_i8_e32 v201, v190, v4
	v_dot4c_i32_i8_e32 v201, v190, v5
	;; [unrolled: 1-line block ×3, first 2 shown]
	s_waitcnt lgkmcnt(0)
	v_ashrrev_i32_e32 v10, s18, v14
	v_and_b32_e32 v194, 0x3030303, v10
	v_ashrrev_i32_e32 v10, s18, v15
	ds_read2_b32 v[14:15], v8 offset0:2 offset1:3
	v_and_b32_e32 v191, 0x3030303, v10
	v_dot4c_i32_i8_e32 v202, v194, v4
	v_dot4c_i32_i8_e32 v201, v190, v7
	v_mov_b32_e32 v212, 0
	s_waitcnt lgkmcnt(0)
	v_ashrrev_i32_e32 v10, s18, v14
	v_and_b32_e32 v192, 0x3030303, v10
	v_ashrrev_i32_e32 v10, s18, v15
	ds_read2_b32 v[14:15], v8 offset0:4 offset1:5
	v_and_b32_e32 v193, 0x3030303, v10
	v_mov_b32_e32 v213, 0
	v_mov_b32_e32 v216, 0
	v_dot4c_i32_i8_e32 v206, v177, v0
	s_waitcnt lgkmcnt(0)
	v_ashrrev_i32_e32 v10, s18, v14
	v_and_b32_e32 v186, 0x3030303, v10
	v_ashrrev_i32_e32 v10, s18, v15
	ds_read2_b32 v[14:15], v8 offset0:6 offset1:7
	v_and_b32_e32 v187, 0x3030303, v10
	v_add_u32_e32 v10, s20, v136
	v_dot4c_i32_i8_e32 v201, v197, v0
	v_dot4c_i32_i8_e32 v212, v186, v0
	s_waitcnt lgkmcnt(0)
	v_ashrrev_i32_e32 v8, s18, v14
	v_and_b32_e32 v188, 0x3030303, v8
	v_ashrrev_i32_e32 v8, s18, v15
	v_and_b32_e32 v189, 0x3030303, v8
	v_add3_u32 v8, v149, s17, v12
	ds_read_b32 v10, v10
	ds_read_u16 v200, v8 offset:26098
	v_dot4c_i32_i8_e32 v115, v181, v5
	v_dot4c_i32_i8_e32 v206, v178, v1
	;; [unrolled: 1-line block ×3, first 2 shown]
	s_waitcnt lgkmcnt(1)
	v_cvt_f32_f16_e32 v108, v10
	s_waitcnt lgkmcnt(0)
	v_bfe_u32 v8, v200, 4, 4
	v_mul_lo_u32 v196, v8, s1
	v_lshrrev_b32_sdwa v8, v167, v200 dst_sel:DWORD dst_unused:UNUSED_PAD src0_sel:DWORD src1_sel:BYTE_1
	v_mul_lo_u32 v199, v8, s1
	v_add_u32_e32 v8, s19, v137
	ds_read2_b32 v[14:15], v8 offset1:1
	ds_read2_b32 v[116:117], v8 offset0:4 offset1:5
	v_cvt_f32_f16_sdwa v110, v10 dst_sel:DWORD dst_unused:UNUSED_PAD src0_sel:WORD_1
	ds_read2_b32 v[122:123], v8 offset0:6 offset1:7
	v_dot4c_i32_i8_e32 v203, v196, v4
	s_waitcnt lgkmcnt(2)
	v_ashrrev_i32_e32 v10, s18, v14
	v_and_b32_e32 v198, 0x3030303, v10
	v_ashrrev_i32_e32 v10, s18, v15
	ds_read2_b32 v[14:15], v8 offset0:2 offset1:3
	v_and_b32_e32 v119, 0x3030303, v10
	s_waitcnt lgkmcnt(1)
	v_ashrrev_i32_e32 v8, s18, v122
	v_dot4c_i32_i8_e32 v203, v196, v5
	v_dot4c_i32_i8_e32 v203, v196, v6
	s_waitcnt lgkmcnt(0)
	v_ashrrev_i32_e32 v10, s18, v14
	v_and_b32_e32 v120, 0x3030303, v10
	v_ashrrev_i32_e32 v10, s18, v15
	v_and_b32_e32 v121, 0x3030303, v10
	;; [unrolled: 2-line block ×4, first 2 shown]
	v_and_b32_e32 v117, 0x3030303, v8
	v_ashrrev_i32_e32 v8, s18, v123
	v_add_u32_e32 v10, s20, v138
	v_add_u32_e32 v14, s19, v139
	v_and_b32_e32 v118, 0x3030303, v8
	v_add3_u32 v8, v147, s17, v12
	ds_read_b32 v10, v10
	ds_read_u16 v208, v8 offset:27122
	ds_read2_b32 v[122:123], v14 offset1:1
	ds_read2_b32 v[204:205], v14 offset0:6 offset1:7
	v_add3_u32 v12, v144, s17, v12
	v_dot4c_i32_i8_e32 v209, v198, v4
	s_waitcnt lgkmcnt(2)
	v_bfe_u32 v8, v208, 4, 4
	s_waitcnt lgkmcnt(1)
	v_ashrrev_i32_e32 v122, s18, v122
	v_and_b32_e32 v175, 0x3030303, v122
	v_ashrrev_i32_e32 v122, s18, v123
	v_and_b32_e32 v172, 0x3030303, v122
	ds_read2_b32 v[122:123], v14 offset0:2 offset1:3
	v_mul_lo_u32 v171, v8, s1
	v_dot4c_i32_i8_e32 v211, v171, v4
	v_dot4c_i32_i8_e32 v211, v171, v5
	;; [unrolled: 1-line block ×3, first 2 shown]
	s_waitcnt lgkmcnt(0)
	v_ashrrev_i32_e32 v122, s18, v122
	v_and_b32_e32 v173, 0x3030303, v122
	v_ashrrev_i32_e32 v122, s18, v123
	v_and_b32_e32 v174, 0x3030303, v122
	ds_read2_b32 v[122:123], v14 offset0:4 offset1:5
	v_ashrrev_i32_e32 v14, s18, v204
	v_and_b32_e32 v169, 0x3030303, v14
	v_ashrrev_i32_e32 v14, s18, v205
	v_and_b32_e32 v170, 0x3030303, v14
	v_add_u32_e32 v14, s20, v140
	ds_read_b32 v14, v14
	ds_read_u16 v210, v12 offset:28146
	v_lshrrev_b32_sdwa v8, v167, v208 dst_sel:DWORD dst_unused:UNUSED_PAD src0_sel:DWORD src1_sel:BYTE_1
	s_waitcnt lgkmcnt(2)
	v_ashrrev_i32_e32 v122, s18, v122
	v_dot4c_i32_i8_e32 v214, v175, v4
	v_dot4c_i32_i8_e32 v203, v196, v7
	s_waitcnt lgkmcnt(0)
	v_bfe_u32 v12, v210, 4, 4
	v_mul_lo_u32 v176, v12, s1
	v_dot4c_i32_i8_e32 v215, v176, v4
	v_dot4c_i32_i8_e32 v215, v176, v5
	;; [unrolled: 1-line block ×3, first 2 shown]
	v_lshrrev_b32_sdwa v4, v167, v210 dst_sel:DWORD dst_unused:UNUSED_PAD src0_sel:DWORD src1_sel:BYTE_1
	v_dot4c_i32_i8_e32 v211, v171, v7
	v_mul_lo_u32 v185, v8, s1
	v_and_b32_e32 v122, 0x3030303, v122
	v_ashrrev_i32_e32 v123, s18, v123
	v_dot4c_i32_i8_e32 v215, v176, v7
	v_mul_lo_u32 v195, v4, s1
	v_dot4c_i32_i8_e32 v203, v199, v0
	v_dot4c_i32_i8_e32 v213, v15, v0
	;; [unrolled: 1-line block ×3, first 2 shown]
	v_and_b32_e32 v123, 0x3030303, v123
	v_dot4c_i32_i8_e32 v216, v122, v0
	v_dot4c_i32_i8_e32 v215, v195, v0
	;; [unrolled: 1-line block ×35, first 2 shown]
	ds_read_b128 v[4:7], v11 offset:1024
	ds_read_b128 v[0:3], v11 offset:1040
	v_mov_b32_e32 v217, 0
	v_mov_b32_e32 v207, 0
	;; [unrolled: 1-line block ×3, first 2 shown]
	s_waitcnt lgkmcnt(1)
	v_dot4c_i32_i8_e32 v217, v190, v4
	v_dot4c_i32_i8_e32 v217, v190, v5
	;; [unrolled: 1-line block ×6, first 2 shown]
	s_waitcnt lgkmcnt(0)
	v_dot4c_i32_i8_e32 v218, v177, v0
	v_dot4c_i32_i8_e32 v207, v182, v6
	;; [unrolled: 1-line block ×7, first 2 shown]
	v_and_b32_e32 v205, 15, v114
	v_and_b32_sdwa v204, v114, v168 dst_sel:DWORD dst_unused:UNUSED_PAD src0_sel:BYTE_1 src1_sel:DWORD
	v_dot4c_i32_i8_e32 v217, v197, v2
	v_dot4c_i32_i8_e32 v218, v180, v3
	v_mul_lo_u32 v114, v204, v206
	v_mul_lo_u32 v206, v205, v207
                                        ; kill: def $vgpr207 killed $sgpr0 killed $exec
	v_dot4c_i32_i8_e32 v217, v197, v3
	v_mad_u64_u32 v[206:207], s[18:19], v204, v218, v[206:207]
	v_mad_u64_u32 v[114:115], s[18:19], v205, v115, v[114:115]
	v_cvt_f32_i32_e32 v115, v114
	v_cvt_f32_i32_e32 v114, v206
	;; [unrolled: 1-line block ×4, first 2 shown]
	v_mov_b32_e32 v217, 0
	v_dot4c_i32_i8_e32 v217, v196, v4
	v_dot4c_i32_i8_e32 v217, v196, v5
	v_pk_mul_f32 v[206:207], v[106:107], v[206:207] op_sel_hi:[0,1]
	v_pk_fma_f32 v[206:207], v[104:105], v[114:115], v[206:207] op_sel_hi:[0,1,1] neg_lo:[0,0,1] neg_hi:[0,0,1]
	v_mov_b32_e32 v114, v113
	v_mov_b32_e32 v113, 0
	v_dot4c_i32_i8_e32 v113, v194, v4
	v_dot4c_i32_i8_e32 v217, v196, v6
	v_mov_b32_e32 v201, 0
	v_dot4c_i32_i8_e32 v113, v191, v5
	v_dot4c_i32_i8_e32 v217, v196, v7
	;; [unrolled: 1-line block ×3, first 2 shown]
	v_mov_b32_e32 v115, v112
	v_dot4c_i32_i8_e32 v113, v192, v6
	v_dot4c_i32_i8_e32 v217, v199, v0
	;; [unrolled: 1-line block ×3, first 2 shown]
	v_pk_fma_f32 v[78:79], v[114:115], v[206:207], v[78:79]
	v_dot4c_i32_i8_e32 v113, v193, v7
	v_dot4c_i32_i8_e32 v217, v199, v1
	;; [unrolled: 1-line block ×3, first 2 shown]
	v_and_b32_e32 v207, 15, v200
	v_and_b32_sdwa v206, v200, v168 dst_sel:DWORD dst_unused:UNUSED_PAD src0_sel:BYTE_1 src1_sel:DWORD
	v_dot4c_i32_i8_e32 v217, v199, v2
	v_dot4c_i32_i8_e32 v201, v189, v3
	v_mul_lo_u32 v112, v206, v212
	v_mul_lo_u32 v200, v207, v113
                                        ; kill: def $vgpr113 killed $sgpr0 killed $exec
	v_dot4c_i32_i8_e32 v217, v199, v3
	v_mad_u64_u32 v[200:201], s[18:19], v206, v201, v[200:201]
	v_mad_u64_u32 v[112:113], s[18:19], v207, v202, v[112:113]
	v_cvt_f32_i32_e32 v113, v112
	v_cvt_f32_i32_e32 v112, v200
	;; [unrolled: 1-line block ×4, first 2 shown]
	v_mov_b32_e32 v212, 0
	v_dot4c_i32_i8_e32 v212, v171, v4
	v_dot4c_i32_i8_e32 v212, v171, v5
	v_pk_mul_f32 v[200:201], v[110:111], v[200:201] op_sel_hi:[0,1]
	v_pk_fma_f32 v[112:113], v[108:109], v[112:113], v[200:201] op_sel_hi:[0,1,1] neg_lo:[0,0,1] neg_hi:[0,0,1]
	v_pk_fma_f32 v[88:89], v[114:115], v[112:113], v[88:89]
	v_mov_b32_e32 v113, 0
	v_dot4c_i32_i8_e32 v113, v198, v4
	v_dot4c_i32_i8_e32 v212, v171, v6
	v_mov_b32_e32 v201, 0
	v_dot4c_i32_i8_e32 v113, v119, v5
	v_dot4c_i32_i8_e32 v212, v171, v7
	;; [unrolled: 1-line block ×9, first 2 shown]
	v_and_b32_e32 v203, 15, v208
	v_and_b32_sdwa v202, v208, v168 dst_sel:DWORD dst_unused:UNUSED_PAD src0_sel:BYTE_1 src1_sel:DWORD
	v_dot4c_i32_i8_e32 v212, v185, v2
	v_dot4c_i32_i8_e32 v201, v118, v3
	v_mul_lo_u32 v112, v202, v213
	v_mul_lo_u32 v200, v203, v113
                                        ; kill: def $vgpr113 killed $sgpr0 killed $exec
	v_dot4c_i32_i8_e32 v212, v185, v3
	v_mad_u64_u32 v[200:201], s[18:19], v202, v201, v[200:201]
	v_mad_u64_u32 v[112:113], s[18:19], v203, v209, v[112:113]
	v_cvt_f32_f16_e32 v8, v10
	v_cvt_f32_f16_sdwa v10, v10 dst_sel:DWORD dst_unused:UNUSED_PAD src0_sel:WORD_1
	v_cvt_f32_i32_e32 v113, v112
	v_cvt_f32_i32_e32 v112, v200
	;; [unrolled: 1-line block ×4, first 2 shown]
	v_cvt_f32_f16_e32 v12, v14
	v_cvt_f32_f16_sdwa v14, v14 dst_sel:DWORD dst_unused:UNUSED_PAD src0_sel:WORD_1
	v_mov_b32_e32 v212, 0
	v_pk_mul_f32 v[200:201], v[10:11], v[200:201] op_sel_hi:[0,1]
	v_pk_fma_f32 v[112:113], v[8:9], v[112:113], v[200:201] op_sel_hi:[0,1,1] neg_lo:[0,0,1] neg_hi:[0,0,1]
	v_pk_fma_f32 v[80:81], v[114:115], v[112:113], v[80:81]
	v_mov_b32_e32 v113, 0
	v_dot4c_i32_i8_e32 v113, v176, v4
	v_mov_b32_e32 v112, 0
	v_dot4c_i32_i8_e32 v113, v176, v5
	v_dot4c_i32_i8_e32 v112, v175, v4
	;; [unrolled: 1-line block ×3, first 2 shown]
	v_mov_b32_e32 v4, 0
	v_dot4c_i32_i8_e32 v112, v172, v5
	v_dot4c_i32_i8_e32 v113, v176, v7
	;; [unrolled: 1-line block ×9, first 2 shown]
	v_and_b32_e32 v201, 15, v210
	v_and_b32_sdwa v200, v210, v168 dst_sel:DWORD dst_unused:UNUSED_PAD src0_sel:BYTE_1 src1_sel:DWORD
	v_dot4c_i32_i8_e32 v113, v195, v2
	v_dot4c_i32_i8_e32 v4, v170, v3
	v_mul_lo_u32 v0, v200, v216
	v_mul_lo_u32 v2, v201, v112
                                        ; kill: def $vgpr1 killed $sgpr0 killed $exec
	v_dot4c_i32_i8_e32 v113, v195, v3
	v_mad_u64_u32 v[2:3], s[18:19], v200, v4, v[2:3]
	v_mad_u64_u32 v[0:1], s[18:19], v201, v214, v[0:1]
	v_cvt_f32_i32_e32 v1, v0
	v_cvt_f32_i32_e32 v0, v2
	;; [unrolled: 1-line block ×4, first 2 shown]
	v_mov_b32_e32 v210, 0
	v_mov_b32_e32 v215, 0
	;; [unrolled: 1-line block ×3, first 2 shown]
	v_pk_mul_f32 v[2:3], v[14:15], v[2:3] op_sel_hi:[0,1]
	v_pk_fma_f32 v[0:1], v[12:13], v[0:1], v[2:3] op_sel_hi:[0,1,1] neg_lo:[0,0,1] neg_hi:[0,0,1]
	v_pk_fma_f32 v[64:65], v[114:115], v[0:1], v[64:65]
	ds_read2_b32 v[112:113], v13 offset0:64 offset1:96
	ds_read_b128 v[0:3], v11 offset:2048
	ds_read_b128 v[4:7], v11 offset:2064
	v_mov_b32_e32 v115, 0
	v_mov_b32_e32 v208, 0
	;; [unrolled: 1-line block ×3, first 2 shown]
	s_waitcnt lgkmcnt(1)
	v_dot4c_i32_i8_e32 v210, v190, v0
	v_dot4c_i32_i8_e32 v212, v196, v0
	;; [unrolled: 1-line block ×14, first 2 shown]
	v_mov_b32_e32 v213, 0
	v_mov_b32_e32 v214, 0
	v_dot4c_i32_i8_e32 v215, v171, v3
	v_mov_b32_e32 v216, 0
	v_mov_b32_e32 v217, 0
	v_dot4c_i32_i8_e32 v218, v176, v3
	v_mov_b32_e32 v219, 0
	v_dot4c_i32_i8_e32 v115, v184, v0
	s_waitcnt lgkmcnt(0)
	v_dot4c_i32_i8_e32 v208, v177, v4
	v_dot4c_i32_i8_e32 v210, v197, v4
	;; [unrolled: 1-line block ×47, first 2 shown]
	ds_read_b128 v[4:7], v11 offset:3072
	ds_read_b128 v[0:3], v11 offset:3088
	v_mov_b32_e32 v220, 0
	v_mov_b32_e32 v114, 0
	;; [unrolled: 1-line block ×3, first 2 shown]
	s_waitcnt lgkmcnt(1)
	v_dot4c_i32_i8_e32 v220, v190, v4
	v_dot4c_i32_i8_e32 v220, v190, v5
	;; [unrolled: 1-line block ×6, first 2 shown]
	s_waitcnt lgkmcnt(0)
	v_dot4c_i32_i8_e32 v221, v177, v0
	v_dot4c_i32_i8_e32 v114, v182, v6
	;; [unrolled: 1-line block ×7, first 2 shown]
	v_mul_lo_u32 v208, v208, v204
                                        ; kill: def $vgpr209 killed $sgpr0 killed $exec
	v_dot4c_i32_i8_e32 v220, v197, v2
	v_dot4c_i32_i8_e32 v221, v180, v3
	v_mul_lo_u32 v114, v114, v205
	v_mad_u64_u32 v[208:209], s[18:19], v115, v205, v[208:209]
                                        ; kill: def $vgpr115 killed $sgpr0 killed $exec
	v_dot4c_i32_i8_e32 v220, v197, v3
	v_mad_u64_u32 v[114:115], s[18:19], v221, v204, v[114:115]
	v_cvt_f32_i32_e32 v115, v114
	v_cvt_f32_i32_e32 v114, v208
	;; [unrolled: 1-line block ×4, first 2 shown]
	v_mov_b32_e32 v210, 0
	v_dot4c_i32_i8_e32 v210, v196, v4
	v_dot4c_i32_i8_e32 v210, v196, v5
	v_pk_mul_f32 v[208:209], v[106:107], v[208:209] op_sel_hi:[0,1]
	v_pk_fma_f32 v[114:115], v[104:105], v[114:115], v[208:209] op_sel_hi:[0,1,1] neg_lo:[0,0,1] neg_hi:[0,0,1]
	v_pk_fma_f32 v[38:39], v[112:113], v[114:115], v[38:39]
	v_mov_b32_e32 v114, 0
	v_dot4c_i32_i8_e32 v114, v194, v4
	v_dot4c_i32_i8_e32 v210, v196, v6
	v_mov_b32_e32 v115, 0
	v_dot4c_i32_i8_e32 v114, v191, v5
	v_dot4c_i32_i8_e32 v210, v196, v7
	v_dot4c_i32_i8_e32 v115, v186, v0
	v_dot4c_i32_i8_e32 v114, v192, v6
	v_dot4c_i32_i8_e32 v210, v199, v0
	v_dot4c_i32_i8_e32 v115, v187, v1
	v_dot4c_i32_i8_e32 v114, v193, v7
	v_dot4c_i32_i8_e32 v210, v199, v1
	v_dot4c_i32_i8_e32 v115, v188, v2
	v_dot4c_i32_i8_e32 v210, v199, v2
	v_dot4c_i32_i8_e32 v115, v189, v3
	v_mul_lo_u32 v114, v114, v207
	v_mul_lo_u32 v208, v213, v206
                                        ; kill: def $vgpr209 killed $sgpr0 killed $exec
	v_dot4c_i32_i8_e32 v210, v199, v3
	v_mad_u64_u32 v[208:209], s[18:19], v211, v207, v[208:209]
	v_mad_u64_u32 v[114:115], s[18:19], v115, v206, v[114:115]
	v_cvt_f32_i32_e32 v115, v114
	v_cvt_f32_i32_e32 v114, v208
	;; [unrolled: 1-line block ×4, first 2 shown]
	v_mov_b32_e32 v210, 0
	v_dot4c_i32_i8_e32 v210, v171, v4
	v_dot4c_i32_i8_e32 v210, v171, v5
	v_pk_mul_f32 v[208:209], v[110:111], v[208:209] op_sel_hi:[0,1]
	v_pk_fma_f32 v[114:115], v[108:109], v[114:115], v[208:209] op_sel_hi:[0,1,1] neg_lo:[0,0,1] neg_hi:[0,0,1]
	v_pk_fma_f32 v[36:37], v[112:113], v[114:115], v[36:37]
	v_mov_b32_e32 v114, 0
	v_dot4c_i32_i8_e32 v114, v198, v4
	v_dot4c_i32_i8_e32 v210, v171, v6
	v_mov_b32_e32 v115, 0
	v_dot4c_i32_i8_e32 v114, v119, v5
	v_dot4c_i32_i8_e32 v210, v171, v7
	;; [unrolled: 1-line block ×11, first 2 shown]
	v_mul_lo_u32 v114, v114, v203
	v_mul_lo_u32 v208, v216, v202
                                        ; kill: def $vgpr209 killed $sgpr0 killed $exec
	v_dot4c_i32_i8_e32 v210, v185, v3
	v_mad_u64_u32 v[208:209], s[18:19], v214, v203, v[208:209]
	v_mad_u64_u32 v[114:115], s[18:19], v115, v202, v[114:115]
	v_cvt_f32_i32_e32 v115, v114
	v_cvt_f32_i32_e32 v114, v208
	;; [unrolled: 1-line block ×4, first 2 shown]
	v_mov_b32_e32 v210, 0
	v_mov_b32_e32 v212, 0
	;; [unrolled: 1-line block ×3, first 2 shown]
	v_pk_mul_f32 v[208:209], v[10:11], v[208:209] op_sel_hi:[0,1]
	v_pk_fma_f32 v[114:115], v[8:9], v[114:115], v[208:209] op_sel_hi:[0,1,1] neg_lo:[0,0,1] neg_hi:[0,0,1]
	v_pk_fma_f32 v[34:35], v[112:113], v[114:115], v[34:35]
	v_mov_b32_e32 v115, 0
	v_dot4c_i32_i8_e32 v115, v176, v4
	v_mov_b32_e32 v114, 0
	v_dot4c_i32_i8_e32 v115, v176, v5
	v_dot4c_i32_i8_e32 v114, v175, v4
	;; [unrolled: 1-line block ×3, first 2 shown]
	v_mov_b32_e32 v4, 0
	v_dot4c_i32_i8_e32 v114, v172, v5
	v_dot4c_i32_i8_e32 v115, v176, v7
	;; [unrolled: 1-line block ×11, first 2 shown]
	v_mul_lo_u32 v0, v114, v201
	v_mul_lo_u32 v2, v219, v200
                                        ; kill: def $vgpr1 killed $sgpr0 killed $exec
	v_dot4c_i32_i8_e32 v115, v195, v3
	v_mad_u64_u32 v[2:3], s[18:19], v217, v201, v[2:3]
	v_mad_u64_u32 v[0:1], s[18:19], v4, v200, v[0:1]
	v_cvt_f32_i32_e32 v1, v0
	v_cvt_f32_i32_e32 v0, v2
	;; [unrolled: 1-line block ×4, first 2 shown]
	v_mov_b32_e32 v218, 0
	v_mov_b32_e32 v115, 0
	;; [unrolled: 1-line block ×3, first 2 shown]
	v_pk_mul_f32 v[2:3], v[14:15], v[2:3] op_sel_hi:[0,1]
	v_pk_fma_f32 v[0:1], v[12:13], v[0:1], v[2:3] op_sel_hi:[0,1,1] neg_lo:[0,0,1] neg_hi:[0,0,1]
	v_pk_fma_f32 v[32:33], v[112:113], v[0:1], v[32:33]
	ds_read2_b32 v[112:113], v13 offset0:128 offset1:160
	ds_read_b128 v[0:3], v11 offset:4096
	ds_read_b128 v[4:7], v11 offset:4112
	v_mov_b32_e32 v211, 0
	v_mov_b32_e32 v213, 0
	;; [unrolled: 1-line block ×3, first 2 shown]
	s_waitcnt lgkmcnt(1)
	v_dot4c_i32_i8_e32 v210, v190, v0
	v_dot4c_i32_i8_e32 v212, v196, v0
	;; [unrolled: 1-line block ×15, first 2 shown]
	v_mov_b32_e32 v216, 0
	v_mov_b32_e32 v217, 0
	v_dot4c_i32_i8_e32 v218, v176, v3
	v_mov_b32_e32 v219, 0
	v_dot4c_i32_i8_e32 v115, v184, v0
	s_waitcnt lgkmcnt(0)
	v_dot4c_i32_i8_e32 v208, v177, v4
	v_dot4c_i32_i8_e32 v210, v197, v4
	;; [unrolled: 1-line block ×47, first 2 shown]
	ds_read_b128 v[4:7], v11 offset:5120
	ds_read_b128 v[0:3], v11 offset:5136
	v_mov_b32_e32 v220, 0
	v_mov_b32_e32 v114, 0
	v_mov_b32_e32 v221, 0
	s_waitcnt lgkmcnt(1)
	v_dot4c_i32_i8_e32 v220, v190, v4
	v_dot4c_i32_i8_e32 v220, v190, v5
	;; [unrolled: 1-line block ×6, first 2 shown]
	s_waitcnt lgkmcnt(0)
	v_dot4c_i32_i8_e32 v221, v177, v0
	v_dot4c_i32_i8_e32 v114, v182, v6
	;; [unrolled: 1-line block ×7, first 2 shown]
	v_mul_lo_u32 v208, v208, v204
                                        ; kill: def $vgpr209 killed $sgpr0 killed $exec
	v_dot4c_i32_i8_e32 v220, v197, v2
	v_dot4c_i32_i8_e32 v221, v180, v3
	v_mul_lo_u32 v114, v114, v205
	v_mad_u64_u32 v[208:209], s[18:19], v115, v205, v[208:209]
                                        ; kill: def $vgpr115 killed $sgpr0 killed $exec
	v_dot4c_i32_i8_e32 v220, v197, v3
	v_mad_u64_u32 v[114:115], s[18:19], v221, v204, v[114:115]
	v_cvt_f32_i32_e32 v115, v114
	v_cvt_f32_i32_e32 v114, v208
	v_cvt_f32_i32_e32 v209, v220
	v_cvt_f32_i32_e32 v208, v210
	v_mov_b32_e32 v210, 0
	v_dot4c_i32_i8_e32 v210, v196, v4
	v_dot4c_i32_i8_e32 v210, v196, v5
	v_pk_mul_f32 v[208:209], v[106:107], v[208:209] op_sel_hi:[0,1]
	v_pk_fma_f32 v[114:115], v[104:105], v[114:115], v[208:209] op_sel_hi:[0,1,1] neg_lo:[0,0,1] neg_hi:[0,0,1]
	v_pk_fma_f32 v[30:31], v[112:113], v[114:115], v[30:31]
	v_mov_b32_e32 v114, 0
	v_dot4c_i32_i8_e32 v114, v194, v4
	v_dot4c_i32_i8_e32 v210, v196, v6
	v_mov_b32_e32 v115, 0
	v_dot4c_i32_i8_e32 v114, v191, v5
	v_dot4c_i32_i8_e32 v210, v196, v7
	;; [unrolled: 1-line block ×11, first 2 shown]
	v_mul_lo_u32 v114, v114, v207
	v_mul_lo_u32 v208, v213, v206
                                        ; kill: def $vgpr209 killed $sgpr0 killed $exec
	v_dot4c_i32_i8_e32 v210, v199, v3
	v_mad_u64_u32 v[208:209], s[18:19], v211, v207, v[208:209]
	v_mad_u64_u32 v[114:115], s[18:19], v115, v206, v[114:115]
	v_cvt_f32_i32_e32 v115, v114
	v_cvt_f32_i32_e32 v114, v208
	;; [unrolled: 1-line block ×4, first 2 shown]
	v_mov_b32_e32 v210, 0
	v_dot4c_i32_i8_e32 v210, v171, v4
	v_dot4c_i32_i8_e32 v210, v171, v5
	v_pk_mul_f32 v[208:209], v[110:111], v[208:209] op_sel_hi:[0,1]
	v_pk_fma_f32 v[114:115], v[108:109], v[114:115], v[208:209] op_sel_hi:[0,1,1] neg_lo:[0,0,1] neg_hi:[0,0,1]
	v_pk_fma_f32 v[28:29], v[112:113], v[114:115], v[28:29]
	v_mov_b32_e32 v114, 0
	v_dot4c_i32_i8_e32 v114, v198, v4
	v_dot4c_i32_i8_e32 v210, v171, v6
	v_mov_b32_e32 v115, 0
	v_dot4c_i32_i8_e32 v114, v119, v5
	v_dot4c_i32_i8_e32 v210, v171, v7
	;; [unrolled: 1-line block ×11, first 2 shown]
	v_mul_lo_u32 v114, v114, v203
	v_mul_lo_u32 v208, v216, v202
                                        ; kill: def $vgpr209 killed $sgpr0 killed $exec
	v_dot4c_i32_i8_e32 v210, v185, v3
	v_mad_u64_u32 v[208:209], s[18:19], v214, v203, v[208:209]
	v_mad_u64_u32 v[114:115], s[18:19], v115, v202, v[114:115]
	v_cvt_f32_i32_e32 v115, v114
	v_cvt_f32_i32_e32 v114, v208
	;; [unrolled: 1-line block ×4, first 2 shown]
	v_mov_b32_e32 v212, 0
	v_mov_b32_e32 v215, 0
	;; [unrolled: 1-line block ×3, first 2 shown]
	v_pk_mul_f32 v[208:209], v[10:11], v[208:209] op_sel_hi:[0,1]
	v_pk_fma_f32 v[114:115], v[8:9], v[114:115], v[208:209] op_sel_hi:[0,1,1] neg_lo:[0,0,1] neg_hi:[0,0,1]
	v_pk_fma_f32 v[26:27], v[112:113], v[114:115], v[26:27]
	v_mov_b32_e32 v115, 0
	v_dot4c_i32_i8_e32 v115, v176, v4
	v_mov_b32_e32 v114, 0
	v_dot4c_i32_i8_e32 v115, v176, v5
	v_dot4c_i32_i8_e32 v114, v175, v4
	;; [unrolled: 1-line block ×3, first 2 shown]
	v_mov_b32_e32 v4, 0
	v_dot4c_i32_i8_e32 v114, v172, v5
	v_dot4c_i32_i8_e32 v115, v176, v7
	;; [unrolled: 1-line block ×11, first 2 shown]
	v_mul_lo_u32 v0, v114, v201
	v_mul_lo_u32 v2, v219, v200
                                        ; kill: def $vgpr1 killed $sgpr0 killed $exec
	v_dot4c_i32_i8_e32 v115, v195, v3
	v_mad_u64_u32 v[2:3], s[18:19], v217, v201, v[2:3]
	v_mad_u64_u32 v[0:1], s[18:19], v4, v200, v[0:1]
	v_cvt_f32_i32_e32 v1, v0
	v_cvt_f32_i32_e32 v0, v2
	;; [unrolled: 1-line block ×4, first 2 shown]
	v_mov_b32_e32 v208, 0
	v_mov_b32_e32 v114, 0
	;; [unrolled: 1-line block ×3, first 2 shown]
	v_pk_mul_f32 v[2:3], v[14:15], v[2:3] op_sel_hi:[0,1]
	v_pk_fma_f32 v[0:1], v[12:13], v[0:1], v[2:3] op_sel_hi:[0,1,1] neg_lo:[0,0,1] neg_hi:[0,0,1]
	v_pk_fma_f32 v[24:25], v[112:113], v[0:1], v[24:25]
	ds_read2_b32 v[112:113], v13 offset0:192 offset1:224
	ds_read_b128 v[0:3], v11 offset:6144
	ds_read_b128 v[4:7], v11 offset:6160
	v_mov_b32_e32 v214, 0
	v_mov_b32_e32 v216, 0
	;; [unrolled: 1-line block ×3, first 2 shown]
	s_waitcnt lgkmcnt(1)
	v_dot4c_i32_i8_e32 v212, v190, v0
	v_dot4c_i32_i8_e32 v215, v196, v0
	;; [unrolled: 1-line block ×15, first 2 shown]
	v_mov_b32_e32 v217, 0
	v_mov_b32_e32 v115, 0
	v_dot4c_i32_i8_e32 v114, v176, v3
	v_mov_b32_e32 v209, 0
	v_dot4c_i32_i8_e32 v211, v184, v0
	s_waitcnt lgkmcnt(0)
	v_dot4c_i32_i8_e32 v213, v177, v4
	v_dot4c_i32_i8_e32 v212, v197, v4
	;; [unrolled: 1-line block ×47, first 2 shown]
	ds_read_b128 v[4:7], v11 offset:7168
	ds_read_b128 v[0:3], v11 offset:7184
	v_mov_b32_e32 v218, 0
	s_add_i32 s15, s15, 2
	s_cmp_lt_u32 s16, 22
	s_waitcnt lgkmcnt(1)
	v_dot4c_i32_i8_e32 v218, v184, v4
	v_mov_b32_e32 v184, 0
	v_dot4c_i32_i8_e32 v184, v190, v4
	v_dot4c_i32_i8_e32 v218, v181, v5
	;; [unrolled: 1-line block ×5, first 2 shown]
	v_mov_b32_e32 v182, 0
	v_dot4c_i32_i8_e32 v184, v190, v7
	s_waitcnt lgkmcnt(0)
	v_dot4c_i32_i8_e32 v182, v177, v0
	v_dot4c_i32_i8_e32 v184, v197, v0
	;; [unrolled: 1-line block ×8, first 2 shown]
	v_mul_lo_u32 v178, v218, v205
	v_mul_lo_u32 v180, v213, v204
	v_dot4c_i32_i8_e32 v184, v197, v3
	v_mad_u64_u32 v[180:181], s[18:19], v211, v205, v[180:181]
	v_mad_u64_u32 v[178:179], s[18:19], v182, v204, v[178:179]
	v_cvt_f32_i32_e32 v179, v178
	v_cvt_f32_i32_e32 v178, v180
	;; [unrolled: 1-line block ×4, first 2 shown]
	v_mov_b32_e32 v177, 0
	v_dot4c_i32_i8_e32 v177, v196, v4
	v_dot4c_i32_i8_e32 v177, v196, v5
	v_pk_mul_f32 v[180:181], v[106:107], v[180:181] op_sel_hi:[0,1]
	v_pk_fma_f32 v[178:179], v[104:105], v[178:179], v[180:181] op_sel_hi:[0,1,1] neg_lo:[0,0,1] neg_hi:[0,0,1]
	v_mov_b32_e32 v104, 0
	v_dot4c_i32_i8_e32 v104, v194, v4
	v_dot4c_i32_i8_e32 v177, v196, v6
	v_mov_b32_e32 v180, 0
	v_dot4c_i32_i8_e32 v104, v191, v5
	v_dot4c_i32_i8_e32 v177, v196, v7
	;; [unrolled: 1-line block ×11, first 2 shown]
	v_mul_lo_u32 v104, v104, v207
	v_mul_lo_u32 v106, v216, v206
	v_pk_fma_f32 v[22:23], v[112:113], v[178:179], v[22:23]
	v_dot4c_i32_i8_e32 v177, v199, v3
	v_mad_u64_u32 v[178:179], s[18:19], v214, v207, v[106:107]
	v_mad_u64_u32 v[180:181], s[18:19], v180, v206, v[104:105]
	v_cvt_f32_i32_e32 v179, v180
	v_cvt_f32_i32_e32 v181, v177
	;; [unrolled: 1-line block ×4, first 2 shown]
	v_mov_b32_e32 v104, 0
	v_dot4c_i32_i8_e32 v104, v198, v4
	v_pk_mul_f32 v[180:181], v[110:111], v[180:181] op_sel_hi:[0,1]
	v_pk_fma_f32 v[178:179], v[108:109], v[178:179], v[180:181] op_sel_hi:[0,1,1] neg_lo:[0,0,1] neg_hi:[0,0,1]
	v_mov_b32_e32 v108, 0
	v_dot4c_i32_i8_e32 v108, v171, v4
	v_dot4c_i32_i8_e32 v108, v171, v5
	;; [unrolled: 1-line block ×3, first 2 shown]
	v_mov_b32_e32 v110, 0
	v_dot4c_i32_i8_e32 v104, v119, v5
	v_dot4c_i32_i8_e32 v108, v171, v7
	;; [unrolled: 1-line block ×11, first 2 shown]
	v_mul_lo_u32 v104, v104, v203
	v_mul_lo_u32 v106, v217, v202
	v_dot4c_i32_i8_e32 v108, v185, v3
	v_mad_u64_u32 v[116:117], s[18:19], v210, v203, v[106:107]
	v_mad_u64_u32 v[118:119], s[18:19], v110, v202, v[104:105]
	v_cvt_f32_i32_e32 v117, v118
	v_cvt_f32_i32_e32 v119, v108
	;; [unrolled: 1-line block ×4, first 2 shown]
                                        ; kill: def $vgpr15 killed $sgpr0 killed $exec
	v_pk_fma_f32 v[20:21], v[112:113], v[178:179], v[20:21]
	s_mov_b32 s17, s16
	v_pk_mul_f32 v[118:119], v[10:11], v[118:119] op_sel_hi:[0,1]
	v_mov_b32_e32 v10, 0
	v_dot4c_i32_i8_e32 v10, v176, v4
	v_pk_fma_f32 v[116:117], v[8:9], v[116:117], v[118:119] op_sel_hi:[0,1,1] neg_lo:[0,0,1] neg_hi:[0,0,1]
	v_mov_b32_e32 v8, 0
	v_dot4c_i32_i8_e32 v10, v176, v5
	v_dot4c_i32_i8_e32 v8, v175, v4
	;; [unrolled: 1-line block ×3, first 2 shown]
	v_mov_b32_e32 v4, 0
	v_dot4c_i32_i8_e32 v8, v172, v5
	v_dot4c_i32_i8_e32 v10, v176, v7
	;; [unrolled: 1-line block ×11, first 2 shown]
	v_mul_lo_u32 v0, v8, v201
	v_mul_lo_u32 v2, v209, v200
                                        ; kill: def $vgpr1 killed $sgpr0 killed $exec
	v_dot4c_i32_i8_e32 v10, v195, v3
	v_mad_u64_u32 v[2:3], s[18:19], v115, v201, v[2:3]
	v_mad_u64_u32 v[0:1], s[18:19], v4, v200, v[0:1]
	v_cvt_f32_i32_e32 v1, v0
	v_cvt_f32_i32_e32 v0, v2
	;; [unrolled: 1-line block ×4, first 2 shown]
	v_pk_fma_f32 v[18:19], v[112:113], v[116:117], v[18:19]
	v_add_u32_e32 v11, 32, v11
	v_pk_mul_f32 v[2:3], v[14:15], v[2:3] op_sel_hi:[0,1]
	v_pk_fma_f32 v[0:1], v[12:13], v[0:1], v[2:3] op_sel_hi:[0,1,1] neg_lo:[0,0,1] neg_hi:[0,0,1]
	v_pk_fma_f32 v[16:17], v[112:113], v[0:1], v[16:17]
	v_add_u32_e32 v13, 4, v13
	s_cbranch_scc1 .LBB127_12
; %bb.13:                               ;   in Loop: Header=BB127_6 Depth=1
	v_add_u32_e32 v8, s14, v143
	v_add_u32_e32 v0, v8, v95
	;; [unrolled: 1-line block ×9, first 2 shown]
	v_mad_i64_i32 v[112:113], s[14:15], v8, 36, v[100:101]
	v_add_u32_e32 v8, 12, v9
	v_mad_i64_i32 v[0:1], s[14:15], v0, 36, v[100:101]
	v_mad_i64_i32 v[2:3], s[14:15], v2, 36, v[100:101]
	;; [unrolled: 1-line block ×4, first 2 shown]
	v_mad_u64_u32 v[8:9], s[14:15], v8, 36, s[2:3]
	s_barrier
	v_mad_i64_i32 v[10:11], s[14:15], v10, 36, v[100:101]
	v_mad_i64_i32 v[12:13], s[14:15], v12, 36, v[100:101]
	;; [unrolled: 1-line block ×3, first 2 shown]
	global_load_dword v8, v[8:9], off
	s_nop 0
	global_load_dword v0, v[0:1], off offset:4
	s_nop 0
	global_load_dword v1, v[2:3], off offset:4
	;; [unrolled: 2-line block ×3, first 2 shown]
	global_load_dword v3, v[6:7], off offset:4
	s_nop 0
	global_load_dword v4, v[10:11], off offset:4
	global_load_dword v5, v[12:13], off offset:4
	;; [unrolled: 1-line block ×4, first 2 shown]
	s_mov_b32 s14, 24
	s_mov_b32 s16, 22
	v_mov_b32_e32 v113, v158
	v_mov_b32_e32 v115, v157
	s_waitcnt vmcnt(8)
	v_cvt_f32_f16_e32 v8, v8
	s_waitcnt vmcnt(7)
	ds_write_b32 v99, v0
	s_waitcnt vmcnt(6)
	ds_write_b32 v105, v1
	;; [unrolled: 2-line block ×8, first 2 shown]
	ds_write_b32 v93, v8
	s_waitcnt lgkmcnt(0)
	s_barrier
.LBB127_14:                             ;   Parent Loop BB127_6 Depth=1
                                        ; =>  This Inner Loop Header: Depth=2
	s_add_i32 s15, s16, 2
	s_and_b32 s18, s15, 0x3ffffff8
	s_lshl_b32 s18, s18, 2
	v_add_u32_e32 v10, s18, v133
	ds_read2_b32 v[120:121], v115 offset1:32
	ds_read_b128 v[4:7], v113
	ds_read_b128 v[0:3], v113 offset:16
	ds_read2_b32 v[8:9], v10 offset1:1
	s_sub_i32 s17, s16, 22
	s_and_b32 s19, s14, -16
	s_add_i32 s16, s16, s19
	s_lshr_b32 s19, s15, 2
	s_waitcnt lgkmcnt(0)
	v_ashrrev_i32_e32 v8, s17, v8
	v_and_b32_e32 v194, 0x3030303, v8
	v_ashrrev_i32_e32 v8, s17, v9
	v_and_b32_e32 v188, 0x3030303, v8
	ds_read2_b32 v[8:9], v10 offset0:2 offset1:3
	s_and_b32 s19, s19, 0x3ffffffc
	v_add_u32_e32 v122, s16, v162
	v_add_u32_e32 v202, s16, v161
	v_mov_b32_e32 v208, 0
	s_waitcnt lgkmcnt(0)
	v_ashrrev_i32_e32 v8, s17, v8
	v_and_b32_e32 v191, 0x3030303, v8
	v_ashrrev_i32_e32 v8, s17, v9
	v_and_b32_e32 v192, 0x3030303, v8
	ds_read2_b32 v[8:9], v10 offset0:4 offset1:5
	v_mov_b32_e32 v209, 0
	v_mov_b32_e32 v211, 0
	;; [unrolled: 1-line block ×4, first 2 shown]
	s_waitcnt lgkmcnt(0)
	v_ashrrev_i32_e32 v8, s17, v8
	v_and_b32_e32 v181, 0x3030303, v8
	v_ashrrev_i32_e32 v8, s17, v9
	v_and_b32_e32 v182, 0x3030303, v8
	ds_read2_b32 v[8:9], v10 offset0:6 offset1:7
	v_add_u32_e32 v10, s18, v135
	v_dot4c_i32_i8_e32 v208, v181, v0
	v_dot4c_i32_i8_e32 v123, v194, v4
	;; [unrolled: 1-line block ×3, first 2 shown]
	s_waitcnt lgkmcnt(0)
	v_ashrrev_i32_e32 v8, s17, v8
	v_and_b32_e32 v185, 0x3030303, v8
	v_ashrrev_i32_e32 v8, s17, v9
	v_and_b32_e32 v186, 0x3030303, v8
	v_add_u32_e32 v8, s19, v134
	ds_read_b32 v8, v8
	v_mov_b32_e32 v210, 0
	v_dot4c_i32_i8_e32 v123, v188, v5
	v_dot4c_i32_i8_e32 v208, v185, v2
	;; [unrolled: 1-line block ×3, first 2 shown]
	s_waitcnt lgkmcnt(0)
	v_cvt_f32_f16_e32 v112, v8
	v_cvt_f32_f16_sdwa v114, v8 dst_sel:DWORD dst_unused:UNUSED_PAD src0_sel:WORD_1
	ds_read2_b32 v[8:9], v10 offset1:1
	v_dot4c_i32_i8_e32 v208, v186, v3
	v_dot4c_i32_i8_e32 v123, v192, v7
	v_add_u32_e32 v200, s16, v160
	v_add_u32_e32 v199, s16, v159
	s_waitcnt lgkmcnt(0)
	v_ashrrev_i32_e32 v8, s17, v8
	v_and_b32_e32 v193, 0x3030303, v8
	v_ashrrev_i32_e32 v8, s17, v9
	v_and_b32_e32 v187, 0x3030303, v8
	ds_read2_b32 v[8:9], v10 offset0:2 offset1:3
	v_mov_b32_e32 v218, 0
	v_mov_b32_e32 v219, 0
	;; [unrolled: 1-line block ×4, first 2 shown]
	s_waitcnt lgkmcnt(0)
	v_ashrrev_i32_e32 v8, s17, v8
	v_and_b32_e32 v189, 0x3030303, v8
	v_ashrrev_i32_e32 v8, s17, v9
	v_and_b32_e32 v190, 0x3030303, v8
	ds_read2_b32 v[8:9], v10 offset0:4 offset1:5
	v_dot4c_i32_i8_e32 v201, v193, v4
	v_dot4c_i32_i8_e32 v201, v187, v5
	;; [unrolled: 1-line block ×4, first 2 shown]
	s_waitcnt lgkmcnt(0)
	v_ashrrev_i32_e32 v8, s17, v8
	v_and_b32_e32 v179, 0x3030303, v8
	v_ashrrev_i32_e32 v8, s17, v9
	v_and_b32_e32 v180, 0x3030303, v8
	ds_read2_b32 v[8:9], v10 offset0:6 offset1:7
	v_add_u32_e32 v10, s18, v137
	v_dot4c_i32_i8_e32 v212, v179, v0
	v_dot4c_i32_i8_e32 v212, v180, v1
	v_mov_b32_e32 v215, 0
	s_waitcnt lgkmcnt(0)
	v_ashrrev_i32_e32 v8, s17, v8
	v_and_b32_e32 v183, 0x3030303, v8
	v_ashrrev_i32_e32 v8, s17, v9
	v_and_b32_e32 v184, 0x3030303, v8
	v_add_u32_e32 v8, s19, v136
	ds_read_b32 v8, v8
	v_dot4c_i32_i8_e32 v212, v183, v2
	v_dot4c_i32_i8_e32 v212, v184, v3
	v_mov_b32_e32 v207, 0
	v_mov_b32_e32 v213, 0
	s_waitcnt lgkmcnt(0)
	v_cvt_f32_f16_e32 v116, v8
	v_cvt_f32_f16_sdwa v118, v8 dst_sel:DWORD dst_unused:UNUSED_PAD src0_sel:WORD_1
	ds_read2_b32 v[8:9], v10 offset1:1
	v_mov_b32_e32 v214, 0
	v_mov_b32_e32 v220, 0
	s_add_i32 s14, s14, 2
	s_cmp_lt_u32 s15, 30
	s_waitcnt lgkmcnt(0)
	v_ashrrev_i32_e32 v8, s17, v8
	v_and_b32_e32 v198, 0x3030303, v8
	v_ashrrev_i32_e32 v8, s17, v9
	v_and_b32_e32 v195, 0x3030303, v8
	ds_read2_b32 v[8:9], v10 offset0:2 offset1:3
	v_dot4c_i32_i8_e32 v207, v198, v4
	v_dot4c_i32_i8_e32 v207, v195, v5
	s_waitcnt lgkmcnt(0)
	v_ashrrev_i32_e32 v8, s17, v8
	v_and_b32_e32 v196, 0x3030303, v8
	v_ashrrev_i32_e32 v8, s17, v9
	v_and_b32_e32 v197, 0x3030303, v8
	ds_read2_b32 v[8:9], v10 offset0:4 offset1:5
	v_dot4c_i32_i8_e32 v207, v196, v6
	v_dot4c_i32_i8_e32 v207, v197, v7
	s_waitcnt lgkmcnt(0)
	v_ashrrev_i32_e32 v8, s17, v8
	v_and_b32_e32 v171, 0x3030303, v8
	v_ashrrev_i32_e32 v8, s17, v9
	v_and_b32_e32 v172, 0x3030303, v8
	ds_read2_b32 v[8:9], v10 offset0:6 offset1:7
	v_add_u32_e32 v10, s18, v139
	v_dot4c_i32_i8_e32 v215, v171, v0
	v_dot4c_i32_i8_e32 v215, v172, v1
	s_waitcnt lgkmcnt(0)
	v_ashrrev_i32_e32 v8, s17, v8
	v_and_b32_e32 v173, 0x3030303, v8
	v_ashrrev_i32_e32 v8, s17, v9
	v_and_b32_e32 v174, 0x3030303, v8
	v_add_u32_e32 v8, s19, v138
	ds_read_b32 v8, v8
	v_dot4c_i32_i8_e32 v215, v173, v2
	v_dot4c_i32_i8_e32 v215, v174, v3
	s_waitcnt lgkmcnt(0)
	v_cvt_f32_f16_e32 v108, v8
	v_cvt_f32_f16_sdwa v110, v8 dst_sel:DWORD dst_unused:UNUSED_PAD src0_sel:WORD_1
	ds_read2_b32 v[8:9], v10 offset1:1
	s_waitcnt lgkmcnt(0)
	v_ashrrev_i32_e32 v8, s17, v8
	v_and_b32_e32 v178, 0x3030303, v8
	v_ashrrev_i32_e32 v8, s17, v9
	v_and_b32_e32 v175, 0x3030303, v8
	ds_read2_b32 v[8:9], v10 offset0:2 offset1:3
	v_dot4c_i32_i8_e32 v213, v178, v4
	v_dot4c_i32_i8_e32 v213, v175, v5
	s_waitcnt lgkmcnt(0)
	v_ashrrev_i32_e32 v8, s17, v8
	v_and_b32_e32 v176, 0x3030303, v8
	v_ashrrev_i32_e32 v8, s17, v9
	v_and_b32_e32 v177, 0x3030303, v8
	ds_read2_b32 v[8:9], v10 offset0:4 offset1:5
	v_dot4c_i32_i8_e32 v213, v176, v6
	v_dot4c_i32_i8_e32 v213, v177, v7
	;; [unrolled: 8-line block ×3, first 2 shown]
	s_waitcnt lgkmcnt(0)
	v_ashrrev_i32_e32 v8, s17, v8
	v_and_b32_e32 v169, 0x3030303, v8
	v_ashrrev_i32_e32 v8, s17, v9
	v_and_b32_e32 v170, 0x3030303, v8
	v_add_u32_e32 v8, s19, v140
	ds_read_b32 v8, v8
	v_dot4c_i32_i8_e32 v214, v169, v2
	v_dot4c_i32_i8_e32 v214, v170, v3
	s_waitcnt lgkmcnt(0)
	v_cvt_f32_f16_e32 v104, v8
	v_cvt_f32_f16_sdwa v106, v8 dst_sel:DWORD dst_unused:UNUSED_PAD src0_sel:WORD_1
	ds_read_b128 v[12:15], v113 offset:1024
	ds_read_b128 v[8:11], v113 offset:1040
	ds_read_u16 v122, v122 offset:25074
	ds_read_u16 v202, v202 offset:26098
	s_waitcnt lgkmcnt(3)
	v_dot4c_i32_i8_e32 v209, v194, v12
	v_dot4c_i32_i8_e32 v209, v188, v13
	s_waitcnt lgkmcnt(1)
	v_bfe_u32 v203, v122, 4, 4
	v_mul_lo_u32 v206, v203, s1
	v_dot4c_i32_i8_e32 v211, v206, v4
	v_dot4c_i32_i8_e32 v216, v206, v12
	;; [unrolled: 1-line block ×7, first 2 shown]
	v_lshrrev_b32_sdwa v203, v167, v122 dst_sel:DWORD dst_unused:UNUSED_PAD src0_sel:DWORD src1_sel:BYTE_1
	v_dot4c_i32_i8_e32 v216, v206, v14
	v_dot4c_i32_i8_e32 v209, v192, v15
	;; [unrolled: 1-line block ×4, first 2 shown]
	v_mul_lo_u32 v205, v203, s1
	v_and_b32_sdwa v203, v122, v168 dst_sel:DWORD dst_unused:UNUSED_PAD src0_sel:BYTE_1 src1_sel:DWORD
	v_and_b32_e32 v204, 15, v122
	v_dot4c_i32_i8_e32 v216, v206, v15
	v_dot4c_i32_i8_e32 v210, v185, v10
	;; [unrolled: 1-line block ×3, first 2 shown]
	v_mul_lo_u32 v122, v204, v209
	v_mul_lo_u32 v208, v203, v208
	v_dot4c_i32_i8_e32 v216, v205, v8
                                        ; kill: def $vgpr209 killed $sgpr0 killed $exec
	v_dot4c_i32_i8_e32 v210, v186, v11
	v_dot4c_i32_i8_e32 v211, v205, v1
	;; [unrolled: 1-line block ×3, first 2 shown]
	v_mad_u64_u32 v[208:209], s[16:17], v204, v123, v[208:209]
                                        ; kill: def $vgpr123 killed $sgpr0 killed $exec
	v_dot4c_i32_i8_e32 v211, v205, v2
	v_dot4c_i32_i8_e32 v216, v205, v10
	v_mad_u64_u32 v[122:123], s[16:17], v203, v210, v[122:123]
	v_dot4c_i32_i8_e32 v211, v205, v3
	v_dot4c_i32_i8_e32 v216, v205, v11
	v_cvt_f32_i32_e32 v123, v122
	v_cvt_f32_i32_e32 v122, v208
	;; [unrolled: 1-line block ×4, first 2 shown]
	v_pk_mul_f32 v[122:123], v[112:113], v[122:123] op_sel_hi:[0,1]
	v_pk_fma_f32 v[208:209], v[114:115], v[208:209], v[122:123] op_sel:[0,0,1] op_sel_hi:[0,1,0] neg_lo:[1,0,0] neg_hi:[1,0,0]
	v_mov_b32_e32 v122, v121
	v_mov_b32_e32 v123, v120
	v_pk_fma_f32 v[78:79], v[122:123], v[208:209], v[78:79]
	s_waitcnt lgkmcnt(0)
	v_bfe_u32 v208, v202, 4, 4
	v_mul_lo_u32 v211, v208, s1
	v_mov_b32_e32 v120, 0
	v_dot4c_i32_i8_e32 v218, v211, v4
	v_dot4c_i32_i8_e32 v219, v211, v12
	;; [unrolled: 1-line block ×3, first 2 shown]
	v_mov_b32_e32 v121, 0
	v_dot4c_i32_i8_e32 v218, v211, v5
	v_dot4c_i32_i8_e32 v219, v211, v13
	;; [unrolled: 1-line block ×5, first 2 shown]
	v_lshrrev_b32_sdwa v208, v167, v202 dst_sel:DWORD dst_unused:UNUSED_PAD src0_sel:DWORD src1_sel:BYTE_1
	v_dot4c_i32_i8_e32 v219, v211, v14
	v_dot4c_i32_i8_e32 v120, v189, v14
	;; [unrolled: 1-line block ×4, first 2 shown]
	v_mul_lo_u32 v210, v208, s1
	v_dot4c_i32_i8_e32 v219, v211, v15
	v_dot4c_i32_i8_e32 v120, v190, v15
	;; [unrolled: 1-line block ×4, first 2 shown]
	v_and_b32_sdwa v208, v202, v168 dst_sel:DWORD dst_unused:UNUSED_PAD src0_sel:BYTE_1 src1_sel:DWORD
	v_and_b32_e32 v209, 15, v202
	v_dot4c_i32_i8_e32 v219, v210, v8
	v_dot4c_i32_i8_e32 v121, v184, v11
	;; [unrolled: 1-line block ×3, first 2 shown]
	v_mul_lo_u32 v120, v209, v120
	v_mul_lo_u32 v202, v208, v212
	v_dot4c_i32_i8_e32 v219, v210, v9
	v_dot4c_i32_i8_e32 v218, v210, v2
	;; [unrolled: 1-line block ×3, first 2 shown]
	v_mad_u64_u32 v[216:217], s[16:17], v209, v201, v[202:203]
	v_mad_u64_u32 v[120:121], s[16:17], v208, v121, v[120:121]
	ds_read_u16 v201, v200 offset:27122
	v_dot4c_i32_i8_e32 v218, v210, v3
	v_dot4c_i32_i8_e32 v219, v210, v11
	v_cvt_f32_i32_e32 v121, v120
	v_cvt_f32_i32_e32 v120, v216
	v_cvt_f32_i32_e32 v217, v218
	v_cvt_f32_i32_e32 v216, v219
	s_waitcnt lgkmcnt(0)
	v_bfe_u32 v200, v201, 4, 4
	v_pk_mul_f32 v[120:121], v[116:117], v[120:121] op_sel_hi:[0,1]
	v_mul_lo_u32 v212, v200, s1
	v_pk_fma_f32 v[120:121], v[118:119], v[216:217], v[120:121] op_sel:[0,0,1] op_sel_hi:[0,1,0] neg_lo:[1,0,0] neg_hi:[1,0,0]
	v_mov_b32_e32 v218, 0
	v_mov_b32_e32 v219, 0
	v_pk_fma_f32 v[88:89], v[122:123], v[120:121], v[88:89]
	v_mov_b32_e32 v120, 0
	v_dot4c_i32_i8_e32 v218, v212, v4
	v_dot4c_i32_i8_e32 v219, v212, v12
	;; [unrolled: 1-line block ×3, first 2 shown]
	v_mov_b32_e32 v121, 0
	v_dot4c_i32_i8_e32 v218, v212, v5
	v_dot4c_i32_i8_e32 v219, v212, v13
	;; [unrolled: 1-line block ×5, first 2 shown]
	v_lshrrev_b32_sdwa v200, v167, v201 dst_sel:DWORD dst_unused:UNUSED_PAD src0_sel:DWORD src1_sel:BYTE_1
	v_dot4c_i32_i8_e32 v219, v212, v14
	v_dot4c_i32_i8_e32 v120, v196, v14
	;; [unrolled: 1-line block ×4, first 2 shown]
	v_mul_lo_u32 v202, v200, s1
	v_dot4c_i32_i8_e32 v219, v212, v15
	v_dot4c_i32_i8_e32 v120, v197, v15
	;; [unrolled: 1-line block ×4, first 2 shown]
	v_and_b32_sdwa v200, v201, v168 dst_sel:DWORD dst_unused:UNUSED_PAD src0_sel:BYTE_1 src1_sel:DWORD
	v_and_b32_e32 v201, 15, v201
	v_dot4c_i32_i8_e32 v219, v202, v8
	v_dot4c_i32_i8_e32 v121, v174, v11
	;; [unrolled: 1-line block ×3, first 2 shown]
	v_mul_lo_u32 v120, v201, v120
	v_mul_lo_u32 v216, v200, v215
	v_dot4c_i32_i8_e32 v219, v202, v9
	v_dot4c_i32_i8_e32 v218, v202, v2
	;; [unrolled: 1-line block ×3, first 2 shown]
	v_mad_u64_u32 v[216:217], s[16:17], v201, v207, v[216:217]
	v_mad_u64_u32 v[120:121], s[16:17], v200, v121, v[120:121]
	v_dot4c_i32_i8_e32 v218, v202, v3
	v_dot4c_i32_i8_e32 v219, v202, v11
	v_cvt_f32_i32_e32 v121, v120
	v_cvt_f32_i32_e32 v120, v216
	;; [unrolled: 1-line block ×4, first 2 shown]
	v_mov_b32_e32 v215, 0
	v_pk_mul_f32 v[120:121], v[108:109], v[120:121] op_sel_hi:[0,1]
	v_dot4c_i32_i8_e32 v215, v178, v12
	v_pk_fma_f32 v[120:121], v[110:111], v[216:217], v[120:121] op_sel:[0,0,1] op_sel_hi:[0,1,0] neg_lo:[1,0,0] neg_hi:[1,0,0]
	v_pk_fma_f32 v[80:81], v[122:123], v[120:121], v[80:81]
	ds_read_u16 v121, v199 offset:28146
	v_mov_b32_e32 v217, 0
	v_mov_b32_e32 v216, 0
	v_dot4c_i32_i8_e32 v215, v175, v13
	v_dot4c_i32_i8_e32 v216, v117, v8
	s_waitcnt lgkmcnt(0)
	v_bfe_u32 v120, v121, 4, 4
	v_mul_lo_u32 v207, v120, s1
	v_dot4c_i32_i8_e32 v217, v207, v4
	v_lshrrev_b32_sdwa v4, v167, v121 dst_sel:DWORD dst_unused:UNUSED_PAD src0_sel:DWORD src1_sel:BYTE_1
	v_mul_lo_u32 v199, v4, s1
	v_mov_b32_e32 v4, 0
	v_dot4c_i32_i8_e32 v217, v207, v5
	v_dot4c_i32_i8_e32 v4, v207, v12
	;; [unrolled: 1-line block ×13, first 2 shown]
	v_and_b32_sdwa v120, v121, v168 dst_sel:DWORD dst_unused:UNUSED_PAD src0_sel:BYTE_1 src1_sel:DWORD
	v_and_b32_e32 v121, 15, v121
	v_dot4c_i32_i8_e32 v4, v199, v8
	v_dot4c_i32_i8_e32 v216, v170, v11
	;; [unrolled: 1-line block ×3, first 2 shown]
	v_mul_lo_u32 v0, v121, v215
	v_mul_lo_u32 v2, v120, v214
	v_dot4c_i32_i8_e32 v4, v199, v9
                                        ; kill: def $vgpr1 killed $sgpr0 killed $exec
	v_dot4c_i32_i8_e32 v217, v199, v3
	v_dot4c_i32_i8_e32 v4, v199, v10
	v_mad_u64_u32 v[2:3], s[16:17], v121, v213, v[2:3]
	v_mad_u64_u32 v[0:1], s[16:17], v120, v216, v[0:1]
	v_dot4c_i32_i8_e32 v4, v199, v11
	v_cvt_f32_i32_e32 v1, v0
	v_cvt_f32_i32_e32 v0, v2
	;; [unrolled: 1-line block ×4, first 2 shown]
	v_mov_b32_e32 v14, 0
	v_pk_mul_f32 v[0:1], v[104:105], v[0:1] op_sel_hi:[0,1]
	v_mov_b32_e32 v214, 0
	v_pk_fma_f32 v[0:1], v[106:107], v[2:3], v[0:1] op_sel:[0,0,1] op_sel_hi:[0,1,0] neg_lo:[1,0,0] neg_hi:[1,0,0]
	v_pk_fma_f32 v[64:65], v[122:123], v[0:1], v[64:65]
	ds_read2_b32 v[8:9], v115 offset0:64 offset1:96
	ds_read_b128 v[0:3], v113 offset:2048
	ds_read_b128 v[4:7], v113 offset:2064
	v_mov_b32_e32 v122, 0
	v_mov_b32_e32 v217, 0
	;; [unrolled: 1-line block ×3, first 2 shown]
	s_waitcnt lgkmcnt(1)
	v_dot4c_i32_i8_e32 v14, v206, v0
	v_dot4c_i32_i8_e32 v122, v211, v0
	;; [unrolled: 1-line block ×13, first 2 shown]
	v_mov_b32_e32 v12, 0
	v_mov_b32_e32 v15, 0
	v_dot4c_i32_i8_e32 v122, v211, v3
	v_mov_b32_e32 v123, 0
	v_mov_b32_e32 v213, 0
	v_dot4c_i32_i8_e32 v214, v212, v3
	;; [unrolled: 3-line block ×3, first 2 shown]
	v_mov_b32_e32 v218, 0
	v_dot4c_i32_i8_e32 v11, v194, v0
	s_waitcnt lgkmcnt(0)
	v_dot4c_i32_i8_e32 v12, v181, v4
	v_dot4c_i32_i8_e32 v14, v205, v4
	;; [unrolled: 1-line block ×47, first 2 shown]
	ds_read_b128 v[4:7], v113 offset:3072
	ds_read_b128 v[0:3], v113 offset:3088
	v_mov_b32_e32 v219, 0
	v_mov_b32_e32 v10, 0
	v_mul_lo_u32 v12, v12, v203
	s_waitcnt lgkmcnt(1)
	v_dot4c_i32_i8_e32 v219, v206, v4
	v_dot4c_i32_i8_e32 v219, v206, v5
	;; [unrolled: 1-line block ×6, first 2 shown]
	s_waitcnt lgkmcnt(0)
	v_dot4c_i32_i8_e32 v220, v181, v0
	v_dot4c_i32_i8_e32 v10, v191, v6
	;; [unrolled: 1-line block ×7, first 2 shown]
                                        ; kill: def $vgpr13 killed $sgpr0 killed $exec
	v_dot4c_i32_i8_e32 v219, v205, v2
	v_dot4c_i32_i8_e32 v220, v186, v3
	v_mul_lo_u32 v10, v10, v204
	v_mad_u64_u32 v[12:13], s[16:17], v11, v204, v[12:13]
                                        ; kill: def $vgpr11 killed $sgpr0 killed $exec
	v_dot4c_i32_i8_e32 v219, v205, v3
	v_mad_u64_u32 v[10:11], s[16:17], v220, v203, v[10:11]
	v_cvt_f32_i32_e32 v11, v10
	v_cvt_f32_i32_e32 v10, v12
	;; [unrolled: 1-line block ×4, first 2 shown]
	v_mov_b32_e32 v14, 0
	v_dot4c_i32_i8_e32 v14, v211, v4
	v_dot4c_i32_i8_e32 v14, v211, v5
	v_pk_mul_f32 v[12:13], v[114:115], v[12:13] op_sel_hi:[0,1]
	v_pk_fma_f32 v[10:11], v[112:113], v[10:11], v[12:13] op_sel_hi:[0,1,1] neg_lo:[0,0,1] neg_hi:[0,0,1]
	v_pk_fma_f32 v[38:39], v[8:9], v[10:11], v[38:39]
	v_mov_b32_e32 v10, 0
	v_dot4c_i32_i8_e32 v10, v193, v4
	v_dot4c_i32_i8_e32 v14, v211, v6
	v_mov_b32_e32 v11, 0
	v_dot4c_i32_i8_e32 v10, v187, v5
	v_dot4c_i32_i8_e32 v14, v211, v7
	;; [unrolled: 1-line block ×11, first 2 shown]
	v_mul_lo_u32 v10, v10, v209
	v_mul_lo_u32 v12, v123, v208
                                        ; kill: def $vgpr13 killed $sgpr0 killed $exec
	v_dot4c_i32_i8_e32 v14, v210, v3
	v_mad_u64_u32 v[12:13], s[16:17], v15, v209, v[12:13]
	v_mad_u64_u32 v[10:11], s[16:17], v11, v208, v[10:11]
	v_cvt_f32_i32_e32 v11, v10
	v_cvt_f32_i32_e32 v10, v12
	;; [unrolled: 1-line block ×4, first 2 shown]
	v_mov_b32_e32 v14, 0
	v_dot4c_i32_i8_e32 v14, v212, v4
	v_dot4c_i32_i8_e32 v14, v212, v5
	v_pk_mul_f32 v[12:13], v[118:119], v[12:13] op_sel_hi:[0,1]
	v_pk_fma_f32 v[10:11], v[116:117], v[10:11], v[12:13] op_sel_hi:[0,1,1] neg_lo:[0,0,1] neg_hi:[0,0,1]
	v_pk_fma_f32 v[36:37], v[8:9], v[10:11], v[36:37]
	v_mov_b32_e32 v10, 0
	v_dot4c_i32_i8_e32 v10, v198, v4
	v_dot4c_i32_i8_e32 v14, v212, v6
	v_mov_b32_e32 v11, 0
	v_dot4c_i32_i8_e32 v10, v195, v5
	v_dot4c_i32_i8_e32 v14, v212, v7
	v_dot4c_i32_i8_e32 v11, v171, v0
	v_dot4c_i32_i8_e32 v10, v196, v6
	v_dot4c_i32_i8_e32 v14, v202, v0
	v_dot4c_i32_i8_e32 v11, v172, v1
	v_dot4c_i32_i8_e32 v10, v197, v7
	v_dot4c_i32_i8_e32 v14, v202, v1
	v_dot4c_i32_i8_e32 v11, v173, v2
	v_dot4c_i32_i8_e32 v14, v202, v2
	v_dot4c_i32_i8_e32 v11, v174, v3
	v_mul_lo_u32 v10, v10, v201
	v_mul_lo_u32 v12, v215, v200
                                        ; kill: def $vgpr13 killed $sgpr0 killed $exec
	v_dot4c_i32_i8_e32 v14, v202, v3
	v_mad_u64_u32 v[12:13], s[16:17], v213, v201, v[12:13]
	v_mad_u64_u32 v[10:11], s[16:17], v11, v200, v[10:11]
	v_cvt_f32_i32_e32 v11, v10
	v_cvt_f32_i32_e32 v10, v12
	;; [unrolled: 1-line block ×4, first 2 shown]
	v_mov_b32_e32 v14, 0
	v_mov_b32_e32 v122, 0
	;; [unrolled: 1-line block ×3, first 2 shown]
	v_pk_mul_f32 v[12:13], v[110:111], v[12:13] op_sel_hi:[0,1]
	v_pk_fma_f32 v[10:11], v[108:109], v[10:11], v[12:13] op_sel_hi:[0,1,1] neg_lo:[0,0,1] neg_hi:[0,0,1]
	v_pk_fma_f32 v[34:35], v[8:9], v[10:11], v[34:35]
	v_mov_b32_e32 v11, 0
	v_dot4c_i32_i8_e32 v11, v207, v4
	v_mov_b32_e32 v10, 0
	v_dot4c_i32_i8_e32 v11, v207, v5
	v_dot4c_i32_i8_e32 v10, v178, v4
	;; [unrolled: 1-line block ×3, first 2 shown]
	v_mov_b32_e32 v4, 0
	v_dot4c_i32_i8_e32 v10, v175, v5
	v_dot4c_i32_i8_e32 v11, v207, v7
	;; [unrolled: 1-line block ×11, first 2 shown]
	v_mul_lo_u32 v0, v10, v121
	v_mul_lo_u32 v2, v218, v120
                                        ; kill: def $vgpr1 killed $sgpr0 killed $exec
	v_dot4c_i32_i8_e32 v11, v199, v3
	v_mad_u64_u32 v[2:3], s[16:17], v216, v121, v[2:3]
	v_mad_u64_u32 v[0:1], s[16:17], v4, v120, v[0:1]
	v_cvt_f32_i32_e32 v1, v0
	v_cvt_f32_i32_e32 v0, v2
	;; [unrolled: 1-line block ×4, first 2 shown]
	v_mov_b32_e32 v217, 0
	v_mov_b32_e32 v11, 0
	;; [unrolled: 1-line block ×3, first 2 shown]
	v_pk_mul_f32 v[2:3], v[106:107], v[2:3] op_sel_hi:[0,1]
	v_pk_fma_f32 v[0:1], v[104:105], v[0:1], v[2:3] op_sel_hi:[0,1,1] neg_lo:[0,0,1] neg_hi:[0,0,1]
	v_pk_fma_f32 v[32:33], v[8:9], v[0:1], v[32:33]
	ds_read2_b32 v[8:9], v115 offset0:128 offset1:160
	ds_read_b128 v[0:3], v113 offset:4096
	ds_read_b128 v[4:7], v113 offset:4112
	v_mov_b32_e32 v15, 0
	v_mov_b32_e32 v123, 0
	;; [unrolled: 1-line block ×3, first 2 shown]
	s_waitcnt lgkmcnt(1)
	v_dot4c_i32_i8_e32 v14, v206, v0
	v_dot4c_i32_i8_e32 v122, v211, v0
	;; [unrolled: 1-line block ×15, first 2 shown]
	v_mov_b32_e32 v215, 0
	v_mov_b32_e32 v216, 0
	v_dot4c_i32_i8_e32 v217, v207, v3
	v_mov_b32_e32 v218, 0
	v_dot4c_i32_i8_e32 v11, v194, v0
	s_waitcnt lgkmcnt(0)
	v_dot4c_i32_i8_e32 v12, v181, v4
	v_dot4c_i32_i8_e32 v14, v205, v4
	;; [unrolled: 1-line block ×47, first 2 shown]
	ds_read_b128 v[4:7], v113 offset:5120
	ds_read_b128 v[0:3], v113 offset:5136
	v_mov_b32_e32 v219, 0
	v_mov_b32_e32 v10, 0
	;; [unrolled: 1-line block ×3, first 2 shown]
	s_waitcnt lgkmcnt(1)
	v_dot4c_i32_i8_e32 v219, v206, v4
	v_dot4c_i32_i8_e32 v219, v206, v5
	;; [unrolled: 1-line block ×6, first 2 shown]
	s_waitcnt lgkmcnt(0)
	v_dot4c_i32_i8_e32 v220, v181, v0
	v_dot4c_i32_i8_e32 v10, v191, v6
	;; [unrolled: 1-line block ×7, first 2 shown]
	v_mul_lo_u32 v12, v12, v203
                                        ; kill: def $vgpr13 killed $sgpr0 killed $exec
	v_dot4c_i32_i8_e32 v219, v205, v2
	v_dot4c_i32_i8_e32 v220, v186, v3
	v_mul_lo_u32 v10, v10, v204
	v_mad_u64_u32 v[12:13], s[16:17], v11, v204, v[12:13]
                                        ; kill: def $vgpr11 killed $sgpr0 killed $exec
	v_dot4c_i32_i8_e32 v219, v205, v3
	v_mad_u64_u32 v[10:11], s[16:17], v220, v203, v[10:11]
	v_cvt_f32_i32_e32 v11, v10
	v_cvt_f32_i32_e32 v10, v12
	;; [unrolled: 1-line block ×4, first 2 shown]
	v_mov_b32_e32 v14, 0
	v_dot4c_i32_i8_e32 v14, v211, v4
	v_dot4c_i32_i8_e32 v14, v211, v5
	v_pk_mul_f32 v[12:13], v[114:115], v[12:13] op_sel_hi:[0,1]
	v_pk_fma_f32 v[10:11], v[112:113], v[10:11], v[12:13] op_sel_hi:[0,1,1] neg_lo:[0,0,1] neg_hi:[0,0,1]
	v_pk_fma_f32 v[30:31], v[8:9], v[10:11], v[30:31]
	v_mov_b32_e32 v10, 0
	v_dot4c_i32_i8_e32 v10, v193, v4
	v_dot4c_i32_i8_e32 v14, v211, v6
	v_mov_b32_e32 v11, 0
	v_dot4c_i32_i8_e32 v10, v187, v5
	v_dot4c_i32_i8_e32 v14, v211, v7
	;; [unrolled: 1-line block ×11, first 2 shown]
	v_mul_lo_u32 v10, v10, v209
	v_mul_lo_u32 v12, v123, v208
                                        ; kill: def $vgpr13 killed $sgpr0 killed $exec
	v_dot4c_i32_i8_e32 v14, v210, v3
	v_mad_u64_u32 v[12:13], s[16:17], v15, v209, v[12:13]
	v_mad_u64_u32 v[10:11], s[16:17], v11, v208, v[10:11]
	v_cvt_f32_i32_e32 v11, v10
	v_cvt_f32_i32_e32 v10, v12
	;; [unrolled: 1-line block ×4, first 2 shown]
	v_mov_b32_e32 v14, 0
	v_dot4c_i32_i8_e32 v14, v212, v4
	v_dot4c_i32_i8_e32 v14, v212, v5
	v_pk_mul_f32 v[12:13], v[118:119], v[12:13] op_sel_hi:[0,1]
	v_pk_fma_f32 v[10:11], v[116:117], v[10:11], v[12:13] op_sel_hi:[0,1,1] neg_lo:[0,0,1] neg_hi:[0,0,1]
	v_pk_fma_f32 v[28:29], v[8:9], v[10:11], v[28:29]
	v_mov_b32_e32 v10, 0
	v_dot4c_i32_i8_e32 v10, v198, v4
	v_dot4c_i32_i8_e32 v14, v212, v6
	v_mov_b32_e32 v11, 0
	v_dot4c_i32_i8_e32 v10, v195, v5
	v_dot4c_i32_i8_e32 v14, v212, v7
	;; [unrolled: 1-line block ×11, first 2 shown]
	v_mul_lo_u32 v10, v10, v201
	v_mul_lo_u32 v12, v215, v200
                                        ; kill: def $vgpr13 killed $sgpr0 killed $exec
	v_dot4c_i32_i8_e32 v14, v202, v3
	v_mad_u64_u32 v[12:13], s[16:17], v213, v201, v[12:13]
	v_mad_u64_u32 v[10:11], s[16:17], v11, v200, v[10:11]
	v_cvt_f32_i32_e32 v11, v10
	v_cvt_f32_i32_e32 v10, v12
	;; [unrolled: 1-line block ×4, first 2 shown]
	v_mov_b32_e32 v213, 0
	v_mov_b32_e32 v215, 0
	;; [unrolled: 1-line block ×3, first 2 shown]
	v_pk_mul_f32 v[12:13], v[110:111], v[12:13] op_sel_hi:[0,1]
	v_pk_fma_f32 v[10:11], v[108:109], v[10:11], v[12:13] op_sel_hi:[0,1,1] neg_lo:[0,0,1] neg_hi:[0,0,1]
	v_pk_fma_f32 v[26:27], v[8:9], v[10:11], v[26:27]
	v_mov_b32_e32 v11, 0
	v_dot4c_i32_i8_e32 v11, v207, v4
	v_mov_b32_e32 v10, 0
	v_dot4c_i32_i8_e32 v11, v207, v5
	v_dot4c_i32_i8_e32 v10, v178, v4
	;; [unrolled: 1-line block ×3, first 2 shown]
	v_mov_b32_e32 v4, 0
	v_dot4c_i32_i8_e32 v10, v175, v5
	v_dot4c_i32_i8_e32 v11, v207, v7
	;; [unrolled: 1-line block ×11, first 2 shown]
	v_mul_lo_u32 v0, v10, v121
	v_mul_lo_u32 v2, v218, v120
                                        ; kill: def $vgpr1 killed $sgpr0 killed $exec
	v_dot4c_i32_i8_e32 v11, v199, v3
	v_mad_u64_u32 v[2:3], s[16:17], v216, v121, v[2:3]
	v_mad_u64_u32 v[0:1], s[16:17], v4, v120, v[0:1]
	v_cvt_f32_i32_e32 v1, v0
	v_cvt_f32_i32_e32 v0, v2
	;; [unrolled: 1-line block ×4, first 2 shown]
	v_mov_b32_e32 v13, 0
	v_mov_b32_e32 v10, 0
	;; [unrolled: 1-line block ×3, first 2 shown]
	v_pk_mul_f32 v[2:3], v[106:107], v[2:3] op_sel_hi:[0,1]
	v_pk_fma_f32 v[0:1], v[104:105], v[0:1], v[2:3] op_sel_hi:[0,1,1] neg_lo:[0,0,1] neg_hi:[0,0,1]
	v_pk_fma_f32 v[24:25], v[8:9], v[0:1], v[24:25]
	ds_read2_b32 v[8:9], v115 offset0:192 offset1:224
	ds_read_b128 v[0:3], v113 offset:6144
	ds_read_b128 v[4:7], v113 offset:6160
	v_mov_b32_e32 v214, 0
	v_mov_b32_e32 v216, 0
	;; [unrolled: 1-line block ×3, first 2 shown]
	s_waitcnt lgkmcnt(1)
	v_dot4c_i32_i8_e32 v213, v206, v0
	v_dot4c_i32_i8_e32 v215, v211, v0
	;; [unrolled: 1-line block ×15, first 2 shown]
	v_mov_b32_e32 v217, 0
	v_mov_b32_e32 v11, 0
	v_dot4c_i32_i8_e32 v10, v207, v3
	v_mov_b32_e32 v12, 0
	v_dot4c_i32_i8_e32 v15, v194, v0
	s_waitcnt lgkmcnt(0)
	v_dot4c_i32_i8_e32 v123, v181, v4
	v_dot4c_i32_i8_e32 v213, v205, v4
	;; [unrolled: 1-line block ×47, first 2 shown]
	ds_read_b128 v[4:7], v113 offset:7168
	ds_read_b128 v[0:3], v113 offset:7184
	v_mov_b32_e32 v122, 0
	s_waitcnt lgkmcnt(1)
	v_dot4c_i32_i8_e32 v122, v194, v4
	v_mov_b32_e32 v194, 0
	v_dot4c_i32_i8_e32 v194, v206, v4
	v_dot4c_i32_i8_e32 v194, v206, v5
	v_dot4c_i32_i8_e32 v194, v206, v6
	v_dot4c_i32_i8_e32 v122, v188, v5
	v_dot4c_i32_i8_e32 v194, v206, v7
	v_mov_b32_e32 v188, 0
	s_waitcnt lgkmcnt(0)
	v_dot4c_i32_i8_e32 v188, v181, v0
	v_dot4c_i32_i8_e32 v194, v205, v0
	;; [unrolled: 1-line block ×8, first 2 shown]
	v_mul_lo_u32 v182, v123, v203
	v_dot4c_i32_i8_e32 v188, v186, v3
	v_dot4c_i32_i8_e32 v194, v205, v3
	v_mul_lo_u32 v122, v122, v204
                                        ; kill: def $vgpr123 killed $sgpr0 killed $exec
	v_mad_u64_u32 v[204:205], s[16:17], v15, v204, v[182:183]
	v_mov_b32_e32 v182, 0
	v_mad_u64_u32 v[122:123], s[16:17], v188, v203, v[122:123]
	v_dot4c_i32_i8_e32 v182, v211, v4
	v_cvt_f32_i32_e32 v123, v122
	v_cvt_f32_i32_e32 v122, v204
	;; [unrolled: 1-line block ×4, first 2 shown]
	v_mov_b32_e32 v15, 0
	v_dot4c_i32_i8_e32 v182, v211, v5
	v_dot4c_i32_i8_e32 v15, v193, v4
	;; [unrolled: 1-line block ×3, first 2 shown]
	v_mov_b32_e32 v181, 0
	v_dot4c_i32_i8_e32 v15, v187, v5
	v_dot4c_i32_i8_e32 v182, v211, v7
	;; [unrolled: 1-line block ×6, first 2 shown]
	v_pk_mul_f32 v[204:205], v[114:115], v[204:205] op_sel_hi:[0,1]
	v_dot4c_i32_i8_e32 v15, v190, v7
	v_dot4c_i32_i8_e32 v182, v210, v1
	;; [unrolled: 1-line block ×3, first 2 shown]
	v_pk_fma_f32 v[122:123], v[112:113], v[122:123], v[204:205] op_sel_hi:[0,1,1] neg_lo:[0,0,1] neg_hi:[0,0,1]
	v_dot4c_i32_i8_e32 v182, v210, v2
	v_dot4c_i32_i8_e32 v181, v184, v3
	v_mul_lo_u32 v112, v15, v209
	v_mul_lo_u32 v114, v216, v208
	v_pk_fma_f32 v[22:23], v[8:9], v[122:123], v[22:23]
	v_dot4c_i32_i8_e32 v182, v210, v3
	v_mad_u64_u32 v[122:123], s[16:17], v214, v209, v[114:115]
	v_mad_u64_u32 v[180:181], s[16:17], v181, v208, v[112:113]
	v_cvt_f32_i32_e32 v123, v180
	v_cvt_f32_i32_e32 v181, v182
	v_cvt_f32_i32_e32 v180, v215
	v_cvt_f32_i32_e32 v122, v122
	v_mov_b32_e32 v15, 0
	v_dot4c_i32_i8_e32 v15, v198, v4
	v_pk_mul_f32 v[180:181], v[118:119], v[180:181] op_sel_hi:[0,1]
	v_pk_fma_f32 v[122:123], v[116:117], v[122:123], v[180:181] op_sel_hi:[0,1,1] neg_lo:[0,0,1] neg_hi:[0,0,1]
	v_mov_b32_e32 v116, 0
	v_dot4c_i32_i8_e32 v116, v212, v4
	v_dot4c_i32_i8_e32 v116, v212, v5
	;; [unrolled: 1-line block ×3, first 2 shown]
	v_mov_b32_e32 v118, 0
	v_dot4c_i32_i8_e32 v15, v195, v5
	v_dot4c_i32_i8_e32 v116, v212, v7
	;; [unrolled: 1-line block ×11, first 2 shown]
	v_mul_lo_u32 v112, v15, v201
	v_mul_lo_u32 v114, v217, v200
	v_pk_fma_f32 v[20:21], v[8:9], v[122:123], v[20:21]
	v_dot4c_i32_i8_e32 v116, v202, v3
	v_mad_u64_u32 v[14:15], s[16:17], v14, v201, v[114:115]
	v_mad_u64_u32 v[122:123], s[16:17], v118, v200, v[112:113]
	v_cvt_f32_i32_e32 v15, v122
	v_cvt_f32_i32_e32 v123, v116
	;; [unrolled: 1-line block ×4, first 2 shown]
	v_mov_b32_e32 v13, 0
	v_dot4c_i32_i8_e32 v13, v178, v4
	v_pk_mul_f32 v[122:123], v[110:111], v[122:123] op_sel_hi:[0,1]
	v_pk_fma_f32 v[14:15], v[108:109], v[14:15], v[122:123] op_sel_hi:[0,1,1] neg_lo:[0,0,1] neg_hi:[0,0,1]
	v_pk_fma_f32 v[18:19], v[8:9], v[14:15], v[18:19]
	v_mov_b32_e32 v14, 0
	v_dot4c_i32_i8_e32 v14, v207, v4
	v_dot4c_i32_i8_e32 v14, v207, v5
	;; [unrolled: 1-line block ×3, first 2 shown]
	v_mov_b32_e32 v4, 0
	v_dot4c_i32_i8_e32 v13, v175, v5
	v_dot4c_i32_i8_e32 v14, v207, v7
	;; [unrolled: 1-line block ×11, first 2 shown]
	v_mul_lo_u32 v0, v13, v121
	v_mul_lo_u32 v2, v12, v120
                                        ; kill: def $vgpr1 killed $sgpr0 killed $exec
	v_dot4c_i32_i8_e32 v14, v199, v3
	v_mad_u64_u32 v[2:3], s[16:17], v11, v121, v[2:3]
	v_mad_u64_u32 v[0:1], s[16:17], v4, v120, v[0:1]
	v_cvt_f32_i32_e32 v1, v0
	v_cvt_f32_i32_e32 v0, v2
	;; [unrolled: 1-line block ×4, first 2 shown]
	v_add_u32_e32 v115, 4, v115
	v_add_u32_e32 v113, 32, v113
	s_mov_b32 s16, s15
	v_pk_mul_f32 v[2:3], v[106:107], v[2:3] op_sel_hi:[0,1]
	v_pk_fma_f32 v[0:1], v[104:105], v[0:1], v[2:3] op_sel_hi:[0,1,1] neg_lo:[0,0,1] neg_hi:[0,0,1]
	v_pk_fma_f32 v[16:17], v[8:9], v[0:1], v[16:17]
	s_cbranch_scc1 .LBB127_14
; %bb.15:                               ;   in Loop: Header=BB127_6 Depth=1
	s_barrier
	s_branch .LBB127_5
.LBB127_16:
	v_mov_b32_e32 v1, v43
.LBB127_17:
	v_cmp_gt_u32_e32 vcc, s8, v45
	s_and_saveexec_b64 s[0:1], vcc
	s_cbranch_execz .LBB127_68
; %bb.18:
	v_add_u32_e32 v0, s6, v41
	v_mul_lo_u32 v5, v45, s10
	v_cmp_gt_u32_e32 vcc, s10, v0
	s_and_saveexec_b64 s[2:3], vcc
	s_cbranch_execz .LBB127_20
; %bb.19:
	v_add_u32_e32 v2, v0, v5
	v_mov_b32_e32 v3, 0
	v_lshlrev_b64 v[2:3], 2, v[2:3]
	s_waitcnt lgkmcnt(0)
	v_mov_b32_e32 v4, s13
	v_add_co_u32_e64 v2, s[0:1], s12, v2
	v_addc_co_u32_e64 v3, s[0:1], v4, v3, s[0:1]
	global_store_dword v[2:3], v79, off
.LBB127_20:
	s_or_b64 exec, exec, s[2:3]
	v_add_u32_e32 v2, 32, v0
	v_cmp_gt_u32_e64 s[0:1], s10, v2
	s_and_saveexec_b64 s[4:5], s[0:1]
	s_cbranch_execz .LBB127_22
; %bb.21:
	v_add_u32_e32 v6, v2, v5
	v_mov_b32_e32 v7, 0
	v_lshlrev_b64 v[6:7], 2, v[6:7]
	s_waitcnt lgkmcnt(0)
	v_mov_b32_e32 v3, s13
	v_add_co_u32_e64 v6, s[2:3], s12, v6
	v_addc_co_u32_e64 v7, s[2:3], v3, v7, s[2:3]
	global_store_dword v[6:7], v89, off
.LBB127_22:
	s_or_b64 exec, exec, s[4:5]
	v_add_u32_e32 v3, 64, v0
	v_cmp_gt_u32_e64 s[2:3], s10, v3
	s_and_saveexec_b64 s[6:7], s[2:3]
	s_cbranch_execz .LBB127_24
; %bb.23:
	v_add_u32_e32 v6, v3, v5
	v_mov_b32_e32 v7, 0
	v_lshlrev_b64 v[6:7], 2, v[6:7]
	s_waitcnt lgkmcnt(0)
	v_mov_b32_e32 v4, s13
	v_add_co_u32_e64 v6, s[4:5], s12, v6
	v_addc_co_u32_e64 v7, s[4:5], v4, v7, s[4:5]
	global_store_dword v[6:7], v81, off
.LBB127_24:
	s_or_b64 exec, exec, s[6:7]
	v_add_u32_e32 v4, 0x60, v0
	v_cmp_gt_u32_e64 s[4:5], s10, v4
	s_and_saveexec_b64 s[14:15], s[4:5]
	s_cbranch_execz .LBB127_26
; %bb.25:
	v_add_u32_e32 v6, v4, v5
	v_mov_b32_e32 v7, 0
	v_lshlrev_b64 v[6:7], 2, v[6:7]
	s_waitcnt lgkmcnt(0)
	v_mov_b32_e32 v5, s13
	v_add_co_u32_e64 v6, s[6:7], s12, v6
	v_addc_co_u32_e64 v7, s[6:7], v5, v7, s[6:7]
	global_store_dword v[6:7], v65, off
.LBB127_26:
	s_or_b64 exec, exec, s[14:15]
	v_add3_u32 v5, v1, s11, 8
	v_cmp_gt_u32_e64 s[6:7], s8, v5
	s_and_b64 exec, exec, s[6:7]
	s_cbranch_execz .LBB127_68
; %bb.27:
	v_mul_lo_u32 v5, v5, s10
	s_and_saveexec_b64 s[14:15], vcc
	s_cbranch_execnz .LBB127_69
; %bb.28:
	s_or_b64 exec, exec, s[14:15]
	s_and_saveexec_b64 s[14:15], s[0:1]
	s_cbranch_execnz .LBB127_70
.LBB127_29:
	s_or_b64 exec, exec, s[14:15]
	s_and_saveexec_b64 s[14:15], s[2:3]
	s_cbranch_execnz .LBB127_71
.LBB127_30:
	s_or_b64 exec, exec, s[14:15]
	s_and_saveexec_b64 s[14:15], s[4:5]
	s_cbranch_execz .LBB127_32
.LBB127_31:
	v_add_u32_e32 v6, v5, v4
	v_mov_b32_e32 v7, 0
	v_lshlrev_b64 v[6:7], 2, v[6:7]
	s_waitcnt lgkmcnt(0)
	v_mov_b32_e32 v5, s13
	v_add_co_u32_e64 v6, s[6:7], s12, v6
	v_addc_co_u32_e64 v7, s[6:7], v5, v7, s[6:7]
	global_store_dword v[6:7], v64, off
.LBB127_32:
	s_or_b64 exec, exec, s[14:15]
	v_add3_u32 v5, v1, s11, 16
	v_cmp_gt_u32_e64 s[6:7], s8, v5
	s_and_b64 exec, exec, s[6:7]
	s_cbranch_execz .LBB127_68
; %bb.33:
	v_mul_lo_u32 v5, v5, s10
	s_and_saveexec_b64 s[14:15], vcc
	s_cbranch_execnz .LBB127_72
; %bb.34:
	s_or_b64 exec, exec, s[14:15]
	s_and_saveexec_b64 s[14:15], s[0:1]
	s_cbranch_execnz .LBB127_73
.LBB127_35:
	s_or_b64 exec, exec, s[14:15]
	s_and_saveexec_b64 s[14:15], s[2:3]
	s_cbranch_execnz .LBB127_74
.LBB127_36:
	s_or_b64 exec, exec, s[14:15]
	s_and_saveexec_b64 s[14:15], s[4:5]
	s_cbranch_execz .LBB127_38
.LBB127_37:
	v_add_u32_e32 v6, v5, v4
	v_mov_b32_e32 v7, 0
	v_lshlrev_b64 v[6:7], 2, v[6:7]
	s_waitcnt lgkmcnt(0)
	v_mov_b32_e32 v5, s13
	v_add_co_u32_e64 v6, s[6:7], s12, v6
	v_addc_co_u32_e64 v7, s[6:7], v5, v7, s[6:7]
	global_store_dword v[6:7], v32, off
.LBB127_38:
	s_or_b64 exec, exec, s[14:15]
	v_add3_u32 v5, v1, s11, 24
	v_cmp_gt_u32_e64 s[6:7], s8, v5
	s_and_b64 exec, exec, s[6:7]
	s_cbranch_execz .LBB127_68
; %bb.39:
	v_mul_lo_u32 v5, v5, s10
	s_and_saveexec_b64 s[14:15], vcc
	s_cbranch_execnz .LBB127_75
; %bb.40:
	s_or_b64 exec, exec, s[14:15]
	s_and_saveexec_b64 s[14:15], s[0:1]
	s_cbranch_execnz .LBB127_76
.LBB127_41:
	s_or_b64 exec, exec, s[14:15]
	s_and_saveexec_b64 s[14:15], s[2:3]
	s_cbranch_execnz .LBB127_77
.LBB127_42:
	s_or_b64 exec, exec, s[14:15]
	s_and_saveexec_b64 s[14:15], s[4:5]
	s_cbranch_execz .LBB127_44
.LBB127_43:
	v_add_u32_e32 v6, v5, v4
	v_mov_b32_e32 v7, 0
	v_lshlrev_b64 v[6:7], 2, v[6:7]
	s_waitcnt lgkmcnt(0)
	v_mov_b32_e32 v5, s13
	v_add_co_u32_e64 v6, s[6:7], s12, v6
	v_addc_co_u32_e64 v7, s[6:7], v5, v7, s[6:7]
	global_store_dword v[6:7], v33, off
.LBB127_44:
	s_or_b64 exec, exec, s[14:15]
	v_add3_u32 v5, v1, s11, 32
	v_cmp_gt_u32_e64 s[6:7], s8, v5
	s_and_b64 exec, exec, s[6:7]
	s_cbranch_execz .LBB127_68
; %bb.45:
	v_mul_lo_u32 v5, v5, s10
	s_and_saveexec_b64 s[14:15], vcc
	s_cbranch_execnz .LBB127_78
; %bb.46:
	s_or_b64 exec, exec, s[14:15]
	s_and_saveexec_b64 s[14:15], s[0:1]
	s_cbranch_execnz .LBB127_79
.LBB127_47:
	s_or_b64 exec, exec, s[14:15]
	s_and_saveexec_b64 s[14:15], s[2:3]
	s_cbranch_execnz .LBB127_80
.LBB127_48:
	s_or_b64 exec, exec, s[14:15]
	s_and_saveexec_b64 s[14:15], s[4:5]
	s_cbranch_execz .LBB127_50
.LBB127_49:
	v_add_u32_e32 v6, v5, v4
	v_mov_b32_e32 v7, 0
	v_lshlrev_b64 v[6:7], 2, v[6:7]
	s_waitcnt lgkmcnt(0)
	v_mov_b32_e32 v5, s13
	v_add_co_u32_e64 v6, s[6:7], s12, v6
	v_addc_co_u32_e64 v7, s[6:7], v5, v7, s[6:7]
	global_store_dword v[6:7], v24, off
.LBB127_50:
	s_or_b64 exec, exec, s[14:15]
	v_add3_u32 v5, v1, s11, 40
	v_cmp_gt_u32_e64 s[6:7], s8, v5
	s_and_b64 exec, exec, s[6:7]
	s_cbranch_execz .LBB127_68
; %bb.51:
	v_mul_lo_u32 v5, v5, s10
	s_and_saveexec_b64 s[14:15], vcc
	s_cbranch_execnz .LBB127_81
; %bb.52:
	s_or_b64 exec, exec, s[14:15]
	s_and_saveexec_b64 s[14:15], s[0:1]
	s_cbranch_execnz .LBB127_82
.LBB127_53:
	s_or_b64 exec, exec, s[14:15]
	s_and_saveexec_b64 s[14:15], s[2:3]
	s_cbranch_execnz .LBB127_83
.LBB127_54:
	s_or_b64 exec, exec, s[14:15]
	s_and_saveexec_b64 s[14:15], s[4:5]
	s_cbranch_execz .LBB127_56
.LBB127_55:
	v_add_u32_e32 v6, v5, v4
	v_mov_b32_e32 v7, 0
	v_lshlrev_b64 v[6:7], 2, v[6:7]
	s_waitcnt lgkmcnt(0)
	v_mov_b32_e32 v5, s13
	v_add_co_u32_e64 v6, s[6:7], s12, v6
	v_addc_co_u32_e64 v7, s[6:7], v5, v7, s[6:7]
	global_store_dword v[6:7], v25, off
.LBB127_56:
	s_or_b64 exec, exec, s[14:15]
	v_add3_u32 v5, v1, s11, 48
	v_cmp_gt_u32_e64 s[6:7], s8, v5
	s_and_b64 exec, exec, s[6:7]
	s_cbranch_execz .LBB127_68
; %bb.57:
	v_mul_lo_u32 v5, v5, s10
	s_and_saveexec_b64 s[14:15], vcc
	s_cbranch_execnz .LBB127_84
; %bb.58:
	s_or_b64 exec, exec, s[14:15]
	s_and_saveexec_b64 s[14:15], s[0:1]
	s_cbranch_execnz .LBB127_85
.LBB127_59:
	s_or_b64 exec, exec, s[14:15]
	s_and_saveexec_b64 s[14:15], s[2:3]
	s_cbranch_execnz .LBB127_86
.LBB127_60:
	s_or_b64 exec, exec, s[14:15]
	s_and_saveexec_b64 s[14:15], s[4:5]
	s_cbranch_execz .LBB127_62
.LBB127_61:
	v_add_u32_e32 v6, v5, v4
	v_mov_b32_e32 v7, 0
	v_lshlrev_b64 v[6:7], 2, v[6:7]
	s_waitcnt lgkmcnt(0)
	v_mov_b32_e32 v5, s13
	v_add_co_u32_e64 v6, s[6:7], s12, v6
	v_addc_co_u32_e64 v7, s[6:7], v5, v7, s[6:7]
	global_store_dword v[6:7], v16, off
.LBB127_62:
	s_or_b64 exec, exec, s[14:15]
	v_add3_u32 v1, v1, s11, 56
	v_cmp_gt_u32_e64 s[6:7], s8, v1
	s_and_b64 exec, exec, s[6:7]
	s_cbranch_execz .LBB127_68
; %bb.63:
	v_mul_lo_u32 v1, v1, s10
	s_and_saveexec_b64 s[6:7], vcc
	s_cbranch_execnz .LBB127_87
; %bb.64:
	s_or_b64 exec, exec, s[6:7]
	s_and_saveexec_b64 s[6:7], s[0:1]
	s_cbranch_execnz .LBB127_88
.LBB127_65:
	s_or_b64 exec, exec, s[6:7]
	s_and_saveexec_b64 s[0:1], s[2:3]
	s_cbranch_execnz .LBB127_89
.LBB127_66:
	s_or_b64 exec, exec, s[0:1]
	s_and_b64 exec, exec, s[4:5]
	s_cbranch_execz .LBB127_68
.LBB127_67:
	v_add_u32_e32 v0, v1, v4
	v_mov_b32_e32 v1, 0
	v_lshlrev_b64 v[0:1], 2, v[0:1]
	s_waitcnt lgkmcnt(0)
	v_mov_b32_e32 v2, s13
	v_add_co_u32_e32 v0, vcc, s12, v0
	v_addc_co_u32_e32 v1, vcc, v2, v1, vcc
	global_store_dword v[0:1], v17, off
.LBB127_68:
	s_endpgm
.LBB127_69:
	v_add_u32_e32 v6, v5, v0
	v_mov_b32_e32 v7, 0
	v_lshlrev_b64 v[6:7], 2, v[6:7]
	s_waitcnt lgkmcnt(0)
	v_mov_b32_e32 v8, s13
	v_add_co_u32_e64 v6, s[6:7], s12, v6
	v_addc_co_u32_e64 v7, s[6:7], v8, v7, s[6:7]
	global_store_dword v[6:7], v78, off
	s_or_b64 exec, exec, s[14:15]
	s_and_saveexec_b64 s[14:15], s[0:1]
	s_cbranch_execz .LBB127_29
.LBB127_70:
	v_add_u32_e32 v6, v5, v2
	v_mov_b32_e32 v7, 0
	v_lshlrev_b64 v[6:7], 2, v[6:7]
	s_waitcnt lgkmcnt(0)
	v_mov_b32_e32 v8, s13
	v_add_co_u32_e64 v6, s[6:7], s12, v6
	v_addc_co_u32_e64 v7, s[6:7], v8, v7, s[6:7]
	global_store_dword v[6:7], v88, off
	s_or_b64 exec, exec, s[14:15]
	s_and_saveexec_b64 s[14:15], s[2:3]
	s_cbranch_execz .LBB127_30
.LBB127_71:
	v_add_u32_e32 v6, v5, v3
	v_mov_b32_e32 v7, 0
	v_lshlrev_b64 v[6:7], 2, v[6:7]
	s_waitcnt lgkmcnt(0)
	v_mov_b32_e32 v8, s13
	v_add_co_u32_e64 v6, s[6:7], s12, v6
	v_addc_co_u32_e64 v7, s[6:7], v8, v7, s[6:7]
	global_store_dword v[6:7], v80, off
	s_or_b64 exec, exec, s[14:15]
	s_and_saveexec_b64 s[14:15], s[4:5]
	s_cbranch_execnz .LBB127_31
	s_branch .LBB127_32
.LBB127_72:
	v_add_u32_e32 v6, v5, v0
	v_mov_b32_e32 v7, 0
	v_lshlrev_b64 v[6:7], 2, v[6:7]
	s_waitcnt lgkmcnt(0)
	v_mov_b32_e32 v8, s13
	v_add_co_u32_e64 v6, s[6:7], s12, v6
	v_addc_co_u32_e64 v7, s[6:7], v8, v7, s[6:7]
	global_store_dword v[6:7], v38, off
	s_or_b64 exec, exec, s[14:15]
	s_and_saveexec_b64 s[14:15], s[0:1]
	s_cbranch_execz .LBB127_35
.LBB127_73:
	v_add_u32_e32 v6, v5, v2
	v_mov_b32_e32 v7, 0
	v_lshlrev_b64 v[6:7], 2, v[6:7]
	s_waitcnt lgkmcnt(0)
	v_mov_b32_e32 v8, s13
	v_add_co_u32_e64 v6, s[6:7], s12, v6
	v_addc_co_u32_e64 v7, s[6:7], v8, v7, s[6:7]
	global_store_dword v[6:7], v36, off
	s_or_b64 exec, exec, s[14:15]
	s_and_saveexec_b64 s[14:15], s[2:3]
	s_cbranch_execz .LBB127_36
.LBB127_74:
	v_add_u32_e32 v6, v5, v3
	v_mov_b32_e32 v7, 0
	v_lshlrev_b64 v[6:7], 2, v[6:7]
	s_waitcnt lgkmcnt(0)
	v_mov_b32_e32 v8, s13
	v_add_co_u32_e64 v6, s[6:7], s12, v6
	v_addc_co_u32_e64 v7, s[6:7], v8, v7, s[6:7]
	global_store_dword v[6:7], v34, off
	s_or_b64 exec, exec, s[14:15]
	s_and_saveexec_b64 s[14:15], s[4:5]
	s_cbranch_execnz .LBB127_37
	s_branch .LBB127_38
.LBB127_75:
	v_add_u32_e32 v6, v5, v0
	v_mov_b32_e32 v7, 0
	v_lshlrev_b64 v[6:7], 2, v[6:7]
	s_waitcnt lgkmcnt(0)
	v_mov_b32_e32 v8, s13
	v_add_co_u32_e64 v6, s[6:7], s12, v6
	v_addc_co_u32_e64 v7, s[6:7], v8, v7, s[6:7]
	global_store_dword v[6:7], v39, off
	s_or_b64 exec, exec, s[14:15]
	s_and_saveexec_b64 s[14:15], s[0:1]
	s_cbranch_execz .LBB127_41
.LBB127_76:
	v_add_u32_e32 v6, v5, v2
	v_mov_b32_e32 v7, 0
	v_lshlrev_b64 v[6:7], 2, v[6:7]
	s_waitcnt lgkmcnt(0)
	v_mov_b32_e32 v8, s13
	v_add_co_u32_e64 v6, s[6:7], s12, v6
	v_addc_co_u32_e64 v7, s[6:7], v8, v7, s[6:7]
	global_store_dword v[6:7], v37, off
	s_or_b64 exec, exec, s[14:15]
	s_and_saveexec_b64 s[14:15], s[2:3]
	s_cbranch_execz .LBB127_42
.LBB127_77:
	v_add_u32_e32 v6, v5, v3
	v_mov_b32_e32 v7, 0
	v_lshlrev_b64 v[6:7], 2, v[6:7]
	s_waitcnt lgkmcnt(0)
	v_mov_b32_e32 v8, s13
	v_add_co_u32_e64 v6, s[6:7], s12, v6
	v_addc_co_u32_e64 v7, s[6:7], v8, v7, s[6:7]
	global_store_dword v[6:7], v35, off
	s_or_b64 exec, exec, s[14:15]
	s_and_saveexec_b64 s[14:15], s[4:5]
	s_cbranch_execnz .LBB127_43
	s_branch .LBB127_44
.LBB127_78:
	v_add_u32_e32 v6, v5, v0
	v_mov_b32_e32 v7, 0
	v_lshlrev_b64 v[6:7], 2, v[6:7]
	s_waitcnt lgkmcnt(0)
	v_mov_b32_e32 v8, s13
	v_add_co_u32_e64 v6, s[6:7], s12, v6
	v_addc_co_u32_e64 v7, s[6:7], v8, v7, s[6:7]
	global_store_dword v[6:7], v30, off
	s_or_b64 exec, exec, s[14:15]
	s_and_saveexec_b64 s[14:15], s[0:1]
	s_cbranch_execz .LBB127_47
.LBB127_79:
	v_add_u32_e32 v6, v5, v2
	v_mov_b32_e32 v7, 0
	v_lshlrev_b64 v[6:7], 2, v[6:7]
	s_waitcnt lgkmcnt(0)
	v_mov_b32_e32 v8, s13
	v_add_co_u32_e64 v6, s[6:7], s12, v6
	v_addc_co_u32_e64 v7, s[6:7], v8, v7, s[6:7]
	global_store_dword v[6:7], v28, off
	s_or_b64 exec, exec, s[14:15]
	s_and_saveexec_b64 s[14:15], s[2:3]
	s_cbranch_execz .LBB127_48
.LBB127_80:
	v_add_u32_e32 v6, v5, v3
	v_mov_b32_e32 v7, 0
	v_lshlrev_b64 v[6:7], 2, v[6:7]
	s_waitcnt lgkmcnt(0)
	v_mov_b32_e32 v8, s13
	v_add_co_u32_e64 v6, s[6:7], s12, v6
	v_addc_co_u32_e64 v7, s[6:7], v8, v7, s[6:7]
	global_store_dword v[6:7], v26, off
	s_or_b64 exec, exec, s[14:15]
	s_and_saveexec_b64 s[14:15], s[4:5]
	s_cbranch_execnz .LBB127_49
	s_branch .LBB127_50
.LBB127_81:
	v_add_u32_e32 v6, v5, v0
	v_mov_b32_e32 v7, 0
	v_lshlrev_b64 v[6:7], 2, v[6:7]
	s_waitcnt lgkmcnt(0)
	v_mov_b32_e32 v8, s13
	v_add_co_u32_e64 v6, s[6:7], s12, v6
	v_addc_co_u32_e64 v7, s[6:7], v8, v7, s[6:7]
	global_store_dword v[6:7], v31, off
	s_or_b64 exec, exec, s[14:15]
	s_and_saveexec_b64 s[14:15], s[0:1]
	s_cbranch_execz .LBB127_53
.LBB127_82:
	v_add_u32_e32 v6, v5, v2
	v_mov_b32_e32 v7, 0
	v_lshlrev_b64 v[6:7], 2, v[6:7]
	s_waitcnt lgkmcnt(0)
	v_mov_b32_e32 v8, s13
	v_add_co_u32_e64 v6, s[6:7], s12, v6
	v_addc_co_u32_e64 v7, s[6:7], v8, v7, s[6:7]
	global_store_dword v[6:7], v29, off
	s_or_b64 exec, exec, s[14:15]
	s_and_saveexec_b64 s[14:15], s[2:3]
	s_cbranch_execz .LBB127_54
.LBB127_83:
	v_add_u32_e32 v6, v5, v3
	v_mov_b32_e32 v7, 0
	v_lshlrev_b64 v[6:7], 2, v[6:7]
	s_waitcnt lgkmcnt(0)
	v_mov_b32_e32 v8, s13
	v_add_co_u32_e64 v6, s[6:7], s12, v6
	v_addc_co_u32_e64 v7, s[6:7], v8, v7, s[6:7]
	global_store_dword v[6:7], v27, off
	s_or_b64 exec, exec, s[14:15]
	s_and_saveexec_b64 s[14:15], s[4:5]
	s_cbranch_execnz .LBB127_55
	s_branch .LBB127_56
.LBB127_84:
	v_add_u32_e32 v6, v5, v0
	v_mov_b32_e32 v7, 0
	v_lshlrev_b64 v[6:7], 2, v[6:7]
	s_waitcnt lgkmcnt(0)
	v_mov_b32_e32 v8, s13
	v_add_co_u32_e64 v6, s[6:7], s12, v6
	v_addc_co_u32_e64 v7, s[6:7], v8, v7, s[6:7]
	global_store_dword v[6:7], v22, off
	s_or_b64 exec, exec, s[14:15]
	s_and_saveexec_b64 s[14:15], s[0:1]
	s_cbranch_execz .LBB127_59
.LBB127_85:
	v_add_u32_e32 v6, v5, v2
	v_mov_b32_e32 v7, 0
	v_lshlrev_b64 v[6:7], 2, v[6:7]
	s_waitcnt lgkmcnt(0)
	v_mov_b32_e32 v8, s13
	v_add_co_u32_e64 v6, s[6:7], s12, v6
	v_addc_co_u32_e64 v7, s[6:7], v8, v7, s[6:7]
	global_store_dword v[6:7], v20, off
	s_or_b64 exec, exec, s[14:15]
	s_and_saveexec_b64 s[14:15], s[2:3]
	s_cbranch_execz .LBB127_60
.LBB127_86:
	v_add_u32_e32 v6, v5, v3
	v_mov_b32_e32 v7, 0
	v_lshlrev_b64 v[6:7], 2, v[6:7]
	s_waitcnt lgkmcnt(0)
	v_mov_b32_e32 v8, s13
	v_add_co_u32_e64 v6, s[6:7], s12, v6
	v_addc_co_u32_e64 v7, s[6:7], v8, v7, s[6:7]
	global_store_dword v[6:7], v18, off
	s_or_b64 exec, exec, s[14:15]
	s_and_saveexec_b64 s[14:15], s[4:5]
	s_cbranch_execnz .LBB127_61
	s_branch .LBB127_62
.LBB127_87:
	v_add_u32_e32 v6, v1, v0
	v_mov_b32_e32 v7, 0
	v_lshlrev_b64 v[6:7], 2, v[6:7]
	s_waitcnt lgkmcnt(0)
	v_mov_b32_e32 v0, s13
	v_add_co_u32_e32 v6, vcc, s12, v6
	v_addc_co_u32_e32 v7, vcc, v0, v7, vcc
	global_store_dword v[6:7], v23, off
	s_or_b64 exec, exec, s[6:7]
	s_and_saveexec_b64 s[6:7], s[0:1]
	s_cbranch_execz .LBB127_65
.LBB127_88:
	v_add_u32_e32 v6, v1, v2
	v_mov_b32_e32 v7, 0
	v_lshlrev_b64 v[6:7], 2, v[6:7]
	s_waitcnt lgkmcnt(0)
	v_mov_b32_e32 v0, s13
	v_add_co_u32_e32 v6, vcc, s12, v6
	v_addc_co_u32_e32 v7, vcc, v0, v7, vcc
	global_store_dword v[6:7], v21, off
	s_or_b64 exec, exec, s[6:7]
	s_and_saveexec_b64 s[0:1], s[2:3]
	s_cbranch_execz .LBB127_66
.LBB127_89:
	v_add_u32_e32 v2, v1, v3
	v_mov_b32_e32 v3, 0
	v_lshlrev_b64 v[2:3], 2, v[2:3]
	s_waitcnt lgkmcnt(0)
	v_mov_b32_e32 v0, s13
	v_add_co_u32_e32 v2, vcc, s12, v2
	v_addc_co_u32_e32 v3, vcc, v0, v3, vcc
	global_store_dword v[2:3], v19, off
	s_or_b64 exec, exec, s[0:1]
	s_and_b64 exec, exec, s[4:5]
	s_cbranch_execnz .LBB127_67
	s_branch .LBB127_68
	.section	.rodata,"a",@progbits
	.p2align	6, 0x0
	.amdhsa_kernel _ZL12mul_mat_q2_KIfLb0EEvPKvS1_PT_iiiii
		.amdhsa_group_segment_fixed_size 31392
		.amdhsa_private_segment_fixed_size 0
		.amdhsa_kernarg_size 44
		.amdhsa_user_sgpr_count 6
		.amdhsa_user_sgpr_private_segment_buffer 1
		.amdhsa_user_sgpr_dispatch_ptr 0
		.amdhsa_user_sgpr_queue_ptr 0
		.amdhsa_user_sgpr_kernarg_segment_ptr 1
		.amdhsa_user_sgpr_dispatch_id 0
		.amdhsa_user_sgpr_flat_scratch_init 0
		.amdhsa_user_sgpr_kernarg_preload_length 0
		.amdhsa_user_sgpr_kernarg_preload_offset 0
		.amdhsa_user_sgpr_private_segment_size 0
		.amdhsa_uses_dynamic_stack 0
		.amdhsa_system_sgpr_private_segment_wavefront_offset 0
		.amdhsa_system_sgpr_workgroup_id_x 1
		.amdhsa_system_sgpr_workgroup_id_y 1
		.amdhsa_system_sgpr_workgroup_id_z 0
		.amdhsa_system_sgpr_workgroup_info 0
		.amdhsa_system_vgpr_workitem_id 1
		.amdhsa_next_free_vgpr 223
		.amdhsa_next_free_sgpr 22
		.amdhsa_accum_offset 224
		.amdhsa_reserve_vcc 1
		.amdhsa_reserve_flat_scratch 0
		.amdhsa_float_round_mode_32 0
		.amdhsa_float_round_mode_16_64 0
		.amdhsa_float_denorm_mode_32 3
		.amdhsa_float_denorm_mode_16_64 3
		.amdhsa_dx10_clamp 1
		.amdhsa_ieee_mode 1
		.amdhsa_fp16_overflow 0
		.amdhsa_tg_split 0
		.amdhsa_exception_fp_ieee_invalid_op 0
		.amdhsa_exception_fp_denorm_src 0
		.amdhsa_exception_fp_ieee_div_zero 0
		.amdhsa_exception_fp_ieee_overflow 0
		.amdhsa_exception_fp_ieee_underflow 0
		.amdhsa_exception_fp_ieee_inexact 0
		.amdhsa_exception_int_div_zero 0
	.end_amdhsa_kernel
	.section	.text._ZL12mul_mat_q2_KIfLb0EEvPKvS1_PT_iiiii,"axG",@progbits,_ZL12mul_mat_q2_KIfLb0EEvPKvS1_PT_iiiii,comdat
.Lfunc_end127:
	.size	_ZL12mul_mat_q2_KIfLb0EEvPKvS1_PT_iiiii, .Lfunc_end127-_ZL12mul_mat_q2_KIfLb0EEvPKvS1_PT_iiiii
                                        ; -- End function
	.section	.AMDGPU.csdata,"",@progbits
; Kernel info:
; codeLenInByte = 25472
; NumSgprs: 26
; NumVgprs: 223
; NumAgprs: 0
; TotalNumVgprs: 223
; ScratchSize: 0
; MemoryBound: 0
; FloatMode: 240
; IeeeMode: 1
; LDSByteSize: 31392 bytes/workgroup (compile time only)
; SGPRBlocks: 3
; VGPRBlocks: 27
; NumSGPRsForWavesPerEU: 26
; NumVGPRsForWavesPerEU: 223
; AccumOffset: 224
; Occupancy: 2
; WaveLimiterHint : 0
; COMPUTE_PGM_RSRC2:SCRATCH_EN: 0
; COMPUTE_PGM_RSRC2:USER_SGPR: 6
; COMPUTE_PGM_RSRC2:TRAP_HANDLER: 0
; COMPUTE_PGM_RSRC2:TGID_X_EN: 1
; COMPUTE_PGM_RSRC2:TGID_Y_EN: 1
; COMPUTE_PGM_RSRC2:TGID_Z_EN: 0
; COMPUTE_PGM_RSRC2:TIDIG_COMP_CNT: 1
; COMPUTE_PGM_RSRC3_GFX90A:ACCUM_OFFSET: 55
; COMPUTE_PGM_RSRC3_GFX90A:TG_SPLIT: 0
	.section	.text._ZL12mul_mat_q2_KIfLb1EEvPKvS1_PT_iiiii,"axG",@progbits,_ZL12mul_mat_q2_KIfLb1EEvPKvS1_PT_iiiii,comdat
	.globl	_ZL12mul_mat_q2_KIfLb1EEvPKvS1_PT_iiiii ; -- Begin function _ZL12mul_mat_q2_KIfLb1EEvPKvS1_PT_iiiii
	.p2align	8
	.type	_ZL12mul_mat_q2_KIfLb1EEvPKvS1_PT_iiiii,@function
_ZL12mul_mat_q2_KIfLb1EEvPKvS1_PT_iiiii: ; @_ZL12mul_mat_q2_KIfLb1EEvPKvS1_PT_iiiii
; %bb.0:
	s_load_dwordx4 s[8:11], s[4:5], 0x18
	s_load_dword s14, s[4:5], 0x28
	s_lshl_b32 s15, s7, 6
	v_bfe_u32 v43, v0, 10, 10
	s_waitcnt lgkmcnt(0)
	s_cmpk_gt_i32 s8, 0xff
	s_cbranch_scc1 .LBB128_2
; %bb.1:
	v_bfe_u32 v1, v0, 10, 10
	s_mov_b32 s0, 0
	v_and_b32_e32 v41, 0x3ff, v0
	v_add_u32_e32 v45, s15, v1
	s_mov_b32 s1, s0
	s_mov_b64 s[2:3], 0
	s_branch .LBB128_3
.LBB128_2:
	s_mov_b64 s[2:3], -1
                                        ; implicit-def: $sgpr0_sgpr1
                                        ; implicit-def: $vgpr1
                                        ; implicit-def: $vgpr41
                                        ; implicit-def: $vgpr45
.LBB128_3:
	s_load_dwordx2 s[12:13], s[4:5], 0x10
	s_lshl_b32 s6, s6, 7
	s_andn2_b64 vcc, exec, s[2:3]
	v_pk_mov_b32 v[16:17], s[0:1], s[0:1] op_sel:[0,1]
	v_pk_mov_b32 v[24:25], s[0:1], s[0:1] op_sel:[0,1]
	;; [unrolled: 1-line block ×16, first 2 shown]
	s_cbranch_vccnz .LBB128_17
; %bb.4:
	s_load_dwordx4 s[0:3], s[4:5], 0x0
	s_ashr_i32 s4, s8, 31
	s_lshr_b32 s4, s4, 24
	s_add_i32 s4, s8, s4
	s_ashr_i32 s5, s11, 31
	s_ashr_i32 s4, s4, 8
	s_lshr_b32 s5, s5, 27
	s_add_i32 s5, s11, s5
	s_mul_i32 s7, s4, s6
	s_ashr_i32 s11, s5, 5
	s_mul_hi_i32 s8, s7, 0x54
	s_mulk_i32 s7, 0x54
	s_waitcnt lgkmcnt(0)
	s_add_u32 s7, s0, s7
	s_addc_u32 s8, s1, s8
	s_not_b32 s0, s6
	s_add_i32 s9, s0, s9
	v_and_b32_e32 v41, 0x3ff, v0
	v_lshlrev_b32_e32 v0, 2, v41
	v_min_i32_e32 v1, s9, v43
	s_movk_i32 s1, 0x84
	v_add_u32_e32 v4, 8, v43
	v_mul_lo_u32 v44, v1, s4
	v_mad_u64_u32 v[46:47], s[16:17], v1, s1, v[0:1]
	v_min_i32_e32 v1, s9, v4
	v_add_u32_e32 v5, 16, v43
	v_mul_lo_u32 v48, v1, s4
	v_mad_u64_u32 v[50:51], s[16:17], v1, s1, v[0:1]
	v_min_i32_e32 v1, s9, v5
	;; [unrolled: 4-line block ×7, first 2 shown]
	v_mul_lo_u32 v72, v1, s4
	v_mad_u64_u32 v[74:75], s[16:17], v1, s1, v[0:1]
	v_add_u32_e32 v1, 64, v43
	v_min_i32_e32 v1, s9, v1
	v_mul_lo_u32 v76, v1, s4
	v_mad_u64_u32 v[78:79], s[16:17], v1, s1, v[0:1]
	v_add_u32_e32 v1, 0x48, v43
	v_min_i32_e32 v1, s9, v1
	;; [unrolled: 4-line block ×8, first 2 shown]
	v_mul_lo_u32 v106, v1, s4
	v_mad_u64_u32 v[108:109], s[16:17], v1, s1, v[0:1]
	v_lshlrev_b32_e32 v47, 4, v43
	v_lshrrev_b32_e32 v1, 1, v41
	v_add_u32_e32 v1, v1, v47
	v_and_b32_e32 v1, 0x7f, v1
	v_min_i32_e32 v1, s9, v1
	v_ashrrev_i32_e32 v2, 31, v1
	v_lshrrev_b32_e32 v2, 28, v2
	v_add_u32_e32 v2, v1, v2
	v_and_b32_e32 v110, 1, v41
	v_ashrrev_i32_e32 v2, 4, v2
	v_lshrrev_b32_e32 v49, 3, v41
	v_mul_lo_u32 v114, v1, s4
	v_lshlrev_b32_e32 v2, 2, v2
	v_lshlrev_b32_e32 v3, 2, v110
	s_movk_i32 s18, 0x7280
	v_lshlrev_b32_e32 v12, 3, v1
	v_lshl_add_u32 v1, v43, 2, v49
	v_add3_u32 v11, v2, v3, s18
	v_min_i32_e32 v3, s9, v1
	v_ashrrev_i32_e32 v13, 31, v3
	v_lshrrev_b32_e32 v13, 30, v13
	v_mul_lo_u32 v124, v3, s4
	v_add_u32_e32 v13, v3, v13
	v_lshlrev_b32_e32 v14, 5, v3
	v_add_u32_e32 v3, 32, v1
	v_min_i32_e32 v3, s9, v3
	v_ashrrev_i32_e32 v15, 31, v3
	v_lshrrev_b32_e32 v15, 30, v15
	v_mul_lo_u32 v126, v3, s4
	v_add_u32_e32 v15, v3, v15
	v_lshlrev_b32_e32 v16, 5, v3
	v_add_u32_e32 v3, 64, v1
	v_min_i32_e32 v3, s9, v3
	v_ashrrev_i32_e32 v17, 31, v3
	v_add_u32_e32 v1, 0x60, v1
	v_and_b32_e32 v2, 7, v41
	v_lshrrev_b32_e32 v17, 30, v17
	v_min_i32_e32 v1, s9, v1
	v_and_b32_e32 v42, 60, v0
	v_cmp_lt_u32_e32 vcc, 3, v2
	v_and_b32_e32 v120, 12, v0
	v_mul_lo_u32 v128, v3, s4
	v_add_u32_e32 v17, v3, v17
	v_lshlrev_b32_e32 v18, 5, v3
	v_ashrrev_i32_e32 v3, 31, v1
	v_and_b32_e32 v0, 28, v0
	v_cndmask_b32_e64 v118, 0, 1, vcc
	v_lshrrev_b32_e32 v3, 30, v3
	v_add_co_u32_e32 v132, vcc, s2, v0
	v_lshrrev_b32_e32 v0, 2, v41
	v_mul_lo_u32 v130, v1, s4
	v_add_u32_e32 v3, v1, v3
	v_lshlrev_b32_e32 v20, 5, v1
	v_mov_b32_e32 v1, s3
	v_lshl_add_u32 v0, v43, 3, v0
	v_addc_co_u32_e32 v133, vcc, 0, v1, vcc
	v_and_b32_e32 v1, 63, v0
	s_add_i32 s9, s10, -1
	v_or_b32_e32 v22, s15, v1
	v_and_b32_e32 v13, -4, v13
	v_lshlrev_b32_e32 v2, 2, v2
	s_movk_i32 s16, 0x6200
	v_and_b32_e32 v15, -4, v15
	v_and_b32_e32 v17, -4, v17
	v_and_b32_e32 v3, -4, v3
	v_and_b32_e32 v0, 3, v41
	v_min_i32_e32 v22, s9, v22
	v_add3_u32 v13, v13, v2, s16
	v_add3_u32 v15, v15, v2, s16
	;; [unrolled: 1-line block ×4, first 2 shown]
	v_mad_u64_u32 v[134:135], s[16:17], v22, s11, v[0:1]
	v_lshlrev_b32_e32 v0, 2, v0
	v_add_u32_e32 v45, s15, v43
	v_lshl_or_b32 v0, v1, 4, v0
	v_cvt_f64_i32_e32 v[2:3], s9
	v_add_u32_e32 v51, 0x76a0, v0
	v_cvt_f64_u32_e32 v[0:1], v45
	v_and_b32_e32 v21, 31, v41
	v_min_f64 v[0:1], v[0:1], v[2:3]
	v_cvt_i32_f64_e32 v0, v[0:1]
	v_lshlrev_b32_e32 v21, 2, v21
	v_lshlrev_b32_e32 v55, 7, v43
	v_mul_lo_u32 v53, s11, v0
	v_or_b32_e32 v0, v55, v21
	v_add_u32_e32 v57, 0x4200, v0
	v_add_u32_e32 v0, 8, v45
	v_cvt_f64_u32_e32 v[0:1], v0
	v_min_f64 v[0:1], v[0:1], v[2:3]
	v_cvt_i32_f64_e32 v0, v[0:1]
	v_mul_lo_u32 v59, s11, v0
	v_lshl_or_b32 v0, v4, 7, v21
	v_add_u32_e32 v61, 0x4200, v0
	v_add_u32_e32 v0, 16, v45
	v_cvt_f64_u32_e32 v[0:1], v0
	v_min_f64 v[0:1], v[0:1], v[2:3]
	v_cvt_i32_f64_e32 v0, v[0:1]
	v_mul_lo_u32 v63, s11, v0
	v_lshl_or_b32 v0, v5, 7, v21
	;; [unrolled: 7-line block ×6, first 2 shown]
	v_add_u32_e32 v81, 0x4200, v0
	v_add_u32_e32 v0, 56, v45
	v_cvt_f64_u32_e32 v[0:1], v0
	v_min_f64 v[0:1], v[0:1], v[2:3]
	v_cvt_i32_f64_e32 v0, v[0:1]
	v_lshrrev_b32_e32 v40, 4, v41
	v_mul_lo_u32 v83, s11, v0
	v_lshl_or_b32 v0, v10, 7, v21
	v_add_u32_e32 v85, 0x4200, v0
	v_lshlrev_b32_e32 v0, 3, v41
	v_lshlrev_b32_e32 v7, 2, v40
	v_add_u32_e32 v1, 32, v41
	v_add3_u32 v89, v7, v0, s18
	v_mov_b32_e32 v0, 0x1080
	v_mad_u32_u24 v91, v41, s1, v0
	v_lshrrev_b32_e32 v0, 2, v1
	v_lshlrev_b32_e32 v2, 3, v1
	v_and_b32_e32 v0, 0x7c, v0
	v_add_u32_e32 v3, 64, v41
	v_add3_u32 v95, v2, v0, s18
	v_mov_b32_e32 v0, 0x2100
	v_mad_u32_u24 v97, v41, s1, v0
	v_lshrrev_b32_e32 v0, 2, v3
	v_lshlrev_b32_e32 v4, 3, v3
	v_and_b32_e32 v0, 0x7c, v0
	s_mov_b32 s0, 0
	v_add_u32_e32 v5, 0x60, v41
	v_add3_u32 v99, v4, v0, s18
	v_mov_b32_e32 v0, 0x3180
	v_mad_u32_u24 v101, v41, s1, v0
	v_lshrrev_b32_e32 v0, 2, v5
	s_mov_b32 s1, s0
	v_lshlrev_b32_e32 v6, 3, v5
	v_and_b32_e32 v0, 0x7c, v0
	v_and_b32_e32 v111, 0x1fc, v5
	v_lshlrev_b32_e32 v119, 5, v41
	v_and_b32_e32 v121, 0x1fc, v3
	v_and_b32_e32 v127, 0x1fc, v1
	;; [unrolled: 1-line block ×3, first 2 shown]
	v_pk_mov_b32 v[122:123], s[0:1], s[0:1] op_sel:[0,1]
	s_movk_i32 s5, 0x54
	v_mul_u32_u24_e32 v87, 0x84, v41
	v_add3_u32 v103, v6, v0, s18
	v_lshrrev_b32_e32 v105, 3, v1
	v_lshrrev_b32_e32 v107, 3, v3
	;; [unrolled: 1-line block ×3, first 2 shown]
	v_or_b32_e32 v115, 0x4200, v111
	v_or_b32_e32 v125, 0x4200, v121
	;; [unrolled: 1-line block ×4, first 2 shown]
	v_add_u32_e32 v137, 0x6e08, v111
	v_add_u32_e32 v139, 0x6a08, v121
	;; [unrolled: 1-line block ×15, first 2 shown]
	s_mov_b32 s1, 0x1010101
	v_mov_b32_e32 v167, 4
	v_mov_b32_e32 v168, 15
	v_pk_mov_b32 v[38:39], v[122:123], v[122:123] op_sel:[0,1]
	v_pk_mov_b32 v[30:31], v[122:123], v[122:123] op_sel:[0,1]
	;; [unrolled: 1-line block ×15, first 2 shown]
	s_branch .LBB128_6
.LBB128_5:                              ;   in Loop: Header=BB128_6 Depth=1
	s_add_i32 s0, s0, 2
	s_cmp_ge_i32 s0, s4
	s_cbranch_scc1 .LBB128_16
.LBB128_6:                              ; =>This Loop Header: Depth=1
                                        ;     Child Loop BB128_7 Depth 2
                                        ;     Child Loop BB128_9 Depth 2
	;; [unrolled: 1-line block ×4, first 2 shown]
	s_mul_i32 s11, s0, 0x54
	s_mul_hi_u32 s9, s0, 0x54
	s_add_u32 s16, s7, s11
	s_addc_u32 s17, s8, s9
	v_pk_mov_b32 v[0:1], s[16:17], s[16:17] op_sel:[0,1]
	v_mad_u64_u32 v[2:3], s[16:17], v40, s5, v[0:1]
	v_add_co_u32_e32 v2, vcc, v2, v42
	v_addc_co_u32_e32 v3, vcc, 0, v3, vcc
	v_add_co_u32_e32 v2, vcc, 16, v2
	v_addc_co_u32_e32 v3, vcc, 0, v3, vcc
	v_mad_i64_i32 v[4:5], s[16:17], v44, s5, v[2:3]
	v_mad_i64_i32 v[6:7], s[16:17], v48, s5, v[2:3]
	;; [unrolled: 1-line block ×8, first 2 shown]
	global_load_dword v136, v[4:5], off
	global_load_dword v138, v[6:7], off
	;; [unrolled: 1-line block ×8, first 2 shown]
	v_mad_i64_i32 v[4:5], s[16:17], v76, s5, v[2:3]
	v_mad_i64_i32 v[6:7], s[16:17], v80, s5, v[2:3]
	;; [unrolled: 1-line block ×8, first 2 shown]
	global_load_dword v152, v[4:5], off
	global_load_dword v153, v[6:7], off
	;; [unrolled: 1-line block ×8, first 2 shown]
	v_mad_i64_i32 v[2:3], s[16:17], v114, s5, v[0:1]
	v_mad_u64_u32 v[0:1], s[16:17], v118, s5, v[0:1]
	v_add_co_u32_e32 v0, vcc, v0, v120
	v_addc_co_u32_e32 v1, vcc, 0, v1, vcc
	s_lshl_b32 s9, s0, 3
	v_mad_u64_u32 v[2:3], s[16:17], v110, s5, v[2:3]
	v_mad_i64_i32 v[4:5], s[16:17], v124, s5, v[0:1]
	v_mad_i64_i32 v[6:7], s[16:17], v126, s5, v[0:1]
	;; [unrolled: 1-line block ×4, first 2 shown]
	v_add_u32_e32 v144, s9, v49
	global_load_dword v173, v[2:3], off offset:80
	global_load_dword v174, v[4:5], off
	global_load_dword v175, v[6:7], off
	s_nop 0
	global_load_dword v8, v[8:9], off
	s_nop 0
	global_load_dword v176, v[0:1], off
	v_add_u32_e32 v0, v144, v53
	v_add_u32_e32 v2, v144, v59
	v_add_u32_e32 v4, v144, v63
	v_add_u32_e32 v6, v144, v67
	v_add_u32_e32 v10, v144, v71
	v_add_u32_e32 v9, s9, v134
	v_mad_i64_i32 v[0:1], s[16:17], v0, 36, v[132:133]
	v_mad_i64_i32 v[2:3], s[16:17], v2, 36, v[132:133]
	;; [unrolled: 1-line block ×5, first 2 shown]
	v_add_u32_e32 v12, v144, v75
	v_add_u32_e32 v14, v144, v79
	;; [unrolled: 1-line block ×3, first 2 shown]
	v_mad_i64_i32 v[12:13], s[16:17], v12, 36, v[132:133]
	v_mad_i64_i32 v[14:15], s[16:17], v14, 36, v[132:133]
	;; [unrolled: 1-line block ×3, first 2 shown]
	v_mad_u64_u32 v[146:147], s[16:17], v9, 36, s[2:3]
	global_load_dword v0, v[0:1], off offset:4
	s_nop 0
	global_load_dword v1, v[2:3], off offset:4
	s_nop 0
	global_load_dword v2, v[4:5], off offset:4
	global_load_dword v3, v[6:7], off offset:4
	s_nop 0
	global_load_dword v4, v[10:11], off offset:4
	global_load_dword v5, v[146:147], off
	global_load_dword v6, v[12:13], off offset:4
	global_load_dword v7, v[14:15], off offset:4
	s_nop 0
	global_load_dword v10, v[144:145], off offset:4
	s_waitcnt vmcnt(29)
	ds_write_b32 v46, v136
	s_waitcnt vmcnt(28)
	ds_write_b32 v50, v138
	;; [unrolled: 2-line block ×26, first 2 shown]
	s_waitcnt vmcnt(3)
	v_cvt_f32_f16_e32 v0, v5
	s_mov_b32 s17, -2
	v_mov_b32_e32 v11, v55
	v_mov_b32_e32 v13, v47
	s_mov_b32 s11, 0
	s_waitcnt vmcnt(2)
	ds_write_b32 v77, v6
	s_waitcnt vmcnt(1)
	ds_write_b32 v81, v7
	;; [unrolled: 2-line block ×3, first 2 shown]
	ds_write_b32 v51, v0
	s_waitcnt lgkmcnt(0)
	s_barrier
.LBB128_7:                              ;   Parent Loop BB128_6 Depth=1
                                        ; =>  This Inner Loop Header: Depth=2
	s_and_b32 s16, s11, -16
	v_add_u32_e32 v136, s16, v119
	s_add_i32 s16, s17, 2
	s_and_b32 s18, s16, 0x3ffffff8
	s_lshl_b32 s18, s18, 2
	v_add_u32_e32 v0, 0x7400, v13
	v_add_u32_e32 v8, s18, v87
	ds_read2_b32 v[144:145], v0 offset0:168 offset1:200
	ds_read_b128 v[4:7], v11 offset:16896
	ds_read_b128 v[0:3], v11 offset:16912
	ds_read2_b32 v[14:15], v8 offset1:1
	ds_read2_b32 v[146:147], v8 offset0:4 offset1:5
	s_lshr_b32 s19, s16, 2
	s_and_b32 s19, s19, 0x3ffffffc
	v_mov_b32_e32 v148, 0
	s_waitcnt lgkmcnt(1)
	v_ashrrev_i32_e32 v10, s16, v14
	v_and_b32_e32 v173, 0x3030303, v10
	v_ashrrev_i32_e32 v10, s16, v15
	ds_read2_b32 v[14:15], v8 offset0:2 offset1:3
	v_and_b32_e32 v170, 0x3030303, v10
	v_mov_b32_e32 v216, 0
	v_mov_b32_e32 v217, 0
	;; [unrolled: 1-line block ×3, first 2 shown]
	s_waitcnt lgkmcnt(0)
	v_ashrrev_i32_e32 v10, s16, v14
	v_and_b32_e32 v171, 0x3030303, v10
	v_ashrrev_i32_e32 v10, s16, v15
	v_and_b32_e32 v172, 0x3030303, v10
	;; [unrolled: 2-line block ×3, first 2 shown]
	v_ashrrev_i32_e32 v10, s16, v147
	ds_read2_b32 v[146:147], v8 offset0:6 offset1:7
	v_and_b32_e32 v154, 0x3030303, v10
	v_add_u32_e32 v10, s19, v89
	v_mov_b32_e32 v219, 0
	s_add_i32 s11, s11, 2
	s_waitcnt lgkmcnt(0)
	v_ashrrev_i32_e32 v8, s16, v146
	v_and_b32_e32 v155, 0x3030303, v8
	v_ashrrev_i32_e32 v8, s16, v147
	v_and_b32_e32 v169, 0x3030303, v8
	v_add3_u32 v8, v135, s17, v136
	ds_read_b32 v10, v10
	ds_read_u16 v12, v8 offset:8194
	s_cmp_lt_u32 s16, 6
	s_waitcnt lgkmcnt(0)
	v_bfe_u32 v8, v12, 4, 4
	v_mul_lo_u32 v174, v8, s1
	v_mov_b32_e32 v8, 0
	v_and_b32_e32 v190, 15, v12
	v_lshrrev_b32_sdwa v14, v167, v12 dst_sel:DWORD dst_unused:UNUSED_PAD src0_sel:DWORD src1_sel:BYTE_1
	v_and_b32_sdwa v189, v12, v168 dst_sel:DWORD dst_unused:UNUSED_PAD src0_sel:BYTE_1 src1_sel:DWORD
	v_add_u32_e32 v12, s18, v91
	v_dot4c_i32_i8_e32 v8, v173, v4
	v_mul_lo_u32 v187, v14, s1
	v_mov_b32_e32 v14, 0
	ds_read2_b32 v[150:151], v12 offset1:1
	v_dot4c_i32_i8_e32 v8, v170, v5
	v_dot4c_i32_i8_e32 v14, v15, v0
	;; [unrolled: 1-line block ×8, first 2 shown]
	v_mul_lo_u32 v8, v190, v8
	v_dot4c_i32_i8_e32 v148, v174, v5
	v_mad_u64_u32 v[146:147], s[20:21], v189, v14, v[8:9]
	s_waitcnt lgkmcnt(0)
	v_ashrrev_i32_e32 v14, s16, v150
	v_and_b32_e32 v186, 0x3030303, v14
	v_ashrrev_i32_e32 v14, s16, v151
	ds_read2_b32 v[150:151], v12 offset0:2 offset1:3
	v_and_b32_e32 v183, 0x3030303, v14
	v_cvt_f32_i32_e32 v147, v146
	v_dot4c_i32_i8_e32 v148, v174, v6
	v_dot4c_i32_i8_e32 v148, v174, v7
	s_waitcnt lgkmcnt(0)
	v_ashrrev_i32_e32 v14, s16, v150
	v_and_b32_e32 v184, 0x3030303, v14
	v_ashrrev_i32_e32 v14, s16, v151
	ds_read2_b32 v[150:151], v12 offset0:4 offset1:5
	v_and_b32_e32 v185, 0x3030303, v14
	v_dot4c_i32_i8_e32 v148, v187, v0
	v_dot4c_i32_i8_e32 v148, v187, v1
	;; [unrolled: 1-line block ×3, first 2 shown]
	s_waitcnt lgkmcnt(0)
	v_ashrrev_i32_e32 v14, s16, v150
	v_and_b32_e32 v175, 0x3030303, v14
	v_ashrrev_i32_e32 v14, s16, v151
	ds_read2_b32 v[150:151], v12 offset0:6 offset1:7
	v_and_b32_e32 v176, 0x3030303, v14
	v_add_u32_e32 v14, s19, v95
	v_dot4c_i32_i8_e32 v148, v187, v3
	v_cvt_f32_f16_e32 v8, v10
	s_waitcnt lgkmcnt(0)
	v_ashrrev_i32_e32 v12, s16, v150
	v_and_b32_e32 v177, 0x3030303, v12
	v_ashrrev_i32_e32 v12, s16, v151
	v_and_b32_e32 v178, 0x3030303, v12
	v_add3_u32 v12, v129, s17, v136
	ds_read_b32 v14, v14
	ds_read_u16 v138, v12 offset:9218
	v_mov_b32_e32 v150, 0
	v_cvt_f32_f16_sdwa v10, v10 dst_sel:DWORD dst_unused:UNUSED_PAD src0_sel:WORD_1
	s_waitcnt lgkmcnt(0)
	v_bfe_u32 v12, v138, 4, 4
	v_mul_lo_u32 v188, v12, s1
	v_mov_b32_e32 v12, 0
	v_lshrrev_b32_sdwa v140, v167, v138 dst_sel:DWORD dst_unused:UNUSED_PAD src0_sel:DWORD src1_sel:BYTE_1
	v_dot4c_i32_i8_e32 v12, v186, v4
	v_mul_lo_u32 v199, v140, s1
	v_mov_b32_e32 v140, 0
	v_dot4c_i32_i8_e32 v12, v183, v5
	v_dot4c_i32_i8_e32 v140, v175, v0
	;; [unrolled: 1-line block ×5, first 2 shown]
	v_and_b32_e32 v204, 15, v138
	v_dot4c_i32_i8_e32 v140, v177, v2
	v_dot4c_i32_i8_e32 v140, v178, v3
	v_mul_lo_u32 v12, v204, v12
	v_and_b32_sdwa v202, v138, v168 dst_sel:DWORD dst_unused:UNUSED_PAD src0_sel:BYTE_1 src1_sel:DWORD
	v_add_u32_e32 v138, s18, v97
	v_mad_u64_u32 v[152:153], s[20:21], v202, v140, v[12:13]
	v_cvt_f32_i32_e32 v149, v152
	ds_read2_b32 v[152:153], v138 offset1:1
	v_dot4c_i32_i8_e32 v150, v188, v4
	v_dot4c_i32_i8_e32 v150, v188, v5
	v_dot4c_i32_i8_e32 v150, v188, v6
	v_dot4c_i32_i8_e32 v150, v188, v7
	s_waitcnt lgkmcnt(0)
	v_ashrrev_i32_e32 v140, s16, v152
	v_and_b32_e32 v198, 0x3030303, v140
	v_ashrrev_i32_e32 v140, s16, v153
	ds_read2_b32 v[152:153], v138 offset0:2 offset1:3
	v_and_b32_e32 v195, 0x3030303, v140
	v_dot4c_i32_i8_e32 v150, v199, v0
	v_dot4c_i32_i8_e32 v150, v199, v1
	v_dot4c_i32_i8_e32 v150, v199, v2
	s_waitcnt lgkmcnt(0)
	v_ashrrev_i32_e32 v140, s16, v152
	v_and_b32_e32 v196, 0x3030303, v140
	v_ashrrev_i32_e32 v140, s16, v153
	ds_read2_b32 v[152:153], v138 offset0:4 offset1:5
	v_and_b32_e32 v197, 0x3030303, v140
	v_dot4c_i32_i8_e32 v150, v199, v3
	v_cvt_f32_f16_e32 v12, v14
	v_cvt_f32_f16_sdwa v14, v14 dst_sel:DWORD dst_unused:UNUSED_PAD src0_sel:WORD_1
	s_waitcnt lgkmcnt(0)
	v_ashrrev_i32_e32 v140, s16, v152
	v_and_b32_e32 v191, 0x3030303, v140
	v_ashrrev_i32_e32 v140, s16, v153
	ds_read2_b32 v[152:153], v138 offset0:6 offset1:7
	v_and_b32_e32 v192, 0x3030303, v140
	v_add_u32_e32 v140, s19, v99
	s_waitcnt lgkmcnt(0)
	v_ashrrev_i32_e32 v138, s16, v152
	v_and_b32_e32 v193, 0x3030303, v138
	v_ashrrev_i32_e32 v138, s16, v153
	v_and_b32_e32 v194, 0x3030303, v138
	v_add3_u32 v138, v125, s17, v136
	ds_read_b32 v142, v140
	ds_read_u16 v140, v138 offset:10242
	v_add3_u32 v136, v115, s17, v136
	v_mov_b32_e32 v152, 0
	s_mov_b32 s17, s16
	s_waitcnt lgkmcnt(0)
	v_bfe_u32 v138, v140, 4, 4
	v_mul_lo_u32 v201, v138, s1
	v_mov_b32_e32 v138, 0
	v_lshrrev_b32_sdwa v146, v167, v140 dst_sel:DWORD dst_unused:UNUSED_PAD src0_sel:DWORD src1_sel:BYTE_1
	v_dot4c_i32_i8_e32 v138, v198, v4
	v_mul_lo_u32 v209, v146, s1
	v_mov_b32_e32 v146, 0
	v_dot4c_i32_i8_e32 v138, v195, v5
	v_dot4c_i32_i8_e32 v146, v191, v0
	;; [unrolled: 1-line block ×5, first 2 shown]
	v_and_b32_e32 v212, 15, v140
	v_dot4c_i32_i8_e32 v146, v193, v2
	v_dot4c_i32_i8_e32 v146, v194, v3
	v_mul_lo_u32 v138, v212, v138
	v_and_b32_sdwa v211, v140, v168 dst_sel:DWORD dst_unused:UNUSED_PAD src0_sel:BYTE_1 src1_sel:DWORD
	v_dot4c_i32_i8_e32 v152, v201, v4
	v_mad_u64_u32 v[180:181], s[20:21], v211, v146, v[138:139]
	v_add_u32_e32 v138, s18, v101
	v_cvt_f32_i32_e32 v151, v180
	ds_read2_b32 v[180:181], v138 offset1:1
	ds_read2_b32 v[214:215], v138 offset0:6 offset1:7
	v_dot4c_i32_i8_e32 v152, v201, v5
	v_dot4c_i32_i8_e32 v152, v201, v6
	;; [unrolled: 1-line block ×3, first 2 shown]
	s_waitcnt lgkmcnt(1)
	v_ashrrev_i32_e32 v146, s16, v180
	v_and_b32_e32 v208, 0x3030303, v146
	v_ashrrev_i32_e32 v146, s16, v181
	ds_read2_b32 v[180:181], v138 offset0:2 offset1:3
	v_and_b32_e32 v205, 0x3030303, v146
	v_dot4c_i32_i8_e32 v152, v209, v0
	v_dot4c_i32_i8_e32 v152, v209, v1
	;; [unrolled: 1-line block ×3, first 2 shown]
	s_waitcnt lgkmcnt(0)
	v_ashrrev_i32_e32 v146, s16, v180
	v_and_b32_e32 v206, 0x3030303, v146
	v_ashrrev_i32_e32 v146, s16, v181
	ds_read2_b32 v[180:181], v138 offset0:4 offset1:5
	v_and_b32_e32 v207, 0x3030303, v146
	v_ashrrev_i32_e32 v138, s16, v214
	v_dot4c_i32_i8_e32 v152, v209, v3
	v_mov_b32_e32 v214, 0
	s_waitcnt lgkmcnt(0)
	v_ashrrev_i32_e32 v146, s16, v180
	v_and_b32_e32 v179, 0x3030303, v146
	v_ashrrev_i32_e32 v146, s16, v181
	v_and_b32_e32 v181, 0x3030303, v138
	;; [unrolled: 2-line block ×3, first 2 shown]
	v_add_u32_e32 v138, s19, v103
	ds_read_b32 v138, v138
	ds_read_u16 v136, v136 offset:11266
	v_and_b32_e32 v180, 0x3030303, v146
	v_cvt_f32_f16_e32 v140, v142
	v_cvt_f32_f16_sdwa v142, v142 dst_sel:DWORD dst_unused:UNUSED_PAD src0_sel:WORD_1
	s_waitcnt lgkmcnt(0)
	v_bfe_u32 v146, v136, 4, 4
	v_mul_lo_u32 v210, v146, s1
	v_mov_b32_e32 v146, 0
	v_dot4c_i32_i8_e32 v146, v208, v4
	v_dot4c_i32_i8_e32 v216, v210, v4
	;; [unrolled: 1-line block ×4, first 2 shown]
	v_lshrrev_b32_sdwa v5, v167, v136 dst_sel:DWORD dst_unused:UNUSED_PAD src0_sel:DWORD src1_sel:BYTE_1
	v_mul_lo_u32 v200, v5, s1
	v_mov_b32_e32 v5, 0
	v_dot4c_i32_i8_e32 v216, v210, v6
	v_dot4c_i32_i8_e32 v5, v179, v0
	;; [unrolled: 1-line block ×6, first 2 shown]
	v_and_b32_e32 v213, 15, v136
	v_dot4c_i32_i8_e32 v216, v200, v0
	v_dot4c_i32_i8_e32 v5, v181, v2
	v_mul_lo_u32 v4, v213, v146
	v_dot4c_i32_i8_e32 v216, v200, v1
	v_dot4c_i32_i8_e32 v5, v182, v3
	v_and_b32_sdwa v203, v136, v168 dst_sel:DWORD dst_unused:UNUSED_PAD src0_sel:BYTE_1 src1_sel:DWORD
	v_dot4c_i32_i8_e32 v216, v200, v2
	v_dot4c_i32_i8_e32 v216, v200, v3
	v_mad_u64_u32 v[0:1], s[18:19], v203, v5, v[4:5]
	v_cvt_f32_i32_e32 v153, v0
	ds_read_b128 v[4:7], v11 offset:17920
	ds_read_b128 v[0:3], v11 offset:17936
	v_mov_b32_e32 v146, 0
	v_cvt_f32_f16_e32 v136, v138
	v_cvt_f32_f16_sdwa v138, v138 dst_sel:DWORD dst_unused:UNUSED_PAD src0_sel:WORD_1
	s_waitcnt lgkmcnt(1)
	v_dot4c_i32_i8_e32 v217, v174, v4
	v_dot4c_i32_i8_e32 v217, v174, v5
	;; [unrolled: 1-line block ×6, first 2 shown]
	s_waitcnt lgkmcnt(0)
	v_dot4c_i32_i8_e32 v214, v15, v0
	v_dot4c_i32_i8_e32 v146, v171, v6
	;; [unrolled: 1-line block ×8, first 2 shown]
	v_mul_lo_u32 v146, v146, v190
	v_dot4c_i32_i8_e32 v214, v169, v3
	v_dot4c_i32_i8_e32 v217, v187, v3
	s_nop 1
	v_mad_u64_u32 v[214:215], s[18:19], v214, v189, v[146:147]
	v_cvt_f32_i32_e32 v146, v214
	v_cvt_f32_i32_e32 v215, v148
	;; [unrolled: 1-line block ×3, first 2 shown]
	v_mov_b32_e32 v217, 0
	v_pk_mul_f32 v[214:215], v[10:11], v[214:215] op_sel_hi:[0,1]
	v_pk_fma_f32 v[214:215], v[8:9], v[146:147], v[214:215] op_sel_hi:[0,1,1] neg_lo:[0,0,1] neg_hi:[0,0,1]
	v_mov_b32_e32 v146, v145
	v_mov_b32_e32 v147, v144
	v_pk_fma_f32 v[122:123], v[146:147], v[214:215], v[122:123]
	v_mov_b32_e32 v214, 0
	v_dot4c_i32_i8_e32 v214, v188, v4
	v_mov_b32_e32 v144, 0
	v_dot4c_i32_i8_e32 v214, v188, v5
	v_dot4c_i32_i8_e32 v144, v186, v4
	;; [unrolled: 1-line block ×3, first 2 shown]
	v_mov_b32_e32 v145, 0
	v_dot4c_i32_i8_e32 v144, v183, v5
	v_dot4c_i32_i8_e32 v214, v188, v7
	;; [unrolled: 1-line block ×10, first 2 shown]
	v_mul_lo_u32 v144, v144, v204
	v_dot4c_i32_i8_e32 v145, v178, v3
	v_dot4c_i32_i8_e32 v214, v199, v3
	s_nop 1
	v_mad_u64_u32 v[144:145], s[18:19], v145, v202, v[144:145]
	v_cvt_f32_i32_e32 v148, v144
	v_cvt_f32_i32_e32 v145, v150
	;; [unrolled: 1-line block ×3, first 2 shown]
	v_pk_mul_f32 v[144:145], v[14:15], v[144:145] op_sel_hi:[0,1]
	v_pk_fma_f32 v[144:145], v[12:13], v[148:149], v[144:145] op_sel_hi:[0,1,1] neg_lo:[0,0,1] neg_hi:[0,0,1]
	v_mov_b32_e32 v148, 0
	v_dot4c_i32_i8_e32 v148, v201, v4
	v_pk_fma_f32 v[116:117], v[146:147], v[144:145], v[116:117]
	v_mov_b32_e32 v144, 0
	v_dot4c_i32_i8_e32 v148, v201, v5
	v_dot4c_i32_i8_e32 v144, v198, v4
	;; [unrolled: 1-line block ×3, first 2 shown]
	v_mov_b32_e32 v145, 0
	v_dot4c_i32_i8_e32 v144, v195, v5
	v_dot4c_i32_i8_e32 v148, v201, v7
	;; [unrolled: 1-line block ×10, first 2 shown]
	v_mul_lo_u32 v144, v144, v212
	v_dot4c_i32_i8_e32 v145, v194, v3
	v_dot4c_i32_i8_e32 v148, v209, v3
	v_mov_b32_e32 v149, 0
	s_nop 0
	v_mad_u64_u32 v[144:145], s[18:19], v145, v211, v[144:145]
	v_cvt_f32_i32_e32 v150, v144
	v_cvt_f32_i32_e32 v145, v152
	;; [unrolled: 1-line block ×3, first 2 shown]
	v_pk_mul_f32 v[144:145], v[142:143], v[144:145] op_sel_hi:[0,1]
	v_pk_fma_f32 v[144:145], v[140:141], v[150:151], v[144:145] op_sel_hi:[0,1,1] neg_lo:[0,0,1] neg_hi:[0,0,1]
	v_pk_fma_f32 v[112:113], v[146:147], v[144:145], v[112:113]
	v_mov_b32_e32 v145, 0
	v_mov_b32_e32 v144, 0
	v_dot4c_i32_i8_e32 v145, v210, v4
	v_dot4c_i32_i8_e32 v144, v208, v4
	;; [unrolled: 1-line block ×5, first 2 shown]
	v_mov_b32_e32 v5, 0
	v_dot4c_i32_i8_e32 v145, v210, v7
	v_dot4c_i32_i8_e32 v5, v179, v0
	;; [unrolled: 1-line block ×9, first 2 shown]
	v_mul_lo_u32 v4, v144, v213
	v_dot4c_i32_i8_e32 v5, v182, v3
	v_dot4c_i32_i8_e32 v145, v200, v3
	v_mov_b32_e32 v151, 0
	s_nop 0
	v_mad_u64_u32 v[0:1], s[18:19], v5, v203, v[4:5]
	v_cvt_f32_i32_e32 v152, v0
	v_cvt_f32_i32_e32 v1, v216
	;; [unrolled: 1-line block ×3, first 2 shown]
	v_mov_b32_e32 v216, 0
	v_pk_mul_f32 v[0:1], v[138:139], v[0:1] op_sel_hi:[0,1]
	v_pk_fma_f32 v[0:1], v[136:137], v[152:153], v[0:1] op_sel_hi:[0,1,1] neg_lo:[0,0,1] neg_hi:[0,0,1]
	v_pk_fma_f32 v[92:93], v[146:147], v[0:1], v[92:93]
	v_add_u32_e32 v0, 0x7600, v13
	ds_read2_b32 v[144:145], v0 offset0:104 offset1:136
	ds_read_b128 v[4:7], v11 offset:18944
	ds_read_b128 v[0:3], v11 offset:18960
	v_mov_b32_e32 v146, 0
	v_mov_b32_e32 v147, 0
	s_waitcnt lgkmcnt(1)
	v_dot4c_i32_i8_e32 v146, v173, v4
	v_dot4c_i32_i8_e32 v146, v170, v5
	s_waitcnt lgkmcnt(0)
	v_dot4c_i32_i8_e32 v147, v15, v0
	v_dot4c_i32_i8_e32 v146, v171, v6
	;; [unrolled: 1-line block ×7, first 2 shown]
	v_mul_lo_u32 v146, v146, v190
	v_dot4c_i32_i8_e32 v216, v188, v4
	v_mad_u64_u32 v[146:147], s[18:19], v147, v189, v[146:147]
	v_cvt_f32_i32_e32 v152, v146
	v_mov_b32_e32 v146, 0
	v_dot4c_i32_i8_e32 v146, v186, v4
	v_mov_b32_e32 v147, 0
	v_dot4c_i32_i8_e32 v146, v183, v5
	v_dot4c_i32_i8_e32 v147, v175, v0
	;; [unrolled: 1-line block ×8, first 2 shown]
	v_mul_lo_u32 v146, v146, v204
	v_dot4c_i32_i8_e32 v218, v210, v4
	v_mad_u64_u32 v[146:147], s[18:19], v147, v202, v[146:147]
	v_cvt_f32_i32_e32 v150, v146
	v_mov_b32_e32 v146, 0
	v_dot4c_i32_i8_e32 v146, v198, v4
	v_mov_b32_e32 v147, 0
	v_dot4c_i32_i8_e32 v146, v195, v5
	v_dot4c_i32_i8_e32 v147, v191, v0
	;; [unrolled: 1-line block ×8, first 2 shown]
	v_mul_lo_u32 v146, v146, v212
	v_dot4c_i32_i8_e32 v216, v188, v5
	v_mad_u64_u32 v[146:147], s[18:19], v147, v211, v[146:147]
	v_cvt_f32_i32_e32 v148, v146
	v_mov_b32_e32 v146, 0
	v_dot4c_i32_i8_e32 v146, v208, v4
	v_dot4c_i32_i8_e32 v217, v201, v5
	v_dot4c_i32_i8_e32 v146, v205, v5
	v_dot4c_i32_i8_e32 v218, v210, v5
	v_mov_b32_e32 v5, 0
	v_dot4c_i32_i8_e32 v149, v174, v6
	v_dot4c_i32_i8_e32 v216, v188, v6
	;; [unrolled: 1-line block ×20, first 2 shown]
	v_mul_lo_u32 v4, v146, v213
	v_dot4c_i32_i8_e32 v218, v200, v1
	v_dot4c_i32_i8_e32 v5, v182, v3
	;; [unrolled: 1-line block ×6, first 2 shown]
	v_mad_u64_u32 v[0:1], s[18:19], v5, v203, v[4:5]
	v_dot4c_i32_i8_e32 v149, v187, v3
	v_dot4c_i32_i8_e32 v216, v199, v3
	;; [unrolled: 1-line block ×4, first 2 shown]
	v_cvt_f32_i32_e32 v146, v0
	ds_read_b128 v[4:7], v11 offset:19968
	ds_read_b128 v[0:3], v11 offset:19984
	v_mov_b32_e32 v147, 0
	s_waitcnt lgkmcnt(1)
	v_dot4c_i32_i8_e32 v147, v173, v4
	v_dot4c_i32_i8_e32 v147, v170, v5
	;; [unrolled: 1-line block ×8, first 2 shown]
	s_waitcnt lgkmcnt(0)
	v_dot4c_i32_i8_e32 v151, v187, v0
	v_mul_lo_u32 v214, v147, v190
	v_mov_b32_e32 v147, 0
	v_dot4c_i32_i8_e32 v147, v15, v0
	v_dot4c_i32_i8_e32 v147, v154, v1
	;; [unrolled: 1-line block ×7, first 2 shown]
	s_nop 1
	v_mad_u64_u32 v[214:215], s[18:19], v147, v189, v[214:215]
	v_cvt_f32_i32_e32 v153, v214
	v_cvt_f32_i32_e32 v215, v151
	;; [unrolled: 1-line block ×3, first 2 shown]
	v_mov_b32_e32 v147, 0
	v_dot4c_i32_i8_e32 v147, v186, v4
	v_mov_b32_e32 v149, 0
	v_dot4c_i32_i8_e32 v147, v183, v5
	v_pk_mul_f32 v[214:215], v[10:11], v[214:215] op_sel_hi:[0,1]
	v_dot4c_i32_i8_e32 v149, v188, v4
	v_dot4c_i32_i8_e32 v147, v184, v6
	v_pk_fma_f32 v[152:153], v[8:9], v[152:153], v[214:215] op_sel_hi:[0,1,1] neg_lo:[0,0,1] neg_hi:[0,0,1]
	v_dot4c_i32_i8_e32 v149, v188, v5
	v_dot4c_i32_i8_e32 v147, v185, v7
	v_pk_fma_f32 v[38:39], v[144:145], v[152:153], v[38:39]
	v_dot4c_i32_i8_e32 v149, v188, v6
	v_dot4c_i32_i8_e32 v149, v188, v7
	v_mul_lo_u32 v152, v147, v204
	v_mov_b32_e32 v147, 0
	v_dot4c_i32_i8_e32 v147, v175, v0
	v_dot4c_i32_i8_e32 v149, v199, v0
	;; [unrolled: 1-line block ×8, first 2 shown]
	v_add_u32_e32 v214, 0x7800, v13
	v_mov_b32_e32 v215, 0
	v_mad_u64_u32 v[152:153], s[18:19], v147, v202, v[152:153]
	v_cvt_f32_i32_e32 v151, v152
	v_cvt_f32_i32_e32 v153, v149
	v_cvt_f32_i32_e32 v152, v216
	v_mov_b32_e32 v147, 0
	v_dot4c_i32_i8_e32 v147, v198, v4
	v_dot4c_i32_i8_e32 v147, v195, v5
	v_pk_mul_f32 v[152:153], v[14:15], v[152:153] op_sel_hi:[0,1]
	v_pk_fma_f32 v[150:151], v[12:13], v[150:151], v[152:153] op_sel_hi:[0,1,1] neg_lo:[0,0,1] neg_hi:[0,0,1]
	v_mov_b32_e32 v152, 0
	v_dot4c_i32_i8_e32 v152, v201, v4
	v_dot4c_i32_i8_e32 v147, v196, v6
	;; [unrolled: 1-line block ×4, first 2 shown]
	v_pk_fma_f32 v[36:37], v[144:145], v[150:151], v[36:37]
	v_dot4c_i32_i8_e32 v152, v201, v6
	v_dot4c_i32_i8_e32 v152, v201, v7
	v_mul_lo_u32 v150, v147, v212
	v_mov_b32_e32 v147, 0
	v_dot4c_i32_i8_e32 v147, v191, v0
	v_dot4c_i32_i8_e32 v152, v209, v0
	;; [unrolled: 1-line block ×8, first 2 shown]
	s_nop 1
	v_mad_u64_u32 v[150:151], s[18:19], v147, v211, v[150:151]
	v_cvt_f32_i32_e32 v149, v150
	v_cvt_f32_i32_e32 v151, v152
	;; [unrolled: 1-line block ×3, first 2 shown]
	v_mov_b32_e32 v147, 0
	v_dot4c_i32_i8_e32 v147, v208, v4
	v_dot4c_i32_i8_e32 v147, v205, v5
	v_pk_mul_f32 v[150:151], v[142:143], v[150:151] op_sel_hi:[0,1]
	v_pk_fma_f32 v[148:149], v[140:141], v[148:149], v[150:151] op_sel_hi:[0,1,1] neg_lo:[0,0,1] neg_hi:[0,0,1]
	v_pk_fma_f32 v[34:35], v[144:145], v[148:149], v[34:35]
	v_mov_b32_e32 v148, 0
	v_dot4c_i32_i8_e32 v148, v210, v4
	v_dot4c_i32_i8_e32 v148, v210, v5
	;; [unrolled: 1-line block ×3, first 2 shown]
	v_mov_b32_e32 v5, 0
	v_dot4c_i32_i8_e32 v148, v210, v7
	v_dot4c_i32_i8_e32 v5, v179, v0
	;; [unrolled: 1-line block ×9, first 2 shown]
	v_mul_lo_u32 v4, v147, v213
	v_dot4c_i32_i8_e32 v5, v182, v3
	v_dot4c_i32_i8_e32 v148, v200, v3
	v_mov_b32_e32 v149, 0
	v_mov_b32_e32 v151, 0
	v_mad_u64_u32 v[0:1], s[18:19], v5, v203, v[4:5]
	v_cvt_f32_i32_e32 v147, v0
	v_cvt_f32_i32_e32 v1, v148
	;; [unrolled: 1-line block ×3, first 2 shown]
	v_mov_b32_e32 v218, 0
	v_pk_mul_f32 v[0:1], v[138:139], v[0:1] op_sel_hi:[0,1]
	v_pk_fma_f32 v[0:1], v[136:137], v[146:147], v[0:1] op_sel_hi:[0,1,1] neg_lo:[0,0,1] neg_hi:[0,0,1]
	v_pk_fma_f32 v[32:33], v[144:145], v[0:1], v[32:33]
	ds_read2_b32 v[144:145], v214 offset0:40 offset1:72
	ds_read_b128 v[4:7], v11 offset:20992
	ds_read_b128 v[0:3], v11 offset:21008
	v_mov_b32_e32 v146, 0
	v_mov_b32_e32 v147, 0
	s_waitcnt lgkmcnt(1)
	v_dot4c_i32_i8_e32 v146, v173, v4
	v_dot4c_i32_i8_e32 v146, v170, v5
	s_waitcnt lgkmcnt(0)
	v_dot4c_i32_i8_e32 v147, v15, v0
	v_dot4c_i32_i8_e32 v146, v171, v6
	;; [unrolled: 1-line block ×7, first 2 shown]
	v_mul_lo_u32 v146, v146, v190
	v_dot4c_i32_i8_e32 v215, v188, v4
	v_mad_u64_u32 v[146:147], s[18:19], v147, v189, v[146:147]
	v_cvt_f32_i32_e32 v152, v146
	v_mov_b32_e32 v146, 0
	v_dot4c_i32_i8_e32 v146, v186, v4
	v_mov_b32_e32 v147, 0
	v_dot4c_i32_i8_e32 v146, v183, v5
	v_dot4c_i32_i8_e32 v147, v175, v0
	;; [unrolled: 1-line block ×8, first 2 shown]
	v_mul_lo_u32 v146, v146, v204
	v_dot4c_i32_i8_e32 v219, v210, v4
	v_mad_u64_u32 v[146:147], s[18:19], v147, v202, v[146:147]
	v_cvt_f32_i32_e32 v150, v146
	v_mov_b32_e32 v146, 0
	v_dot4c_i32_i8_e32 v146, v198, v4
	v_mov_b32_e32 v147, 0
	v_dot4c_i32_i8_e32 v146, v195, v5
	v_dot4c_i32_i8_e32 v147, v191, v0
	;; [unrolled: 1-line block ×8, first 2 shown]
	v_mul_lo_u32 v146, v146, v212
	v_dot4c_i32_i8_e32 v215, v188, v5
	v_mad_u64_u32 v[146:147], s[18:19], v147, v211, v[146:147]
	v_cvt_f32_i32_e32 v148, v146
	v_mov_b32_e32 v146, 0
	v_dot4c_i32_i8_e32 v146, v208, v4
	v_dot4c_i32_i8_e32 v218, v201, v5
	;; [unrolled: 1-line block ×4, first 2 shown]
	v_mov_b32_e32 v5, 0
	v_dot4c_i32_i8_e32 v149, v174, v6
	v_dot4c_i32_i8_e32 v215, v188, v6
	v_dot4c_i32_i8_e32 v218, v201, v6
	v_dot4c_i32_i8_e32 v219, v210, v6
	v_dot4c_i32_i8_e32 v5, v179, v0
	v_dot4c_i32_i8_e32 v149, v174, v7
	v_dot4c_i32_i8_e32 v215, v188, v7
	v_dot4c_i32_i8_e32 v218, v201, v7
	v_dot4c_i32_i8_e32 v146, v206, v6
	v_dot4c_i32_i8_e32 v219, v210, v7
	v_dot4c_i32_i8_e32 v5, v180, v1
	v_dot4c_i32_i8_e32 v149, v187, v0
	v_dot4c_i32_i8_e32 v215, v199, v0
	v_dot4c_i32_i8_e32 v218, v209, v0
	v_dot4c_i32_i8_e32 v146, v207, v7
	v_dot4c_i32_i8_e32 v219, v200, v0
	v_dot4c_i32_i8_e32 v5, v181, v2
	v_dot4c_i32_i8_e32 v149, v187, v1
	v_dot4c_i32_i8_e32 v215, v199, v1
	v_dot4c_i32_i8_e32 v218, v209, v1
	v_mul_lo_u32 v4, v146, v213
	v_dot4c_i32_i8_e32 v219, v200, v1
	v_dot4c_i32_i8_e32 v5, v182, v3
	;; [unrolled: 1-line block ×6, first 2 shown]
	v_mad_u64_u32 v[0:1], s[18:19], v5, v203, v[4:5]
	v_dot4c_i32_i8_e32 v149, v187, v3
	v_dot4c_i32_i8_e32 v215, v199, v3
	;; [unrolled: 1-line block ×4, first 2 shown]
	v_cvt_f32_i32_e32 v146, v0
	ds_read_b128 v[4:7], v11 offset:22016
	ds_read_b128 v[0:3], v11 offset:22032
	v_mov_b32_e32 v147, 0
	s_waitcnt lgkmcnt(1)
	v_dot4c_i32_i8_e32 v147, v173, v4
	v_dot4c_i32_i8_e32 v147, v170, v5
	;; [unrolled: 1-line block ×8, first 2 shown]
	s_waitcnt lgkmcnt(0)
	v_dot4c_i32_i8_e32 v151, v187, v0
	v_mul_lo_u32 v216, v147, v190
	v_mov_b32_e32 v147, 0
	v_dot4c_i32_i8_e32 v147, v15, v0
	v_dot4c_i32_i8_e32 v147, v154, v1
	;; [unrolled: 1-line block ×7, first 2 shown]
	s_nop 1
	v_mad_u64_u32 v[216:217], s[18:19], v147, v189, v[216:217]
	v_cvt_f32_i32_e32 v153, v216
	v_cvt_f32_i32_e32 v217, v151
	;; [unrolled: 1-line block ×3, first 2 shown]
	v_mov_b32_e32 v147, 0
	v_dot4c_i32_i8_e32 v147, v186, v4
	v_mov_b32_e32 v149, 0
	v_dot4c_i32_i8_e32 v147, v183, v5
	v_pk_mul_f32 v[216:217], v[10:11], v[216:217] op_sel_hi:[0,1]
	v_dot4c_i32_i8_e32 v149, v188, v4
	v_dot4c_i32_i8_e32 v147, v184, v6
	v_pk_fma_f32 v[152:153], v[8:9], v[152:153], v[216:217] op_sel_hi:[0,1,1] neg_lo:[0,0,1] neg_hi:[0,0,1]
	v_dot4c_i32_i8_e32 v149, v188, v5
	v_dot4c_i32_i8_e32 v147, v185, v7
	v_pk_fma_f32 v[30:31], v[144:145], v[152:153], v[30:31]
	v_dot4c_i32_i8_e32 v149, v188, v6
	v_dot4c_i32_i8_e32 v149, v188, v7
	v_mul_lo_u32 v152, v147, v204
	v_mov_b32_e32 v147, 0
	v_dot4c_i32_i8_e32 v147, v175, v0
	v_dot4c_i32_i8_e32 v149, v199, v0
	;; [unrolled: 1-line block ×8, first 2 shown]
	v_mov_b32_e32 v216, 0
	s_nop 0
	v_mad_u64_u32 v[152:153], s[18:19], v147, v202, v[152:153]
	v_cvt_f32_i32_e32 v151, v152
	v_cvt_f32_i32_e32 v153, v149
	;; [unrolled: 1-line block ×3, first 2 shown]
	v_mov_b32_e32 v147, 0
	v_dot4c_i32_i8_e32 v147, v198, v4
	v_dot4c_i32_i8_e32 v147, v195, v5
	v_pk_mul_f32 v[152:153], v[14:15], v[152:153] op_sel_hi:[0,1]
	v_pk_fma_f32 v[150:151], v[12:13], v[150:151], v[152:153] op_sel_hi:[0,1,1] neg_lo:[0,0,1] neg_hi:[0,0,1]
	v_mov_b32_e32 v152, 0
	v_dot4c_i32_i8_e32 v152, v201, v4
	v_dot4c_i32_i8_e32 v147, v196, v6
	;; [unrolled: 1-line block ×4, first 2 shown]
	v_pk_fma_f32 v[28:29], v[144:145], v[150:151], v[28:29]
	v_dot4c_i32_i8_e32 v152, v201, v6
	v_dot4c_i32_i8_e32 v152, v201, v7
	v_mul_lo_u32 v150, v147, v212
	v_mov_b32_e32 v147, 0
	v_dot4c_i32_i8_e32 v147, v191, v0
	v_dot4c_i32_i8_e32 v152, v209, v0
	v_dot4c_i32_i8_e32 v147, v192, v1
	v_dot4c_i32_i8_e32 v152, v209, v1
	v_dot4c_i32_i8_e32 v147, v193, v2
	v_dot4c_i32_i8_e32 v152, v209, v2
	v_dot4c_i32_i8_e32 v147, v194, v3
	v_dot4c_i32_i8_e32 v152, v209, v3
	v_mov_b32_e32 v215, 0
	s_nop 0
	v_mad_u64_u32 v[150:151], s[18:19], v147, v211, v[150:151]
	v_cvt_f32_i32_e32 v149, v150
	v_cvt_f32_i32_e32 v151, v152
	;; [unrolled: 1-line block ×3, first 2 shown]
	v_mov_b32_e32 v147, 0
	v_dot4c_i32_i8_e32 v147, v208, v4
	v_dot4c_i32_i8_e32 v147, v205, v5
	v_pk_mul_f32 v[150:151], v[142:143], v[150:151] op_sel_hi:[0,1]
	v_pk_fma_f32 v[148:149], v[140:141], v[148:149], v[150:151] op_sel_hi:[0,1,1] neg_lo:[0,0,1] neg_hi:[0,0,1]
	v_pk_fma_f32 v[26:27], v[144:145], v[148:149], v[26:27]
	v_mov_b32_e32 v148, 0
	v_dot4c_i32_i8_e32 v148, v210, v4
	v_dot4c_i32_i8_e32 v148, v210, v5
	;; [unrolled: 1-line block ×3, first 2 shown]
	v_mov_b32_e32 v5, 0
	v_dot4c_i32_i8_e32 v148, v210, v7
	v_dot4c_i32_i8_e32 v5, v179, v0
	;; [unrolled: 1-line block ×9, first 2 shown]
	v_mul_lo_u32 v4, v147, v213
	v_dot4c_i32_i8_e32 v5, v182, v3
	v_dot4c_i32_i8_e32 v148, v200, v3
	v_mov_b32_e32 v149, 0
	v_mov_b32_e32 v151, 0
	v_mad_u64_u32 v[0:1], s[18:19], v5, v203, v[4:5]
	v_cvt_f32_i32_e32 v147, v0
	v_cvt_f32_i32_e32 v1, v148
	;; [unrolled: 1-line block ×3, first 2 shown]
	v_pk_mul_f32 v[0:1], v[138:139], v[0:1] op_sel_hi:[0,1]
	v_pk_fma_f32 v[0:1], v[136:137], v[146:147], v[0:1] op_sel_hi:[0,1,1] neg_lo:[0,0,1] neg_hi:[0,0,1]
	v_pk_fma_f32 v[24:25], v[144:145], v[0:1], v[24:25]
	ds_read2_b32 v[144:145], v214 offset0:104 offset1:136
	ds_read_b128 v[4:7], v11 offset:23040
	ds_read_b128 v[0:3], v11 offset:23056
	v_mov_b32_e32 v146, 0
	v_mov_b32_e32 v147, 0
	;; [unrolled: 1-line block ×3, first 2 shown]
	s_waitcnt lgkmcnt(1)
	v_dot4c_i32_i8_e32 v146, v173, v4
	v_dot4c_i32_i8_e32 v146, v170, v5
	s_waitcnt lgkmcnt(0)
	v_dot4c_i32_i8_e32 v147, v15, v0
	v_dot4c_i32_i8_e32 v146, v171, v6
	;; [unrolled: 1-line block ×7, first 2 shown]
	v_mul_lo_u32 v146, v146, v190
	v_dot4c_i32_i8_e32 v215, v188, v4
	v_mad_u64_u32 v[146:147], s[18:19], v147, v189, v[146:147]
	v_cvt_f32_i32_e32 v152, v146
	v_mov_b32_e32 v146, 0
	v_dot4c_i32_i8_e32 v146, v186, v4
	v_mov_b32_e32 v147, 0
	v_dot4c_i32_i8_e32 v146, v183, v5
	v_dot4c_i32_i8_e32 v147, v175, v0
	;; [unrolled: 1-line block ×8, first 2 shown]
	v_mul_lo_u32 v146, v146, v204
	v_dot4c_i32_i8_e32 v214, v210, v4
	v_mad_u64_u32 v[146:147], s[18:19], v147, v202, v[146:147]
	v_cvt_f32_i32_e32 v150, v146
	v_mov_b32_e32 v146, 0
	v_dot4c_i32_i8_e32 v146, v198, v4
	v_mov_b32_e32 v147, 0
	v_dot4c_i32_i8_e32 v146, v195, v5
	v_dot4c_i32_i8_e32 v147, v191, v0
	;; [unrolled: 1-line block ×8, first 2 shown]
	v_mul_lo_u32 v146, v146, v212
	v_dot4c_i32_i8_e32 v215, v188, v5
	v_mad_u64_u32 v[146:147], s[18:19], v147, v211, v[146:147]
	v_cvt_f32_i32_e32 v148, v146
	v_mov_b32_e32 v146, 0
	v_dot4c_i32_i8_e32 v146, v208, v4
	v_dot4c_i32_i8_e32 v216, v201, v5
	;; [unrolled: 1-line block ×4, first 2 shown]
	v_mov_b32_e32 v5, 0
	v_dot4c_i32_i8_e32 v149, v174, v6
	v_dot4c_i32_i8_e32 v215, v188, v6
	;; [unrolled: 1-line block ×20, first 2 shown]
	v_mul_lo_u32 v4, v146, v213
	v_dot4c_i32_i8_e32 v214, v200, v1
	v_dot4c_i32_i8_e32 v5, v182, v3
	;; [unrolled: 1-line block ×6, first 2 shown]
	v_mad_u64_u32 v[0:1], s[18:19], v5, v203, v[4:5]
	v_dot4c_i32_i8_e32 v149, v187, v3
	v_dot4c_i32_i8_e32 v215, v199, v3
	;; [unrolled: 1-line block ×4, first 2 shown]
	v_cvt_f32_i32_e32 v146, v0
	ds_read_b128 v[4:7], v11 offset:24064
	ds_read_b128 v[0:3], v11 offset:24080
	v_mov_b32_e32 v147, 0
	s_waitcnt lgkmcnt(1)
	v_dot4c_i32_i8_e32 v147, v173, v4
	v_dot4c_i32_i8_e32 v147, v170, v5
	;; [unrolled: 1-line block ×8, first 2 shown]
	s_waitcnt lgkmcnt(0)
	v_dot4c_i32_i8_e32 v151, v187, v0
	v_mul_lo_u32 v170, v147, v190
	v_mov_b32_e32 v147, 0
	v_dot4c_i32_i8_e32 v147, v15, v0
	v_dot4c_i32_i8_e32 v147, v154, v1
	v_dot4c_i32_i8_e32 v151, v187, v1
	v_dot4c_i32_i8_e32 v147, v155, v2
	v_dot4c_i32_i8_e32 v151, v187, v2
	v_dot4c_i32_i8_e32 v147, v169, v3
	v_dot4c_i32_i8_e32 v151, v187, v3
	v_mov_b32_e32 v15, 0
	v_dot4c_i32_i8_e32 v15, v175, v0
	v_mad_u64_u32 v[154:155], s[18:19], v147, v189, v[170:171]
	v_cvt_f32_i32_e32 v153, v154
	v_cvt_f32_i32_e32 v155, v151
	;; [unrolled: 1-line block ×3, first 2 shown]
	v_dot4c_i32_i8_e32 v15, v176, v1
	v_dot4c_i32_i8_e32 v15, v177, v2
	;; [unrolled: 1-line block ×3, first 2 shown]
	v_pk_mul_f32 v[154:155], v[10:11], v[154:155] op_sel_hi:[0,1]
	v_mov_b32_e32 v10, 0
	v_dot4c_i32_i8_e32 v10, v188, v4
	v_pk_fma_f32 v[152:153], v[8:9], v[152:153], v[154:155] op_sel_hi:[0,1,1] neg_lo:[0,0,1] neg_hi:[0,0,1]
	v_mov_b32_e32 v8, 0
	v_dot4c_i32_i8_e32 v10, v188, v5
	v_dot4c_i32_i8_e32 v8, v186, v4
	;; [unrolled: 1-line block ×10, first 2 shown]
	v_pk_fma_f32 v[22:23], v[144:145], v[152:153], v[22:23]
	v_mul_lo_u32 v8, v8, v204
	v_dot4c_i32_i8_e32 v10, v199, v3
	v_mad_u64_u32 v[152:153], s[18:19], v15, v202, v[8:9]
	v_cvt_f32_i32_e32 v151, v152
	s_nop 0
	v_cvt_f32_i32_e32 v153, v10
	v_cvt_f32_i32_e32 v152, v215
	v_mov_b32_e32 v10, 0
	v_dot4c_i32_i8_e32 v10, v201, v4
	v_mov_b32_e32 v8, 0
	v_pk_mul_f32 v[14:15], v[14:15], v[152:153] op_sel_hi:[0,1]
	v_dot4c_i32_i8_e32 v10, v201, v5
	v_pk_fma_f32 v[14:15], v[12:13], v[150:151], v[14:15] op_sel_hi:[0,1,1] neg_lo:[0,0,1] neg_hi:[0,0,1]
	v_dot4c_i32_i8_e32 v8, v198, v4
	v_dot4c_i32_i8_e32 v10, v201, v6
	v_mov_b32_e32 v12, 0
	v_dot4c_i32_i8_e32 v8, v195, v5
	v_dot4c_i32_i8_e32 v10, v201, v7
	;; [unrolled: 1-line block ×10, first 2 shown]
	v_mul_lo_u32 v8, v8, v212
	v_dot4c_i32_i8_e32 v12, v194, v3
	v_pk_fma_f32 v[20:21], v[144:145], v[14:15], v[20:21]
	v_dot4c_i32_i8_e32 v10, v209, v3
	v_add_u32_e32 v13, 4, v13
	v_mad_u64_u32 v[14:15], s[18:19], v12, v211, v[8:9]
	s_nop 0
	v_cvt_f32_i32_e32 v15, v10
	v_mov_b32_e32 v10, 0
	v_mov_b32_e32 v8, 0
	v_dot4c_i32_i8_e32 v10, v210, v4
	v_dot4c_i32_i8_e32 v8, v208, v4
	;; [unrolled: 1-line block ×5, first 2 shown]
	v_mov_b32_e32 v5, 0
	v_dot4c_i32_i8_e32 v10, v210, v7
	v_dot4c_i32_i8_e32 v5, v179, v0
	;; [unrolled: 1-line block ×9, first 2 shown]
	v_mul_lo_u32 v4, v8, v213
	v_dot4c_i32_i8_e32 v5, v182, v3
	v_dot4c_i32_i8_e32 v10, v200, v3
	v_cvt_f32_i32_e32 v149, v14
	v_cvt_f32_i32_e32 v14, v216
	v_mad_u64_u32 v[0:1], s[18:19], v5, v203, v[4:5]
	v_cvt_f32_i32_e32 v147, v0
	v_cvt_f32_i32_e32 v1, v10
	;; [unrolled: 1-line block ×3, first 2 shown]
	v_pk_mul_f32 v[14:15], v[142:143], v[14:15] op_sel_hi:[0,1]
	v_pk_fma_f32 v[14:15], v[140:141], v[148:149], v[14:15] op_sel_hi:[0,1,1] neg_lo:[0,0,1] neg_hi:[0,0,1]
	v_pk_fma_f32 v[18:19], v[144:145], v[14:15], v[18:19]
	v_pk_mul_f32 v[0:1], v[138:139], v[0:1] op_sel_hi:[0,1]
	v_pk_fma_f32 v[0:1], v[136:137], v[146:147], v[0:1] op_sel_hi:[0,1,1] neg_lo:[0,0,1] neg_hi:[0,0,1]
	v_pk_fma_f32 v[16:17], v[144:145], v[0:1], v[16:17]
	v_add_u32_e32 v11, 32, v11
	s_cbranch_scc1 .LBB128_7
; %bb.8:                                ;   in Loop: Header=BB128_6 Depth=1
	v_add_u32_e32 v8, s9, v105
	v_add_u32_e32 v0, v8, v53
	;; [unrolled: 1-line block ×9, first 2 shown]
	v_mad_i64_i32 v[144:145], s[16:17], v8, 36, v[132:133]
	v_add_u32_e32 v8, 4, v9
	v_mad_i64_i32 v[0:1], s[16:17], v0, 36, v[132:133]
	v_mad_i64_i32 v[2:3], s[16:17], v2, 36, v[132:133]
	;; [unrolled: 1-line block ×4, first 2 shown]
	v_mad_u64_u32 v[146:147], s[16:17], v8, 36, s[2:3]
	s_barrier
	v_mad_i64_i32 v[10:11], s[16:17], v10, 36, v[132:133]
	v_mad_i64_i32 v[12:13], s[16:17], v12, 36, v[132:133]
	;; [unrolled: 1-line block ×3, first 2 shown]
	global_load_dword v8, v[146:147], off
	s_nop 0
	global_load_dword v0, v[0:1], off offset:4
	s_nop 0
	global_load_dword v1, v[2:3], off offset:4
	;; [unrolled: 2-line block ×3, first 2 shown]
	global_load_dword v3, v[6:7], off offset:4
	s_nop 0
	global_load_dword v4, v[10:11], off offset:4
	global_load_dword v5, v[12:13], off offset:4
	;; [unrolled: 1-line block ×4, first 2 shown]
	s_mov_b32 s11, 8
	s_mov_b32 s16, 0
	v_mov_b32_e32 v11, v157
	v_mov_b32_e32 v13, v156
	s_waitcnt vmcnt(8)
	v_cvt_f32_f16_e32 v8, v8
	s_waitcnt vmcnt(7)
	ds_write_b32 v57, v0
	s_waitcnt vmcnt(6)
	ds_write_b32 v61, v1
	;; [unrolled: 2-line block ×8, first 2 shown]
	ds_write_b32 v51, v8
	s_waitcnt lgkmcnt(0)
	s_barrier
.LBB128_9:                              ;   Parent Loop BB128_6 Depth=1
                                        ; =>  This Inner Loop Header: Depth=2
	s_add_i32 s17, s16, 8
	s_and_b32 s19, s17, 0x3ffffff8
	s_lshl_b32 s19, s19, 2
	v_add_u32_e32 v8, s19, v87
	ds_read2_b32 v[144:145], v13 offset1:32
	ds_read_b128 v[4:7], v11
	ds_read_b128 v[0:3], v11 offset:16
	ds_read2_b32 v[14:15], v8 offset1:1
	s_lshr_b32 s20, s17, 2
	s_and_b32 s18, s11, -16
	v_add_u32_e32 v136, s16, v119
	s_and_b32 s20, s20, 0x3ffffffc
	s_waitcnt lgkmcnt(0)
	v_ashrrev_i32_e32 v10, s16, v14
	v_and_b32_e32 v185, 0x3030303, v10
	v_ashrrev_i32_e32 v10, s16, v15
	ds_read2_b32 v[14:15], v8 offset0:2 offset1:3
	v_and_b32_e32 v182, 0x3030303, v10
	v_mov_b32_e32 v211, 0
	v_mov_b32_e32 v213, 0
	;; [unrolled: 1-line block ×3, first 2 shown]
	s_waitcnt lgkmcnt(0)
	v_ashrrev_i32_e32 v10, s16, v14
	v_and_b32_e32 v183, 0x3030303, v10
	v_ashrrev_i32_e32 v10, s16, v15
	ds_read2_b32 v[14:15], v8 offset0:4 offset1:5
	v_and_b32_e32 v184, 0x3030303, v10
	v_mov_b32_e32 v219, 0
	v_mov_b32_e32 v147, 0
	;; [unrolled: 1-line block ×3, first 2 shown]
	s_waitcnt lgkmcnt(0)
	v_ashrrev_i32_e32 v10, s16, v14
	v_and_b32_e32 v175, 0x3030303, v10
	v_ashrrev_i32_e32 v10, s16, v15
	ds_read2_b32 v[14:15], v8 offset0:6 offset1:7
	v_and_b32_e32 v176, 0x3030303, v10
	v_add_u32_e32 v10, s20, v89
	v_mov_b32_e32 v214, 0
	v_mov_b32_e32 v218, 0
	s_waitcnt lgkmcnt(0)
	v_ashrrev_i32_e32 v8, s16, v14
	v_and_b32_e32 v177, 0x3030303, v8
	v_ashrrev_i32_e32 v8, s16, v15
	v_and_b32_e32 v178, 0x3030303, v8
	v_add3_u32 v8, v143, s18, v136
	ds_read_b32 v10, v10
	ds_read_u16 v8, v8
	v_dot4c_i32_i8_e32 v147, v185, v4
	v_dot4c_i32_i8_e32 v147, v182, v5
	;; [unrolled: 1-line block ×3, first 2 shown]
	s_waitcnt lgkmcnt(1)
	v_cvt_f32_f16_sdwa v14, v10 dst_sel:DWORD dst_unused:UNUSED_PAD src0_sel:WORD_1
	s_waitcnt lgkmcnt(0)
	v_bfe_u32 v12, v8, 4, 4
	v_mul_lo_u32 v203, v12, s1
	v_and_b32_e32 v194, 15, v8
	v_lshrrev_b32_sdwa v12, v167, v8 dst_sel:DWORD dst_unused:UNUSED_PAD src0_sel:DWORD src1_sel:BYTE_1
	v_and_b32_sdwa v204, v8, v168 dst_sel:DWORD dst_unused:UNUSED_PAD src0_sel:BYTE_1 src1_sel:DWORD
	v_add_u32_e32 v8, s19, v91
	v_mul_lo_u32 v202, v12, s1
	v_mov_b32_e32 v12, 0
	ds_read2_b32 v[148:149], v8 offset1:1
	v_dot4c_i32_i8_e32 v12, v175, v0
	v_dot4c_i32_i8_e32 v12, v176, v1
	;; [unrolled: 1-line block ×7, first 2 shown]
	v_mul_lo_u32 v146, v204, v12
	v_cvt_f32_f16_e32 v12, v10
	s_waitcnt lgkmcnt(0)
	v_ashrrev_i32_e32 v10, s16, v148
	v_and_b32_e32 v199, 0x3030303, v10
	v_ashrrev_i32_e32 v10, s16, v149
	ds_read2_b32 v[148:149], v8 offset0:2 offset1:3
	v_and_b32_e32 v196, 0x3030303, v10
	v_dot4c_i32_i8_e32 v212, v199, v4
	v_dot4c_i32_i8_e32 v211, v203, v7
	;; [unrolled: 1-line block ×3, first 2 shown]
	s_waitcnt lgkmcnt(0)
	v_ashrrev_i32_e32 v10, s16, v148
	v_and_b32_e32 v197, 0x3030303, v10
	v_ashrrev_i32_e32 v10, s16, v149
	ds_read2_b32 v[148:149], v8 offset0:4 offset1:5
	v_and_b32_e32 v198, 0x3030303, v10
	v_dot4c_i32_i8_e32 v211, v202, v1
	v_dot4c_i32_i8_e32 v212, v196, v5
	;; [unrolled: 1-line block ×3, first 2 shown]
	s_waitcnt lgkmcnt(0)
	v_ashrrev_i32_e32 v10, s16, v148
	v_and_b32_e32 v189, 0x3030303, v10
	v_ashrrev_i32_e32 v10, s16, v149
	ds_read2_b32 v[148:149], v8 offset0:6 offset1:7
	v_and_b32_e32 v190, 0x3030303, v10
	v_add_u32_e32 v10, s20, v95
	v_dot4c_i32_i8_e32 v212, v197, v6
	v_dot4c_i32_i8_e32 v147, v184, v7
	s_waitcnt lgkmcnt(0)
	v_ashrrev_i32_e32 v8, s16, v148
	v_and_b32_e32 v191, 0x3030303, v8
	v_ashrrev_i32_e32 v8, s16, v149
	v_and_b32_e32 v192, 0x3030303, v8
	v_add3_u32 v8, v141, s18, v136
	ds_read_b32 v10, v10
	ds_read_u16 v8, v8
	v_dot4c_i32_i8_e32 v211, v202, v3
	v_dot4c_i32_i8_e32 v212, v198, v7
	v_mov_b32_e32 v220, 0
	s_waitcnt lgkmcnt(1)
	v_cvt_f32_f16_e32 v140, v10
	s_waitcnt lgkmcnt(0)
	v_bfe_u32 v15, v8, 4, 4
	v_mul_lo_u32 v201, v15, s1
	v_and_b32_e32 v207, 15, v8
	v_lshrrev_b32_sdwa v15, v167, v8 dst_sel:DWORD dst_unused:UNUSED_PAD src0_sel:DWORD src1_sel:BYTE_1
	v_and_b32_sdwa v210, v8, v168 dst_sel:DWORD dst_unused:UNUSED_PAD src0_sel:BYTE_1 src1_sel:DWORD
	v_add_u32_e32 v8, s19, v97
	ds_read2_b32 v[150:151], v8 offset1:1
	ds_read2_b32 v[152:153], v8 offset0:6 offset1:7
	v_cvt_f32_f16_sdwa v142, v10 dst_sel:DWORD dst_unused:UNUSED_PAD src0_sel:WORD_1
	v_mul_lo_u32 v209, v15, s1
	v_mov_b32_e32 v15, 0
	s_waitcnt lgkmcnt(1)
	v_ashrrev_i32_e32 v10, s16, v150
	v_and_b32_e32 v208, 0x3030303, v10
	v_ashrrev_i32_e32 v10, s16, v151
	ds_read2_b32 v[150:151], v8 offset0:2 offset1:3
	v_and_b32_e32 v154, 0x3030303, v10
	v_dot4c_i32_i8_e32 v15, v189, v0
	v_dot4c_i32_i8_e32 v15, v190, v1
	;; [unrolled: 1-line block ×3, first 2 shown]
	s_waitcnt lgkmcnt(0)
	v_ashrrev_i32_e32 v10, s16, v150
	v_and_b32_e32 v155, 0x3030303, v10
	v_ashrrev_i32_e32 v10, s16, v151
	ds_read2_b32 v[150:151], v8 offset0:4 offset1:5
	v_dot4c_i32_i8_e32 v15, v192, v3
	v_and_b32_e32 v169, 0x3030303, v10
	v_ashrrev_i32_e32 v8, s16, v152
	v_dot4c_i32_i8_e32 v213, v201, v4
	s_waitcnt lgkmcnt(0)
	v_ashrrev_i32_e32 v10, s16, v150
	v_mul_lo_u32 v148, v210, v15
	v_and_b32_e32 v15, 0x3030303, v10
	v_ashrrev_i32_e32 v10, s16, v151
	v_and_b32_e32 v151, 0x3030303, v8
	v_ashrrev_i32_e32 v8, s16, v153
	v_and_b32_e32 v149, 0x3030303, v10
	v_and_b32_e32 v153, 0x3030303, v8
	v_add3_u32 v8, v139, s18, v136
	v_add_u32_e32 v10, s20, v99
	ds_read_b32 v10, v10
	ds_read_u16 v8, v8
	v_add3_u32 v136, v137, s18, v136
	v_dot4c_i32_i8_e32 v213, v201, v5
	v_dot4c_i32_i8_e32 v214, v208, v4
	;; [unrolled: 1-line block ×3, first 2 shown]
	s_waitcnt lgkmcnt(0)
	v_bfe_u32 v138, v8, 4, 4
	v_mul_lo_u32 v174, v138, s1
	v_lshrrev_b32_sdwa v138, v167, v8 dst_sel:DWORD dst_unused:UNUSED_PAD src0_sel:DWORD src1_sel:BYTE_1
	v_mul_lo_u32 v193, v138, s1
	v_mov_b32_e32 v138, 0
	v_dot4c_i32_i8_e32 v138, v15, v0
	v_dot4c_i32_i8_e32 v138, v149, v1
	;; [unrolled: 1-line block ×4, first 2 shown]
	v_and_b32_sdwa v195, v8, v168 dst_sel:DWORD dst_unused:UNUSED_PAD src0_sel:BYTE_1 src1_sel:DWORD
	v_dot4c_i32_i8_e32 v215, v174, v4
	v_dot4c_i32_i8_e32 v215, v174, v5
	v_mul_lo_u32 v150, v195, v138
	v_add_u32_e32 v138, s19, v101
	ds_read2_b32 v[170:171], v138 offset1:1
	ds_read2_b32 v[172:173], v138 offset0:6 offset1:7
	v_dot4c_i32_i8_e32 v215, v174, v6
	v_dot4c_i32_i8_e32 v213, v201, v7
	;; [unrolled: 1-line block ×3, first 2 shown]
	s_waitcnt lgkmcnt(1)
	v_ashrrev_i32_e32 v152, s16, v170
	v_and_b32_e32 v187, 0x3030303, v152
	v_ashrrev_i32_e32 v152, s16, v171
	ds_read2_b32 v[170:171], v138 offset0:2 offset1:3
	v_and_b32_e32 v179, 0x3030303, v152
	v_dot4c_i32_i8_e32 v218, v187, v4
	v_dot4c_i32_i8_e32 v213, v209, v0
	;; [unrolled: 1-line block ×3, first 2 shown]
	s_waitcnt lgkmcnt(0)
	v_ashrrev_i32_e32 v152, s16, v170
	v_and_b32_e32 v180, 0x3030303, v152
	v_ashrrev_i32_e32 v152, s16, v171
	ds_read2_b32 v[170:171], v138 offset0:4 offset1:5
	v_ashrrev_i32_e32 v138, s16, v172
	v_and_b32_e32 v172, 0x3030303, v138
	v_ashrrev_i32_e32 v138, s16, v173
	v_and_b32_e32 v173, 0x3030303, v138
	v_add_u32_e32 v138, s20, v103
	ds_read_b32 v138, v138
	ds_read_u16 v136, v136
	v_and_b32_e32 v181, 0x3030303, v152
	s_waitcnt lgkmcnt(2)
	v_ashrrev_i32_e32 v152, s16, v170
	v_and_b32_e32 v170, 0x3030303, v152
	v_ashrrev_i32_e32 v152, s16, v171
	v_and_b32_e32 v171, 0x3030303, v152
	s_waitcnt lgkmcnt(0)
	v_bfe_u32 v152, v136, 4, 4
	v_mul_lo_u32 v188, v152, s1
	v_dot4c_i32_i8_e32 v219, v188, v4
	v_dot4c_i32_i8_e32 v219, v188, v5
	v_lshrrev_b32_sdwa v4, v167, v136 dst_sel:DWORD dst_unused:UNUSED_PAD src0_sel:DWORD src1_sel:BYTE_1
	v_dot4c_i32_i8_e32 v219, v188, v6
	v_mul_lo_u32 v205, v4, s1
	v_mov_b32_e32 v4, 0
	v_dot4c_i32_i8_e32 v219, v188, v7
	v_dot4c_i32_i8_e32 v4, v170, v0
	;; [unrolled: 1-line block ×16, first 2 shown]
	v_and_b32_sdwa v206, v136, v168 dst_sel:DWORD dst_unused:UNUSED_PAD src0_sel:BYTE_1 src1_sel:DWORD
	v_dot4c_i32_i8_e32 v213, v209, v3
	v_dot4c_i32_i8_e32 v214, v169, v7
	;; [unrolled: 1-line block ×5, first 2 shown]
	v_mul_lo_u32 v152, v206, v4
	ds_read_b128 v[4:7], v11 offset:1024
	ds_read_b128 v[0:3], v11 offset:1040
	v_mov_b32_e32 v216, 0
	v_mov_b32_e32 v217, 0
	v_mad_u64_u32 v[146:147], s[18:19], v194, v147, v[146:147]
	s_waitcnt lgkmcnt(1)
	v_dot4c_i32_i8_e32 v220, v203, v4
	v_dot4c_i32_i8_e32 v220, v203, v5
	;; [unrolled: 1-line block ×6, first 2 shown]
	s_waitcnt lgkmcnt(0)
	v_dot4c_i32_i8_e32 v217, v175, v0
	v_dot4c_i32_i8_e32 v216, v183, v6
	;; [unrolled: 1-line block ×8, first 2 shown]
	v_mul_lo_u32 v216, v216, v194
	v_dot4c_i32_i8_e32 v217, v178, v3
	v_dot4c_i32_i8_e32 v220, v202, v3
	v_cvt_f32_i32_e32 v147, v146
	v_cvt_f32_i32_e32 v213, v213
	v_mad_u64_u32 v[216:217], s[18:19], v217, v204, v[216:217]
	v_cvt_f32_i32_e32 v146, v216
	v_cvt_f32_i32_e32 v217, v211
	;; [unrolled: 1-line block ×3, first 2 shown]
	v_mov_b32_e32 v211, 0
	v_dot4c_i32_i8_e32 v211, v201, v4
	v_dot4c_i32_i8_e32 v211, v201, v5
	v_pk_mul_f32 v[216:217], v[14:15], v[216:217] op_sel_hi:[0,1]
	v_pk_fma_f32 v[216:217], v[12:13], v[146:147], v[216:217] op_sel_hi:[0,1,1] neg_lo:[0,0,1] neg_hi:[0,0,1]
	v_mov_b32_e32 v147, v144
	v_mov_b32_e32 v144, 0
	v_dot4c_i32_i8_e32 v211, v201, v6
	v_mov_b32_e32 v146, v145
	v_dot4c_i32_i8_e32 v144, v199, v4
	v_dot4c_i32_i8_e32 v211, v201, v7
	v_mov_b32_e32 v145, 0
	v_dot4c_i32_i8_e32 v144, v196, v5
	v_dot4c_i32_i8_e32 v145, v189, v0
	;; [unrolled: 1-line block ×10, first 2 shown]
	v_mul_lo_u32 v144, v144, v207
	v_dot4c_i32_i8_e32 v211, v209, v3
	v_pk_fma_f32 v[122:123], v[146:147], v[216:217], v[122:123]
	v_mad_u64_u32 v[144:145], s[18:19], v145, v210, v[144:145]
	v_mad_u64_u32 v[216:217], s[18:19], v207, v212, v[148:149]
	v_cvt_f32_i32_e32 v212, v211
	v_cvt_f32_i32_e32 v145, v216
	;; [unrolled: 1-line block ×3, first 2 shown]
	v_mov_b32_e32 v148, 0
	v_pk_mul_f32 v[212:213], v[142:143], v[212:213] op_sel_hi:[0,1]
	v_dot4c_i32_i8_e32 v148, v174, v4
	v_pk_fma_f32 v[144:145], v[140:141], v[144:145], v[212:213] op_sel_hi:[0,1,1] neg_lo:[0,0,1] neg_hi:[0,0,1]
	v_pk_fma_f32 v[116:117], v[146:147], v[144:145], v[116:117]
	v_mov_b32_e32 v144, 0
	v_dot4c_i32_i8_e32 v148, v174, v5
	v_dot4c_i32_i8_e32 v144, v208, v4
	;; [unrolled: 1-line block ×3, first 2 shown]
	v_mov_b32_e32 v145, 0
	v_dot4c_i32_i8_e32 v144, v154, v5
	v_dot4c_i32_i8_e32 v148, v174, v7
	;; [unrolled: 1-line block ×6, first 2 shown]
	v_and_b32_e32 v186, 15, v8
	v_dot4c_i32_i8_e32 v144, v169, v7
	v_dot4c_i32_i8_e32 v148, v193, v1
	;; [unrolled: 1-line block ×4, first 2 shown]
	v_mul_lo_u32 v144, v144, v186
	v_dot4c_i32_i8_e32 v145, v153, v3
	v_dot4c_i32_i8_e32 v148, v193, v3
	v_mad_u64_u32 v[212:213], s[18:19], v186, v214, v[150:151]
	s_nop 0
	v_mad_u64_u32 v[144:145], s[18:19], v145, v195, v[144:145]
	v_cvt_f32_f16_e32 v8, v10
	v_cvt_f32_f16_sdwa v10, v10 dst_sel:DWORD dst_unused:UNUSED_PAD src0_sel:WORD_1
	v_cvt_f32_i32_e32 v145, v212
	v_cvt_f32_i32_e32 v213, v215
	;; [unrolled: 1-line block ×4, first 2 shown]
	v_and_b32_e32 v200, 15, v136
	v_cvt_f32_f16_e32 v136, v138
	v_pk_mul_f32 v[212:213], v[10:11], v[212:213] op_sel_hi:[0,1]
	v_pk_fma_f32 v[144:145], v[8:9], v[144:145], v[212:213] op_sel_hi:[0,1,1] neg_lo:[0,0,1] neg_hi:[0,0,1]
	v_pk_fma_f32 v[112:113], v[146:147], v[144:145], v[112:113]
	v_mov_b32_e32 v145, 0
	v_mov_b32_e32 v144, 0
	v_dot4c_i32_i8_e32 v145, v188, v4
	v_dot4c_i32_i8_e32 v144, v187, v4
	;; [unrolled: 1-line block ×5, first 2 shown]
	v_mov_b32_e32 v5, 0
	v_dot4c_i32_i8_e32 v145, v188, v7
	v_dot4c_i32_i8_e32 v5, v170, v0
	;; [unrolled: 1-line block ×9, first 2 shown]
	v_mul_lo_u32 v4, v144, v200
	v_dot4c_i32_i8_e32 v5, v173, v3
	v_dot4c_i32_i8_e32 v145, v205, v3
	v_mad_u64_u32 v[2:3], s[18:19], v200, v218, v[152:153]
	s_nop 0
	v_mad_u64_u32 v[0:1], s[18:19], v5, v206, v[4:5]
	v_cvt_f32_f16_sdwa v138, v138 dst_sel:DWORD dst_unused:UNUSED_PAD src0_sel:WORD_1
	v_cvt_f32_i32_e32 v1, v2
	v_cvt_f32_i32_e32 v3, v219
	;; [unrolled: 1-line block ×4, first 2 shown]
	v_mov_b32_e32 v211, 0
	v_mov_b32_e32 v217, 0
	v_pk_mul_f32 v[2:3], v[138:139], v[2:3] op_sel_hi:[0,1]
	v_pk_fma_f32 v[0:1], v[136:137], v[0:1], v[2:3] op_sel_hi:[0,1,1] neg_lo:[0,0,1] neg_hi:[0,0,1]
	v_pk_fma_f32 v[92:93], v[146:147], v[0:1], v[92:93]
	ds_read2_b32 v[144:145], v13 offset0:64 offset1:96
	ds_read_b128 v[0:3], v11 offset:2048
	ds_read_b128 v[4:7], v11 offset:2064
	v_mov_b32_e32 v146, 0
	v_mov_b32_e32 v219, 0
	v_mov_b32_e32 v221, 0
	s_waitcnt lgkmcnt(1)
	v_dot4c_i32_i8_e32 v211, v203, v0
	s_waitcnt lgkmcnt(0)
	v_dot4c_i32_i8_e32 v146, v175, v4
	v_dot4c_i32_i8_e32 v146, v176, v5
	;; [unrolled: 1-line block ×7, first 2 shown]
	v_mul_lo_u32 v152, v146, v204
	v_mov_b32_e32 v146, 0
	v_dot4c_i32_i8_e32 v146, v189, v4
	v_dot4c_i32_i8_e32 v146, v190, v5
	;; [unrolled: 1-line block ×3, first 2 shown]
	v_mov_b32_e32 v147, 0
	v_dot4c_i32_i8_e32 v211, v203, v1
	v_mov_b32_e32 v216, 0
	v_dot4c_i32_i8_e32 v217, v201, v1
	v_dot4c_i32_i8_e32 v146, v192, v7
	v_mov_b32_e32 v218, 0
	v_dot4c_i32_i8_e32 v219, v174, v1
	v_mov_b32_e32 v220, 0
	v_dot4c_i32_i8_e32 v221, v188, v1
	v_dot4c_i32_i8_e32 v147, v185, v0
	;; [unrolled: 1-line block ×5, first 2 shown]
	v_mul_lo_u32 v150, v146, v210
	v_dot4c_i32_i8_e32 v218, v208, v0
	v_dot4c_i32_i8_e32 v219, v174, v2
	v_mov_b32_e32 v146, 0
	v_dot4c_i32_i8_e32 v220, v187, v0
	v_dot4c_i32_i8_e32 v221, v188, v2
	v_mov_b32_e32 v0, 0
	v_dot4c_i32_i8_e32 v211, v203, v3
	v_dot4c_i32_i8_e32 v217, v201, v3
	v_dot4c_i32_i8_e32 v219, v174, v3
	v_dot4c_i32_i8_e32 v146, v15, v4
	v_dot4c_i32_i8_e32 v221, v188, v3
	v_dot4c_i32_i8_e32 v0, v170, v4
	v_dot4c_i32_i8_e32 v211, v202, v4
	v_dot4c_i32_i8_e32 v217, v209, v4
	v_dot4c_i32_i8_e32 v219, v193, v4
	v_dot4c_i32_i8_e32 v146, v149, v5
	v_dot4c_i32_i8_e32 v221, v205, v4
	v_dot4c_i32_i8_e32 v0, v171, v5
	v_dot4c_i32_i8_e32 v147, v182, v1
	v_dot4c_i32_i8_e32 v211, v202, v5
	v_dot4c_i32_i8_e32 v216, v196, v1
	v_dot4c_i32_i8_e32 v217, v209, v5
	v_dot4c_i32_i8_e32 v218, v154, v1
	v_dot4c_i32_i8_e32 v219, v193, v5
	v_dot4c_i32_i8_e32 v146, v151, v6
	v_dot4c_i32_i8_e32 v220, v179, v1
	v_dot4c_i32_i8_e32 v221, v205, v5
	v_dot4c_i32_i8_e32 v0, v172, v6
	v_dot4c_i32_i8_e32 v147, v183, v2
	v_dot4c_i32_i8_e32 v211, v202, v6
	v_dot4c_i32_i8_e32 v216, v197, v2
	v_dot4c_i32_i8_e32 v217, v209, v6
	v_dot4c_i32_i8_e32 v218, v155, v2
	v_dot4c_i32_i8_e32 v219, v193, v6
	v_dot4c_i32_i8_e32 v146, v153, v7
	v_dot4c_i32_i8_e32 v220, v180, v2
	v_dot4c_i32_i8_e32 v221, v205, v6
	v_dot4c_i32_i8_e32 v0, v173, v7
	v_dot4c_i32_i8_e32 v147, v184, v3
	v_dot4c_i32_i8_e32 v211, v202, v7
	v_dot4c_i32_i8_e32 v216, v198, v3
	v_dot4c_i32_i8_e32 v217, v209, v7
	v_dot4c_i32_i8_e32 v218, v169, v3
	v_dot4c_i32_i8_e32 v219, v193, v7
	v_mul_lo_u32 v148, v146, v195
	v_dot4c_i32_i8_e32 v220, v181, v3
	v_dot4c_i32_i8_e32 v221, v205, v7
	v_mul_lo_u32 v146, v0, v206
	ds_read_b128 v[4:7], v11 offset:3072
	ds_read_b128 v[0:3], v11 offset:3088
	v_mov_b32_e32 v222, 0
	v_mov_b32_e32 v212, 0
	;; [unrolled: 1-line block ×3, first 2 shown]
	s_waitcnt lgkmcnt(1)
	v_dot4c_i32_i8_e32 v222, v203, v4
	v_dot4c_i32_i8_e32 v212, v185, v4
	v_dot4c_i32_i8_e32 v222, v203, v5
	v_dot4c_i32_i8_e32 v212, v182, v5
	v_dot4c_i32_i8_e32 v222, v203, v6
	s_waitcnt lgkmcnt(0)
	v_dot4c_i32_i8_e32 v213, v175, v0
	v_dot4c_i32_i8_e32 v212, v183, v6
	v_dot4c_i32_i8_e32 v222, v203, v7
	v_dot4c_i32_i8_e32 v213, v176, v1
	v_mad_u64_u32 v[214:215], s[18:19], v147, v194, v[152:153]
	v_mov_b32_e32 v147, 0
	v_dot4c_i32_i8_e32 v212, v184, v7
	v_dot4c_i32_i8_e32 v222, v202, v0
	v_dot4c_i32_i8_e32 v213, v177, v2
	v_dot4c_i32_i8_e32 v147, v199, v4
	v_mul_lo_u32 v212, v212, v194
	v_dot4c_i32_i8_e32 v222, v202, v1
	v_dot4c_i32_i8_e32 v213, v178, v3
	;; [unrolled: 1-line block ×5, first 2 shown]
	v_mad_u64_u32 v[212:213], s[18:19], v213, v204, v[212:213]
	v_dot4c_i32_i8_e32 v222, v202, v3
	v_cvt_f32_i32_e32 v213, v212
	v_cvt_f32_i32_e32 v212, v214
	;; [unrolled: 1-line block ×3, first 2 shown]
	v_mov_b32_e32 v211, 0
	v_dot4c_i32_i8_e32 v147, v198, v7
	v_cvt_f32_i32_e32 v215, v222
	v_dot4c_i32_i8_e32 v211, v201, v4
	v_dot4c_i32_i8_e32 v211, v201, v5
	v_mul_lo_u32 v152, v147, v207
	v_mov_b32_e32 v147, 0
	v_dot4c_i32_i8_e32 v147, v189, v0
	v_dot4c_i32_i8_e32 v211, v201, v6
	;; [unrolled: 1-line block ×5, first 2 shown]
	v_pk_mul_f32 v[214:215], v[14:15], v[214:215] op_sel_hi:[0,1]
	v_dot4c_i32_i8_e32 v211, v209, v0
	v_dot4c_i32_i8_e32 v147, v192, v3
	v_pk_fma_f32 v[212:213], v[12:13], v[212:213], v[214:215] op_sel_hi:[0,1,1] neg_lo:[0,0,1] neg_hi:[0,0,1]
	v_dot4c_i32_i8_e32 v211, v209, v1
	v_dot4c_i32_i8_e32 v211, v209, v2
	v_mad_u64_u32 v[214:215], s[18:19], v147, v210, v[152:153]
	v_mov_b32_e32 v147, 0
	v_dot4c_i32_i8_e32 v147, v208, v4
	v_pk_fma_f32 v[38:39], v[144:145], v[212:213], v[38:39]
	v_dot4c_i32_i8_e32 v211, v209, v3
	v_mad_u64_u32 v[212:213], s[18:19], v216, v207, v[150:151]
	v_dot4c_i32_i8_e32 v147, v154, v5
	v_cvt_f32_i32_e32 v213, v214
	v_cvt_f32_i32_e32 v215, v211
	;; [unrolled: 1-line block ×3, first 2 shown]
	v_dot4c_i32_i8_e32 v147, v155, v6
	v_cvt_f32_i32_e32 v212, v212
	v_dot4c_i32_i8_e32 v147, v169, v7
	v_pk_mul_f32 v[214:215], v[142:143], v[214:215] op_sel_hi:[0,1]
	v_mov_b32_e32 v152, 0
	v_pk_fma_f32 v[212:213], v[140:141], v[212:213], v[214:215] op_sel_hi:[0,1,1] neg_lo:[0,0,1] neg_hi:[0,0,1]
	v_mul_lo_u32 v150, v147, v186
	v_mov_b32_e32 v147, 0
	v_dot4c_i32_i8_e32 v147, v15, v0
	v_dot4c_i32_i8_e32 v147, v149, v1
	;; [unrolled: 1-line block ×3, first 2 shown]
	v_pk_fma_f32 v[36:37], v[144:145], v[212:213], v[36:37]
	v_dot4c_i32_i8_e32 v147, v153, v3
	v_mad_u64_u32 v[212:213], s[18:19], v218, v186, v[148:149]
	v_mov_b32_e32 v148, 0
	v_dot4c_i32_i8_e32 v152, v174, v4
	v_mad_u64_u32 v[214:215], s[18:19], v147, v195, v[150:151]
	v_mov_b32_e32 v147, 0
	v_dot4c_i32_i8_e32 v148, v188, v4
	v_dot4c_i32_i8_e32 v152, v174, v5
	;; [unrolled: 1-line block ×7, first 2 shown]
	v_mov_b32_e32 v5, 0
	v_dot4c_i32_i8_e32 v152, v174, v7
	v_dot4c_i32_i8_e32 v148, v188, v7
	;; [unrolled: 1-line block ×12, first 2 shown]
	v_mul_lo_u32 v4, v147, v200
	v_dot4c_i32_i8_e32 v148, v205, v2
	v_dot4c_i32_i8_e32 v5, v173, v3
	;; [unrolled: 1-line block ×4, first 2 shown]
	v_mad_u64_u32 v[0:1], s[18:19], v220, v200, v[146:147]
	v_mad_u64_u32 v[2:3], s[18:19], v5, v206, v[4:5]
	v_cvt_f32_i32_e32 v213, v214
	v_cvt_f32_i32_e32 v215, v152
	;; [unrolled: 1-line block ×8, first 2 shown]
	v_pk_mul_f32 v[214:215], v[10:11], v[214:215] op_sel_hi:[0,1]
	v_pk_mul_f32 v[2:3], v[138:139], v[2:3] op_sel_hi:[0,1]
	v_pk_fma_f32 v[212:213], v[8:9], v[212:213], v[214:215] op_sel_hi:[0,1,1] neg_lo:[0,0,1] neg_hi:[0,0,1]
	v_pk_fma_f32 v[0:1], v[136:137], v[0:1], v[2:3] op_sel_hi:[0,1,1] neg_lo:[0,0,1] neg_hi:[0,0,1]
	v_pk_fma_f32 v[34:35], v[144:145], v[212:213], v[34:35]
	v_pk_fma_f32 v[32:33], v[144:145], v[0:1], v[32:33]
	ds_read2_b32 v[144:145], v13 offset0:128 offset1:160
	ds_read_b128 v[0:3], v11 offset:4096
	ds_read_b128 v[4:7], v11 offset:4112
	v_mov_b32_e32 v146, 0
	v_mov_b32_e32 v211, 0
	;; [unrolled: 1-line block ×4, first 2 shown]
	s_waitcnt lgkmcnt(0)
	v_dot4c_i32_i8_e32 v146, v175, v4
	v_dot4c_i32_i8_e32 v146, v176, v5
	;; [unrolled: 1-line block ×4, first 2 shown]
	v_mov_b32_e32 v221, 0
	v_dot4c_i32_i8_e32 v211, v203, v0
	v_dot4c_i32_i8_e32 v217, v201, v0
	v_mul_lo_u32 v152, v146, v204
	v_mov_b32_e32 v146, 0
	v_dot4c_i32_i8_e32 v146, v189, v4
	v_dot4c_i32_i8_e32 v146, v190, v5
	;; [unrolled: 1-line block ×5, first 2 shown]
	v_mov_b32_e32 v147, 0
	v_dot4c_i32_i8_e32 v211, v203, v1
	v_mov_b32_e32 v216, 0
	v_dot4c_i32_i8_e32 v217, v201, v1
	v_dot4c_i32_i8_e32 v146, v192, v7
	v_mov_b32_e32 v218, 0
	v_dot4c_i32_i8_e32 v219, v174, v1
	v_mov_b32_e32 v220, 0
	v_dot4c_i32_i8_e32 v221, v188, v1
	v_dot4c_i32_i8_e32 v147, v185, v0
	;; [unrolled: 1-line block ×5, first 2 shown]
	v_mul_lo_u32 v150, v146, v210
	v_dot4c_i32_i8_e32 v218, v208, v0
	v_dot4c_i32_i8_e32 v219, v174, v2
	v_mov_b32_e32 v146, 0
	v_dot4c_i32_i8_e32 v220, v187, v0
	v_dot4c_i32_i8_e32 v221, v188, v2
	v_mov_b32_e32 v0, 0
	v_dot4c_i32_i8_e32 v211, v203, v3
	v_dot4c_i32_i8_e32 v217, v201, v3
	;; [unrolled: 1-line block ×38, first 2 shown]
	v_mul_lo_u32 v148, v146, v195
	v_dot4c_i32_i8_e32 v220, v181, v3
	v_dot4c_i32_i8_e32 v221, v205, v7
	v_mul_lo_u32 v146, v0, v206
	ds_read_b128 v[4:7], v11 offset:5120
	ds_read_b128 v[0:3], v11 offset:5136
	v_mov_b32_e32 v222, 0
	v_mov_b32_e32 v212, 0
	;; [unrolled: 1-line block ×3, first 2 shown]
	s_waitcnt lgkmcnt(1)
	v_dot4c_i32_i8_e32 v222, v203, v4
	v_dot4c_i32_i8_e32 v212, v185, v4
	;; [unrolled: 1-line block ×5, first 2 shown]
	s_waitcnt lgkmcnt(0)
	v_dot4c_i32_i8_e32 v213, v175, v0
	v_dot4c_i32_i8_e32 v212, v183, v6
	;; [unrolled: 1-line block ×4, first 2 shown]
	v_mad_u64_u32 v[214:215], s[18:19], v147, v194, v[152:153]
	v_mov_b32_e32 v147, 0
	v_dot4c_i32_i8_e32 v212, v184, v7
	v_dot4c_i32_i8_e32 v222, v202, v0
	;; [unrolled: 1-line block ×4, first 2 shown]
	v_mul_lo_u32 v212, v212, v194
	v_dot4c_i32_i8_e32 v222, v202, v1
	v_dot4c_i32_i8_e32 v213, v178, v3
	;; [unrolled: 1-line block ×5, first 2 shown]
	v_mad_u64_u32 v[212:213], s[18:19], v213, v204, v[212:213]
	v_dot4c_i32_i8_e32 v222, v202, v3
	v_cvt_f32_i32_e32 v213, v212
	v_cvt_f32_i32_e32 v212, v214
	;; [unrolled: 1-line block ×3, first 2 shown]
	v_mov_b32_e32 v211, 0
	v_dot4c_i32_i8_e32 v147, v198, v7
	v_cvt_f32_i32_e32 v215, v222
	v_dot4c_i32_i8_e32 v211, v201, v4
	v_dot4c_i32_i8_e32 v211, v201, v5
	v_mul_lo_u32 v152, v147, v207
	v_mov_b32_e32 v147, 0
	v_dot4c_i32_i8_e32 v147, v189, v0
	v_dot4c_i32_i8_e32 v211, v201, v6
	;; [unrolled: 1-line block ×5, first 2 shown]
	v_pk_mul_f32 v[214:215], v[14:15], v[214:215] op_sel_hi:[0,1]
	v_dot4c_i32_i8_e32 v211, v209, v0
	v_dot4c_i32_i8_e32 v147, v192, v3
	v_pk_fma_f32 v[212:213], v[12:13], v[212:213], v[214:215] op_sel_hi:[0,1,1] neg_lo:[0,0,1] neg_hi:[0,0,1]
	v_dot4c_i32_i8_e32 v211, v209, v1
	v_dot4c_i32_i8_e32 v211, v209, v2
	v_mad_u64_u32 v[214:215], s[18:19], v147, v210, v[152:153]
	v_mov_b32_e32 v147, 0
	v_dot4c_i32_i8_e32 v147, v208, v4
	v_pk_fma_f32 v[30:31], v[144:145], v[212:213], v[30:31]
	v_dot4c_i32_i8_e32 v211, v209, v3
	v_mad_u64_u32 v[212:213], s[18:19], v216, v207, v[150:151]
	v_dot4c_i32_i8_e32 v147, v154, v5
	v_cvt_f32_i32_e32 v213, v214
	v_cvt_f32_i32_e32 v215, v211
	;; [unrolled: 1-line block ×3, first 2 shown]
	v_dot4c_i32_i8_e32 v147, v155, v6
	v_cvt_f32_i32_e32 v212, v212
	v_dot4c_i32_i8_e32 v147, v169, v7
	v_pk_mul_f32 v[214:215], v[142:143], v[214:215] op_sel_hi:[0,1]
	v_mov_b32_e32 v152, 0
	v_pk_fma_f32 v[212:213], v[140:141], v[212:213], v[214:215] op_sel_hi:[0,1,1] neg_lo:[0,0,1] neg_hi:[0,0,1]
	v_mul_lo_u32 v150, v147, v186
	v_mov_b32_e32 v147, 0
	v_dot4c_i32_i8_e32 v147, v15, v0
	v_dot4c_i32_i8_e32 v147, v149, v1
	;; [unrolled: 1-line block ×3, first 2 shown]
	v_pk_fma_f32 v[28:29], v[144:145], v[212:213], v[28:29]
	v_dot4c_i32_i8_e32 v147, v153, v3
	v_mad_u64_u32 v[212:213], s[18:19], v218, v186, v[148:149]
	v_mov_b32_e32 v148, 0
	v_dot4c_i32_i8_e32 v152, v174, v4
	v_mad_u64_u32 v[214:215], s[18:19], v147, v195, v[150:151]
	v_mov_b32_e32 v147, 0
	v_dot4c_i32_i8_e32 v148, v188, v4
	v_dot4c_i32_i8_e32 v152, v174, v5
	;; [unrolled: 1-line block ×7, first 2 shown]
	v_mov_b32_e32 v5, 0
	v_dot4c_i32_i8_e32 v152, v174, v7
	v_dot4c_i32_i8_e32 v148, v188, v7
	v_dot4c_i32_i8_e32 v5, v170, v0
	v_dot4c_i32_i8_e32 v152, v193, v0
	v_dot4c_i32_i8_e32 v147, v180, v6
	v_dot4c_i32_i8_e32 v148, v205, v0
	v_dot4c_i32_i8_e32 v5, v171, v1
	v_dot4c_i32_i8_e32 v152, v193, v1
	v_dot4c_i32_i8_e32 v147, v181, v7
	v_dot4c_i32_i8_e32 v148, v205, v1
	v_dot4c_i32_i8_e32 v5, v172, v2
	v_dot4c_i32_i8_e32 v152, v193, v2
	v_mul_lo_u32 v4, v147, v200
	v_dot4c_i32_i8_e32 v148, v205, v2
	v_dot4c_i32_i8_e32 v5, v173, v3
	;; [unrolled: 1-line block ×4, first 2 shown]
	v_mad_u64_u32 v[0:1], s[18:19], v220, v200, v[146:147]
	v_mad_u64_u32 v[2:3], s[18:19], v5, v206, v[4:5]
	v_cvt_f32_i32_e32 v213, v214
	v_cvt_f32_i32_e32 v215, v152
	;; [unrolled: 1-line block ×8, first 2 shown]
	v_pk_mul_f32 v[214:215], v[10:11], v[214:215] op_sel_hi:[0,1]
	v_pk_mul_f32 v[2:3], v[138:139], v[2:3] op_sel_hi:[0,1]
	v_pk_fma_f32 v[212:213], v[8:9], v[212:213], v[214:215] op_sel_hi:[0,1,1] neg_lo:[0,0,1] neg_hi:[0,0,1]
	v_pk_fma_f32 v[0:1], v[136:137], v[0:1], v[2:3] op_sel_hi:[0,1,1] neg_lo:[0,0,1] neg_hi:[0,0,1]
	v_pk_fma_f32 v[26:27], v[144:145], v[212:213], v[26:27]
	v_pk_fma_f32 v[24:25], v[144:145], v[0:1], v[24:25]
	ds_read2_b32 v[144:145], v13 offset0:192 offset1:224
	ds_read_b128 v[0:3], v11 offset:6144
	ds_read_b128 v[4:7], v11 offset:6160
	v_mov_b32_e32 v146, 0
	v_mov_b32_e32 v215, 0
	;; [unrolled: 1-line block ×4, first 2 shown]
	s_waitcnt lgkmcnt(0)
	v_dot4c_i32_i8_e32 v146, v175, v4
	v_dot4c_i32_i8_e32 v146, v176, v5
	;; [unrolled: 1-line block ×4, first 2 shown]
	v_mov_b32_e32 v147, 0
	v_dot4c_i32_i8_e32 v215, v203, v0
	v_dot4c_i32_i8_e32 v217, v201, v0
	v_mul_lo_u32 v152, v146, v204
	v_mov_b32_e32 v146, 0
	v_dot4c_i32_i8_e32 v146, v189, v4
	v_dot4c_i32_i8_e32 v146, v190, v5
	;; [unrolled: 1-line block ×5, first 2 shown]
	v_mov_b32_e32 v214, 0
	v_dot4c_i32_i8_e32 v215, v203, v1
	v_mov_b32_e32 v216, 0
	v_dot4c_i32_i8_e32 v217, v201, v1
	v_dot4c_i32_i8_e32 v146, v192, v7
	v_mov_b32_e32 v213, 0
	v_dot4c_i32_i8_e32 v212, v174, v1
	v_mov_b32_e32 v211, 0
	v_dot4c_i32_i8_e32 v147, v188, v1
	v_dot4c_i32_i8_e32 v214, v185, v0
	v_dot4c_i32_i8_e32 v215, v203, v2
	v_dot4c_i32_i8_e32 v216, v199, v0
	v_dot4c_i32_i8_e32 v217, v201, v2
	v_mul_lo_u32 v150, v146, v210
	v_dot4c_i32_i8_e32 v213, v208, v0
	v_dot4c_i32_i8_e32 v212, v174, v2
	v_mov_b32_e32 v146, 0
	v_dot4c_i32_i8_e32 v211, v187, v0
	v_dot4c_i32_i8_e32 v147, v188, v2
	v_mov_b32_e32 v0, 0
	v_dot4c_i32_i8_e32 v215, v203, v3
	v_dot4c_i32_i8_e32 v217, v201, v3
	;; [unrolled: 1-line block ×38, first 2 shown]
	v_mul_lo_u32 v148, v146, v195
	v_dot4c_i32_i8_e32 v211, v181, v3
	v_dot4c_i32_i8_e32 v147, v205, v7
	v_mul_lo_u32 v146, v0, v206
	ds_read_b128 v[4:7], v11 offset:7168
	ds_read_b128 v[0:3], v11 offset:7184
	v_mov_b32_e32 v218, 0
	s_add_i32 s11, s11, 2
	s_add_i32 s16, s16, 2
	s_waitcnt lgkmcnt(1)
	v_dot4c_i32_i8_e32 v218, v185, v4
	v_mov_b32_e32 v185, 0
	v_dot4c_i32_i8_e32 v185, v203, v4
	v_dot4c_i32_i8_e32 v218, v182, v5
	;; [unrolled: 1-line block ×5, first 2 shown]
	v_mov_b32_e32 v183, 0
	v_dot4c_i32_i8_e32 v185, v203, v7
	s_waitcnt lgkmcnt(0)
	v_dot4c_i32_i8_e32 v183, v175, v0
	v_dot4c_i32_i8_e32 v185, v202, v0
	;; [unrolled: 1-line block ×7, first 2 shown]
	v_mul_lo_u32 v182, v218, v194
	v_dot4c_i32_i8_e32 v183, v178, v3
	v_dot4c_i32_i8_e32 v185, v202, v3
	v_mad_u64_u32 v[176:177], s[18:19], v214, v194, v[152:153]
	s_nop 0
	v_mad_u64_u32 v[182:183], s[18:19], v183, v204, v[182:183]
	v_cvt_f32_i32_e32 v177, v182
	v_cvt_f32_i32_e32 v183, v185
	;; [unrolled: 1-line block ×4, first 2 shown]
	v_mov_b32_e32 v152, 0
	v_dot4c_i32_i8_e32 v152, v189, v0
	v_pk_mul_f32 v[182:183], v[14:15], v[182:183] op_sel_hi:[0,1]
	v_mov_b32_e32 v14, 0
	v_dot4c_i32_i8_e32 v14, v201, v4
	v_pk_fma_f32 v[176:177], v[12:13], v[176:177], v[182:183] op_sel_hi:[0,1,1] neg_lo:[0,0,1] neg_hi:[0,0,1]
	v_mov_b32_e32 v12, 0
	v_dot4c_i32_i8_e32 v14, v201, v5
	v_dot4c_i32_i8_e32 v12, v199, v4
	;; [unrolled: 1-line block ×12, first 2 shown]
	v_mul_lo_u32 v12, v12, v207
	v_dot4c_i32_i8_e32 v152, v192, v3
	v_pk_fma_f32 v[22:23], v[144:145], v[176:177], v[22:23]
	v_dot4c_i32_i8_e32 v14, v209, v3
	v_mad_u64_u32 v[176:177], s[18:19], v216, v207, v[150:151]
	v_mad_u64_u32 v[182:183], s[18:19], v152, v210, v[12:13]
	v_cvt_f32_i32_e32 v177, v182
	v_cvt_f32_i32_e32 v183, v14
	;; [unrolled: 1-line block ×4, first 2 shown]
	v_mov_b32_e32 v12, 0
	v_dot4c_i32_i8_e32 v12, v208, v4
	v_pk_mul_f32 v[182:183], v[142:143], v[182:183] op_sel_hi:[0,1]
	v_pk_fma_f32 v[176:177], v[140:141], v[176:177], v[182:183] op_sel_hi:[0,1,1] neg_lo:[0,0,1] neg_hi:[0,0,1]
	v_mov_b32_e32 v140, 0
	v_dot4c_i32_i8_e32 v140, v174, v4
	v_dot4c_i32_i8_e32 v140, v174, v5
	;; [unrolled: 1-line block ×3, first 2 shown]
	v_mov_b32_e32 v142, 0
	v_dot4c_i32_i8_e32 v12, v154, v5
	v_dot4c_i32_i8_e32 v140, v174, v7
	;; [unrolled: 1-line block ×10, first 2 shown]
	v_mul_lo_u32 v12, v12, v186
	v_dot4c_i32_i8_e32 v142, v153, v3
	v_dot4c_i32_i8_e32 v140, v193, v3
	v_mad_u64_u32 v[14:15], s[18:19], v213, v186, v[148:149]
	s_nop 0
	v_mad_u64_u32 v[148:149], s[18:19], v142, v195, v[12:13]
	v_cvt_f32_i32_e32 v15, v148
	v_cvt_f32_i32_e32 v149, v140
	;; [unrolled: 1-line block ×4, first 2 shown]
	v_pk_fma_f32 v[20:21], v[144:145], v[176:177], v[20:21]
	v_add_u32_e32 v13, 4, v13
	v_pk_mul_f32 v[148:149], v[10:11], v[148:149] op_sel_hi:[0,1]
	v_mov_b32_e32 v10, 0
	v_pk_fma_f32 v[14:15], v[8:9], v[14:15], v[148:149] op_sel_hi:[0,1,1] neg_lo:[0,0,1] neg_hi:[0,0,1]
	v_mov_b32_e32 v8, 0
	v_dot4c_i32_i8_e32 v10, v188, v4
	v_dot4c_i32_i8_e32 v8, v187, v4
	;; [unrolled: 1-line block ×5, first 2 shown]
	v_mov_b32_e32 v5, 0
	v_dot4c_i32_i8_e32 v10, v188, v7
	v_dot4c_i32_i8_e32 v5, v170, v0
	;; [unrolled: 1-line block ×9, first 2 shown]
	v_mul_lo_u32 v4, v8, v200
	v_dot4c_i32_i8_e32 v5, v173, v3
	v_dot4c_i32_i8_e32 v10, v205, v3
	v_mad_u64_u32 v[0:1], s[18:19], v211, v200, v[146:147]
	s_nop 0
	v_mad_u64_u32 v[2:3], s[18:19], v5, v206, v[4:5]
	v_cvt_f32_i32_e32 v1, v2
	v_cvt_f32_i32_e32 v3, v10
	;; [unrolled: 1-line block ×4, first 2 shown]
	v_pk_fma_f32 v[18:19], v[144:145], v[14:15], v[18:19]
	v_add_u32_e32 v11, 32, v11
	v_pk_mul_f32 v[2:3], v[138:139], v[2:3] op_sel_hi:[0,1]
	v_pk_fma_f32 v[0:1], v[136:137], v[0:1], v[2:3] op_sel_hi:[0,1,1] neg_lo:[0,0,1] neg_hi:[0,0,1]
	v_pk_fma_f32 v[16:17], v[144:145], v[0:1], v[16:17]
	s_cmp_lt_u32 s17, 14
	s_cbranch_scc1 .LBB128_9
; %bb.10:                               ;   in Loop: Header=BB128_6 Depth=1
	s_or_b32 s11, s0, 1
	s_cmp_ge_i32 s11, s4
	s_barrier
	s_cbranch_scc1 .LBB128_5
; %bb.11:                               ;   in Loop: Header=BB128_6 Depth=1
	v_add_u32_e32 v8, s9, v107
	v_add_u32_e32 v0, v8, v53
	;; [unrolled: 1-line block ×9, first 2 shown]
	v_mad_i64_i32 v[144:145], s[16:17], v8, 36, v[132:133]
	v_add_u32_e32 v8, 8, v9
	v_mad_i64_i32 v[0:1], s[16:17], v0, 36, v[132:133]
	v_mad_i64_i32 v[2:3], s[16:17], v2, 36, v[132:133]
	;; [unrolled: 1-line block ×4, first 2 shown]
	v_mad_u64_u32 v[146:147], s[16:17], v8, 36, s[2:3]
	v_mad_i64_i32 v[10:11], s[16:17], v10, 36, v[132:133]
	v_mad_i64_i32 v[12:13], s[16:17], v12, 36, v[132:133]
	;; [unrolled: 1-line block ×3, first 2 shown]
	global_load_dword v8, v[146:147], off
	s_nop 0
	global_load_dword v0, v[0:1], off offset:4
	s_nop 0
	global_load_dword v1, v[2:3], off offset:4
	;; [unrolled: 2-line block ×3, first 2 shown]
	global_load_dword v3, v[6:7], off offset:4
	s_nop 0
	global_load_dword v4, v[10:11], off offset:4
	global_load_dword v5, v[12:13], off offset:4
	;; [unrolled: 1-line block ×4, first 2 shown]
	s_mov_b32 s11, 16
	s_mov_b32 s17, 14
	v_mov_b32_e32 v11, v157
	v_mov_b32_e32 v13, v156
	s_waitcnt vmcnt(8)
	v_cvt_f32_f16_e32 v8, v8
	s_waitcnt vmcnt(7)
	ds_write_b32 v57, v0
	s_waitcnt vmcnt(6)
	ds_write_b32 v61, v1
	;; [unrolled: 2-line block ×8, first 2 shown]
	ds_write_b32 v51, v8
	s_waitcnt lgkmcnt(0)
	s_barrier
.LBB128_12:                             ;   Parent Loop BB128_6 Depth=1
                                        ; =>  This Inner Loop Header: Depth=2
	s_add_i32 s16, s17, 2
	s_and_b32 s19, s16, 0x3ffffff8
	s_lshl_b32 s19, s19, 2
	v_add_u32_e32 v8, s19, v87
	ds_read2_b32 v[144:145], v13 offset1:32
	ds_read_b128 v[4:7], v11
	ds_read_b128 v[0:3], v11 offset:16
	ds_read2_b32 v[14:15], v8 offset1:1
	s_and_b32 s18, s11, -16
	v_add_u32_e32 v12, s18, v119
	s_add_i32 s18, s17, -14
	s_lshr_b32 s20, s16, 2
	s_waitcnt lgkmcnt(0)
	v_ashrrev_i32_e32 v10, s18, v14
	v_and_b32_e32 v184, 0x3030303, v10
	v_ashrrev_i32_e32 v10, s18, v15
	ds_read2_b32 v[14:15], v8 offset0:2 offset1:3
	v_and_b32_e32 v181, 0x3030303, v10
	s_and_b32 s20, s20, 0x3ffffffc
	v_mov_b32_e32 v201, 0
	v_mov_b32_e32 v203, 0
	s_waitcnt lgkmcnt(0)
	v_ashrrev_i32_e32 v10, s18, v14
	v_and_b32_e32 v182, 0x3030303, v10
	v_ashrrev_i32_e32 v10, s18, v15
	ds_read2_b32 v[14:15], v8 offset0:4 offset1:5
	v_and_b32_e32 v183, 0x3030303, v10
	v_mov_b32_e32 v211, 0
	v_mov_b32_e32 v215, 0
	;; [unrolled: 1-line block ×3, first 2 shown]
	s_waitcnt lgkmcnt(0)
	v_ashrrev_i32_e32 v10, s18, v14
	v_and_b32_e32 v177, 0x3030303, v10
	v_ashrrev_i32_e32 v10, s18, v15
	ds_read2_b32 v[14:15], v8 offset0:6 offset1:7
	v_and_b32_e32 v178, 0x3030303, v10
	v_add_u32_e32 v10, s20, v89
	v_mov_b32_e32 v202, 0
	v_mov_b32_e32 v209, 0
	s_waitcnt lgkmcnt(0)
	v_ashrrev_i32_e32 v8, s18, v14
	v_and_b32_e32 v179, 0x3030303, v8
	v_ashrrev_i32_e32 v8, s18, v15
	v_and_b32_e32 v180, 0x3030303, v8
	v_add3_u32 v8, v131, s17, v12
	ds_read_b32 v10, v10
	ds_read_u16 v146, v8 offset:25074
	v_mov_b32_e32 v214, 0
	v_dot4c_i32_i8_e32 v147, v184, v4
	v_mov_b32_e32 v206, 0
	s_waitcnt lgkmcnt(1)
	v_cvt_f32_f16_e32 v136, v10
	s_waitcnt lgkmcnt(0)
	v_bfe_u32 v8, v146, 4, 4
	v_mul_lo_u32 v190, v8, s1
	v_lshrrev_b32_sdwa v8, v167, v146 dst_sel:DWORD dst_unused:UNUSED_PAD src0_sel:DWORD src1_sel:BYTE_1
	v_mul_lo_u32 v197, v8, s1
	v_add_u32_e32 v8, s19, v91
	ds_read2_b32 v[14:15], v8 offset1:1
	v_cvt_f32_f16_sdwa v138, v10 dst_sel:DWORD dst_unused:UNUSED_PAD src0_sel:WORD_1
	v_dot4c_i32_i8_e32 v201, v190, v4
	v_dot4c_i32_i8_e32 v201, v190, v5
	;; [unrolled: 1-line block ×3, first 2 shown]
	s_waitcnt lgkmcnt(0)
	v_ashrrev_i32_e32 v10, s18, v14
	v_and_b32_e32 v194, 0x3030303, v10
	v_ashrrev_i32_e32 v10, s18, v15
	ds_read2_b32 v[14:15], v8 offset0:2 offset1:3
	v_and_b32_e32 v191, 0x3030303, v10
	v_dot4c_i32_i8_e32 v202, v194, v4
	v_dot4c_i32_i8_e32 v201, v190, v7
	v_mov_b32_e32 v212, 0
	s_waitcnt lgkmcnt(0)
	v_ashrrev_i32_e32 v10, s18, v14
	v_and_b32_e32 v192, 0x3030303, v10
	v_ashrrev_i32_e32 v10, s18, v15
	ds_read2_b32 v[14:15], v8 offset0:4 offset1:5
	v_and_b32_e32 v193, 0x3030303, v10
	v_mov_b32_e32 v213, 0
	v_mov_b32_e32 v216, 0
	v_dot4c_i32_i8_e32 v206, v177, v0
	s_waitcnt lgkmcnt(0)
	v_ashrrev_i32_e32 v10, s18, v14
	v_and_b32_e32 v186, 0x3030303, v10
	v_ashrrev_i32_e32 v10, s18, v15
	ds_read2_b32 v[14:15], v8 offset0:6 offset1:7
	v_and_b32_e32 v187, 0x3030303, v10
	v_add_u32_e32 v10, s20, v95
	v_dot4c_i32_i8_e32 v201, v197, v0
	v_dot4c_i32_i8_e32 v212, v186, v0
	s_waitcnt lgkmcnt(0)
	v_ashrrev_i32_e32 v8, s18, v14
	v_and_b32_e32 v188, 0x3030303, v8
	v_ashrrev_i32_e32 v8, s18, v15
	v_and_b32_e32 v189, 0x3030303, v8
	v_add3_u32 v8, v127, s17, v12
	ds_read_b32 v10, v10
	ds_read_u16 v200, v8 offset:26098
	v_dot4c_i32_i8_e32 v147, v181, v5
	v_dot4c_i32_i8_e32 v206, v178, v1
	;; [unrolled: 1-line block ×3, first 2 shown]
	s_waitcnt lgkmcnt(1)
	v_cvt_f32_f16_e32 v140, v10
	s_waitcnt lgkmcnt(0)
	v_bfe_u32 v8, v200, 4, 4
	v_mul_lo_u32 v196, v8, s1
	v_lshrrev_b32_sdwa v8, v167, v200 dst_sel:DWORD dst_unused:UNUSED_PAD src0_sel:DWORD src1_sel:BYTE_1
	v_mul_lo_u32 v199, v8, s1
	v_add_u32_e32 v8, s19, v97
	ds_read2_b32 v[14:15], v8 offset1:1
	ds_read2_b32 v[148:149], v8 offset0:4 offset1:5
	v_cvt_f32_f16_sdwa v142, v10 dst_sel:DWORD dst_unused:UNUSED_PAD src0_sel:WORD_1
	ds_read2_b32 v[154:155], v8 offset0:6 offset1:7
	v_dot4c_i32_i8_e32 v203, v196, v4
	s_waitcnt lgkmcnt(2)
	v_ashrrev_i32_e32 v10, s18, v14
	v_and_b32_e32 v198, 0x3030303, v10
	v_ashrrev_i32_e32 v10, s18, v15
	ds_read2_b32 v[14:15], v8 offset0:2 offset1:3
	v_and_b32_e32 v151, 0x3030303, v10
	s_waitcnt lgkmcnt(1)
	v_ashrrev_i32_e32 v8, s18, v154
	v_dot4c_i32_i8_e32 v203, v196, v5
	v_dot4c_i32_i8_e32 v203, v196, v6
	s_waitcnt lgkmcnt(0)
	v_ashrrev_i32_e32 v10, s18, v14
	v_and_b32_e32 v152, 0x3030303, v10
	v_ashrrev_i32_e32 v10, s18, v15
	v_and_b32_e32 v153, 0x3030303, v10
	;; [unrolled: 2-line block ×4, first 2 shown]
	v_and_b32_e32 v149, 0x3030303, v8
	v_ashrrev_i32_e32 v8, s18, v155
	v_add_u32_e32 v10, s20, v99
	v_add_u32_e32 v14, s19, v101
	v_and_b32_e32 v150, 0x3030303, v8
	v_add3_u32 v8, v121, s17, v12
	ds_read_b32 v10, v10
	ds_read_u16 v208, v8 offset:27122
	ds_read2_b32 v[154:155], v14 offset1:1
	ds_read2_b32 v[204:205], v14 offset0:6 offset1:7
	v_add3_u32 v12, v111, s17, v12
	v_dot4c_i32_i8_e32 v209, v198, v4
	s_waitcnt lgkmcnt(2)
	v_bfe_u32 v8, v208, 4, 4
	s_waitcnt lgkmcnt(1)
	v_ashrrev_i32_e32 v154, s18, v154
	v_and_b32_e32 v175, 0x3030303, v154
	v_ashrrev_i32_e32 v154, s18, v155
	v_and_b32_e32 v172, 0x3030303, v154
	ds_read2_b32 v[154:155], v14 offset0:2 offset1:3
	v_mul_lo_u32 v171, v8, s1
	v_dot4c_i32_i8_e32 v211, v171, v4
	v_dot4c_i32_i8_e32 v211, v171, v5
	;; [unrolled: 1-line block ×3, first 2 shown]
	s_waitcnt lgkmcnt(0)
	v_ashrrev_i32_e32 v154, s18, v154
	v_and_b32_e32 v173, 0x3030303, v154
	v_ashrrev_i32_e32 v154, s18, v155
	v_and_b32_e32 v174, 0x3030303, v154
	ds_read2_b32 v[154:155], v14 offset0:4 offset1:5
	v_ashrrev_i32_e32 v14, s18, v204
	v_and_b32_e32 v169, 0x3030303, v14
	v_ashrrev_i32_e32 v14, s18, v205
	v_and_b32_e32 v170, 0x3030303, v14
	v_add_u32_e32 v14, s20, v103
	ds_read_b32 v14, v14
	ds_read_u16 v210, v12 offset:28146
	v_lshrrev_b32_sdwa v8, v167, v208 dst_sel:DWORD dst_unused:UNUSED_PAD src0_sel:DWORD src1_sel:BYTE_1
	s_waitcnt lgkmcnt(2)
	v_ashrrev_i32_e32 v154, s18, v154
	v_dot4c_i32_i8_e32 v214, v175, v4
	v_dot4c_i32_i8_e32 v203, v196, v7
	s_waitcnt lgkmcnt(0)
	v_bfe_u32 v12, v210, 4, 4
	v_mul_lo_u32 v176, v12, s1
	v_dot4c_i32_i8_e32 v215, v176, v4
	v_dot4c_i32_i8_e32 v215, v176, v5
	;; [unrolled: 1-line block ×3, first 2 shown]
	v_lshrrev_b32_sdwa v4, v167, v210 dst_sel:DWORD dst_unused:UNUSED_PAD src0_sel:DWORD src1_sel:BYTE_1
	v_dot4c_i32_i8_e32 v211, v171, v7
	v_mul_lo_u32 v185, v8, s1
	v_and_b32_e32 v154, 0x3030303, v154
	v_ashrrev_i32_e32 v155, s18, v155
	v_dot4c_i32_i8_e32 v215, v176, v7
	v_mul_lo_u32 v195, v4, s1
	v_dot4c_i32_i8_e32 v203, v199, v0
	v_dot4c_i32_i8_e32 v213, v15, v0
	;; [unrolled: 1-line block ×3, first 2 shown]
	v_and_b32_e32 v155, 0x3030303, v155
	v_dot4c_i32_i8_e32 v216, v154, v0
	v_dot4c_i32_i8_e32 v215, v195, v0
	;; [unrolled: 1-line block ×35, first 2 shown]
	ds_read_b128 v[4:7], v11 offset:1024
	ds_read_b128 v[0:3], v11 offset:1040
	v_mov_b32_e32 v217, 0
	v_mov_b32_e32 v207, 0
	;; [unrolled: 1-line block ×3, first 2 shown]
	s_waitcnt lgkmcnt(1)
	v_dot4c_i32_i8_e32 v217, v190, v4
	v_dot4c_i32_i8_e32 v217, v190, v5
	;; [unrolled: 1-line block ×6, first 2 shown]
	s_waitcnt lgkmcnt(0)
	v_dot4c_i32_i8_e32 v218, v177, v0
	v_dot4c_i32_i8_e32 v207, v182, v6
	v_dot4c_i32_i8_e32 v217, v197, v0
	v_dot4c_i32_i8_e32 v218, v178, v1
	v_dot4c_i32_i8_e32 v207, v183, v7
	v_dot4c_i32_i8_e32 v217, v197, v1
	v_dot4c_i32_i8_e32 v218, v179, v2
	v_and_b32_e32 v205, 15, v146
	v_and_b32_sdwa v204, v146, v168 dst_sel:DWORD dst_unused:UNUSED_PAD src0_sel:BYTE_1 src1_sel:DWORD
	v_dot4c_i32_i8_e32 v217, v197, v2
	v_dot4c_i32_i8_e32 v218, v180, v3
	v_mul_lo_u32 v146, v204, v206
	v_mul_lo_u32 v206, v205, v207
                                        ; kill: def $vgpr207 killed $sgpr0 killed $exec
	v_dot4c_i32_i8_e32 v217, v197, v3
	v_mad_u64_u32 v[206:207], s[18:19], v204, v218, v[206:207]
	v_mad_u64_u32 v[146:147], s[18:19], v205, v147, v[146:147]
	v_cvt_f32_i32_e32 v147, v146
	v_cvt_f32_i32_e32 v146, v206
	;; [unrolled: 1-line block ×4, first 2 shown]
	v_mov_b32_e32 v217, 0
	v_dot4c_i32_i8_e32 v217, v196, v4
	v_dot4c_i32_i8_e32 v217, v196, v5
	v_pk_mul_f32 v[206:207], v[138:139], v[206:207] op_sel_hi:[0,1]
	v_pk_fma_f32 v[206:207], v[136:137], v[146:147], v[206:207] op_sel_hi:[0,1,1] neg_lo:[0,0,1] neg_hi:[0,0,1]
	v_mov_b32_e32 v146, v145
	v_mov_b32_e32 v145, 0
	v_dot4c_i32_i8_e32 v145, v194, v4
	v_dot4c_i32_i8_e32 v217, v196, v6
	v_mov_b32_e32 v201, 0
	v_dot4c_i32_i8_e32 v145, v191, v5
	v_dot4c_i32_i8_e32 v217, v196, v7
	;; [unrolled: 1-line block ×3, first 2 shown]
	v_mov_b32_e32 v147, v144
	v_dot4c_i32_i8_e32 v145, v192, v6
	v_dot4c_i32_i8_e32 v217, v199, v0
	;; [unrolled: 1-line block ×3, first 2 shown]
	v_pk_fma_f32 v[122:123], v[146:147], v[206:207], v[122:123]
	v_dot4c_i32_i8_e32 v145, v193, v7
	v_dot4c_i32_i8_e32 v217, v199, v1
	;; [unrolled: 1-line block ×3, first 2 shown]
	v_and_b32_e32 v207, 15, v200
	v_and_b32_sdwa v206, v200, v168 dst_sel:DWORD dst_unused:UNUSED_PAD src0_sel:BYTE_1 src1_sel:DWORD
	v_dot4c_i32_i8_e32 v217, v199, v2
	v_dot4c_i32_i8_e32 v201, v189, v3
	v_mul_lo_u32 v144, v206, v212
	v_mul_lo_u32 v200, v207, v145
                                        ; kill: def $vgpr145 killed $sgpr0 killed $exec
	v_dot4c_i32_i8_e32 v217, v199, v3
	v_mad_u64_u32 v[200:201], s[18:19], v206, v201, v[200:201]
	v_mad_u64_u32 v[144:145], s[18:19], v207, v202, v[144:145]
	v_cvt_f32_i32_e32 v145, v144
	v_cvt_f32_i32_e32 v144, v200
	v_cvt_f32_i32_e32 v201, v203
	v_cvt_f32_i32_e32 v200, v217
	v_mov_b32_e32 v212, 0
	v_dot4c_i32_i8_e32 v212, v171, v4
	v_dot4c_i32_i8_e32 v212, v171, v5
	v_pk_mul_f32 v[200:201], v[142:143], v[200:201] op_sel_hi:[0,1]
	v_pk_fma_f32 v[144:145], v[140:141], v[144:145], v[200:201] op_sel_hi:[0,1,1] neg_lo:[0,0,1] neg_hi:[0,0,1]
	v_pk_fma_f32 v[116:117], v[146:147], v[144:145], v[116:117]
	v_mov_b32_e32 v145, 0
	v_dot4c_i32_i8_e32 v145, v198, v4
	v_dot4c_i32_i8_e32 v212, v171, v6
	v_mov_b32_e32 v201, 0
	v_dot4c_i32_i8_e32 v145, v151, v5
	v_dot4c_i32_i8_e32 v212, v171, v7
	;; [unrolled: 1-line block ×9, first 2 shown]
	v_and_b32_e32 v203, 15, v208
	v_and_b32_sdwa v202, v208, v168 dst_sel:DWORD dst_unused:UNUSED_PAD src0_sel:BYTE_1 src1_sel:DWORD
	v_dot4c_i32_i8_e32 v212, v185, v2
	v_dot4c_i32_i8_e32 v201, v150, v3
	v_mul_lo_u32 v144, v202, v213
	v_mul_lo_u32 v200, v203, v145
                                        ; kill: def $vgpr145 killed $sgpr0 killed $exec
	v_dot4c_i32_i8_e32 v212, v185, v3
	v_mad_u64_u32 v[200:201], s[18:19], v202, v201, v[200:201]
	v_mad_u64_u32 v[144:145], s[18:19], v203, v209, v[144:145]
	v_cvt_f32_f16_e32 v8, v10
	v_cvt_f32_f16_sdwa v10, v10 dst_sel:DWORD dst_unused:UNUSED_PAD src0_sel:WORD_1
	v_cvt_f32_i32_e32 v145, v144
	v_cvt_f32_i32_e32 v144, v200
	;; [unrolled: 1-line block ×4, first 2 shown]
	v_cvt_f32_f16_e32 v12, v14
	v_cvt_f32_f16_sdwa v14, v14 dst_sel:DWORD dst_unused:UNUSED_PAD src0_sel:WORD_1
	v_mov_b32_e32 v212, 0
	v_pk_mul_f32 v[200:201], v[10:11], v[200:201] op_sel_hi:[0,1]
	v_pk_fma_f32 v[144:145], v[8:9], v[144:145], v[200:201] op_sel_hi:[0,1,1] neg_lo:[0,0,1] neg_hi:[0,0,1]
	v_pk_fma_f32 v[112:113], v[146:147], v[144:145], v[112:113]
	v_mov_b32_e32 v145, 0
	v_dot4c_i32_i8_e32 v145, v176, v4
	v_mov_b32_e32 v144, 0
	v_dot4c_i32_i8_e32 v145, v176, v5
	v_dot4c_i32_i8_e32 v144, v175, v4
	;; [unrolled: 1-line block ×3, first 2 shown]
	v_mov_b32_e32 v4, 0
	v_dot4c_i32_i8_e32 v144, v172, v5
	v_dot4c_i32_i8_e32 v145, v176, v7
	;; [unrolled: 1-line block ×9, first 2 shown]
	v_and_b32_e32 v201, 15, v210
	v_and_b32_sdwa v200, v210, v168 dst_sel:DWORD dst_unused:UNUSED_PAD src0_sel:BYTE_1 src1_sel:DWORD
	v_dot4c_i32_i8_e32 v145, v195, v2
	v_dot4c_i32_i8_e32 v4, v170, v3
	v_mul_lo_u32 v0, v200, v216
	v_mul_lo_u32 v2, v201, v144
                                        ; kill: def $vgpr1 killed $sgpr0 killed $exec
	v_dot4c_i32_i8_e32 v145, v195, v3
	v_mad_u64_u32 v[2:3], s[18:19], v200, v4, v[2:3]
	v_mad_u64_u32 v[0:1], s[18:19], v201, v214, v[0:1]
	v_cvt_f32_i32_e32 v1, v0
	v_cvt_f32_i32_e32 v0, v2
	;; [unrolled: 1-line block ×4, first 2 shown]
	v_mov_b32_e32 v210, 0
	v_mov_b32_e32 v215, 0
	;; [unrolled: 1-line block ×3, first 2 shown]
	v_pk_mul_f32 v[2:3], v[14:15], v[2:3] op_sel_hi:[0,1]
	v_pk_fma_f32 v[0:1], v[12:13], v[0:1], v[2:3] op_sel_hi:[0,1,1] neg_lo:[0,0,1] neg_hi:[0,0,1]
	v_pk_fma_f32 v[92:93], v[146:147], v[0:1], v[92:93]
	ds_read2_b32 v[144:145], v13 offset0:64 offset1:96
	ds_read_b128 v[0:3], v11 offset:2048
	ds_read_b128 v[4:7], v11 offset:2064
	v_mov_b32_e32 v147, 0
	v_mov_b32_e32 v208, 0
	;; [unrolled: 1-line block ×3, first 2 shown]
	s_waitcnt lgkmcnt(1)
	v_dot4c_i32_i8_e32 v210, v190, v0
	v_dot4c_i32_i8_e32 v212, v196, v0
	;; [unrolled: 1-line block ×14, first 2 shown]
	v_mov_b32_e32 v213, 0
	v_mov_b32_e32 v214, 0
	v_dot4c_i32_i8_e32 v215, v171, v3
	v_mov_b32_e32 v216, 0
	v_mov_b32_e32 v217, 0
	v_dot4c_i32_i8_e32 v218, v176, v3
	v_mov_b32_e32 v219, 0
	v_dot4c_i32_i8_e32 v147, v184, v0
	s_waitcnt lgkmcnt(0)
	v_dot4c_i32_i8_e32 v208, v177, v4
	v_dot4c_i32_i8_e32 v210, v197, v4
	;; [unrolled: 1-line block ×47, first 2 shown]
	ds_read_b128 v[4:7], v11 offset:3072
	ds_read_b128 v[0:3], v11 offset:3088
	v_mov_b32_e32 v220, 0
	v_mov_b32_e32 v146, 0
	;; [unrolled: 1-line block ×3, first 2 shown]
	s_waitcnt lgkmcnt(1)
	v_dot4c_i32_i8_e32 v220, v190, v4
	v_dot4c_i32_i8_e32 v220, v190, v5
	;; [unrolled: 1-line block ×6, first 2 shown]
	s_waitcnt lgkmcnt(0)
	v_dot4c_i32_i8_e32 v221, v177, v0
	v_dot4c_i32_i8_e32 v146, v182, v6
	v_dot4c_i32_i8_e32 v220, v197, v0
	v_dot4c_i32_i8_e32 v221, v178, v1
	v_dot4c_i32_i8_e32 v146, v183, v7
	v_dot4c_i32_i8_e32 v220, v197, v1
	v_dot4c_i32_i8_e32 v221, v179, v2
	v_mul_lo_u32 v208, v208, v204
                                        ; kill: def $vgpr209 killed $sgpr0 killed $exec
	v_dot4c_i32_i8_e32 v220, v197, v2
	v_dot4c_i32_i8_e32 v221, v180, v3
	v_mul_lo_u32 v146, v146, v205
	v_mad_u64_u32 v[208:209], s[18:19], v147, v205, v[208:209]
                                        ; kill: def $vgpr147 killed $sgpr0 killed $exec
	v_dot4c_i32_i8_e32 v220, v197, v3
	v_mad_u64_u32 v[146:147], s[18:19], v221, v204, v[146:147]
	v_cvt_f32_i32_e32 v147, v146
	v_cvt_f32_i32_e32 v146, v208
	v_cvt_f32_i32_e32 v209, v220
	v_cvt_f32_i32_e32 v208, v210
	v_mov_b32_e32 v210, 0
	v_dot4c_i32_i8_e32 v210, v196, v4
	v_dot4c_i32_i8_e32 v210, v196, v5
	v_pk_mul_f32 v[208:209], v[138:139], v[208:209] op_sel_hi:[0,1]
	v_pk_fma_f32 v[146:147], v[136:137], v[146:147], v[208:209] op_sel_hi:[0,1,1] neg_lo:[0,0,1] neg_hi:[0,0,1]
	v_pk_fma_f32 v[38:39], v[144:145], v[146:147], v[38:39]
	v_mov_b32_e32 v146, 0
	v_dot4c_i32_i8_e32 v146, v194, v4
	v_dot4c_i32_i8_e32 v210, v196, v6
	v_mov_b32_e32 v147, 0
	v_dot4c_i32_i8_e32 v146, v191, v5
	v_dot4c_i32_i8_e32 v210, v196, v7
	;; [unrolled: 1-line block ×11, first 2 shown]
	v_mul_lo_u32 v146, v146, v207
	v_mul_lo_u32 v208, v213, v206
                                        ; kill: def $vgpr209 killed $sgpr0 killed $exec
	v_dot4c_i32_i8_e32 v210, v199, v3
	v_mad_u64_u32 v[208:209], s[18:19], v211, v207, v[208:209]
	v_mad_u64_u32 v[146:147], s[18:19], v147, v206, v[146:147]
	v_cvt_f32_i32_e32 v147, v146
	v_cvt_f32_i32_e32 v146, v208
	;; [unrolled: 1-line block ×4, first 2 shown]
	v_mov_b32_e32 v210, 0
	v_dot4c_i32_i8_e32 v210, v171, v4
	v_dot4c_i32_i8_e32 v210, v171, v5
	v_pk_mul_f32 v[208:209], v[142:143], v[208:209] op_sel_hi:[0,1]
	v_pk_fma_f32 v[146:147], v[140:141], v[146:147], v[208:209] op_sel_hi:[0,1,1] neg_lo:[0,0,1] neg_hi:[0,0,1]
	v_pk_fma_f32 v[36:37], v[144:145], v[146:147], v[36:37]
	v_mov_b32_e32 v146, 0
	v_dot4c_i32_i8_e32 v146, v198, v4
	v_dot4c_i32_i8_e32 v210, v171, v6
	v_mov_b32_e32 v147, 0
	v_dot4c_i32_i8_e32 v146, v151, v5
	v_dot4c_i32_i8_e32 v210, v171, v7
	;; [unrolled: 1-line block ×11, first 2 shown]
	v_mul_lo_u32 v146, v146, v203
	v_mul_lo_u32 v208, v216, v202
                                        ; kill: def $vgpr209 killed $sgpr0 killed $exec
	v_dot4c_i32_i8_e32 v210, v185, v3
	v_mad_u64_u32 v[208:209], s[18:19], v214, v203, v[208:209]
	v_mad_u64_u32 v[146:147], s[18:19], v147, v202, v[146:147]
	v_cvt_f32_i32_e32 v147, v146
	v_cvt_f32_i32_e32 v146, v208
	;; [unrolled: 1-line block ×4, first 2 shown]
	v_mov_b32_e32 v210, 0
	v_mov_b32_e32 v212, 0
	;; [unrolled: 1-line block ×3, first 2 shown]
	v_pk_mul_f32 v[208:209], v[10:11], v[208:209] op_sel_hi:[0,1]
	v_pk_fma_f32 v[146:147], v[8:9], v[146:147], v[208:209] op_sel_hi:[0,1,1] neg_lo:[0,0,1] neg_hi:[0,0,1]
	v_pk_fma_f32 v[34:35], v[144:145], v[146:147], v[34:35]
	v_mov_b32_e32 v147, 0
	v_dot4c_i32_i8_e32 v147, v176, v4
	v_mov_b32_e32 v146, 0
	v_dot4c_i32_i8_e32 v147, v176, v5
	v_dot4c_i32_i8_e32 v146, v175, v4
	;; [unrolled: 1-line block ×3, first 2 shown]
	v_mov_b32_e32 v4, 0
	v_dot4c_i32_i8_e32 v146, v172, v5
	v_dot4c_i32_i8_e32 v147, v176, v7
	;; [unrolled: 1-line block ×11, first 2 shown]
	v_mul_lo_u32 v0, v146, v201
	v_mul_lo_u32 v2, v219, v200
                                        ; kill: def $vgpr1 killed $sgpr0 killed $exec
	v_dot4c_i32_i8_e32 v147, v195, v3
	v_mad_u64_u32 v[2:3], s[18:19], v217, v201, v[2:3]
	v_mad_u64_u32 v[0:1], s[18:19], v4, v200, v[0:1]
	v_cvt_f32_i32_e32 v1, v0
	v_cvt_f32_i32_e32 v0, v2
	;; [unrolled: 1-line block ×4, first 2 shown]
	v_mov_b32_e32 v218, 0
	v_mov_b32_e32 v147, 0
	;; [unrolled: 1-line block ×3, first 2 shown]
	v_pk_mul_f32 v[2:3], v[14:15], v[2:3] op_sel_hi:[0,1]
	v_pk_fma_f32 v[0:1], v[12:13], v[0:1], v[2:3] op_sel_hi:[0,1,1] neg_lo:[0,0,1] neg_hi:[0,0,1]
	v_pk_fma_f32 v[32:33], v[144:145], v[0:1], v[32:33]
	ds_read2_b32 v[144:145], v13 offset0:128 offset1:160
	ds_read_b128 v[0:3], v11 offset:4096
	ds_read_b128 v[4:7], v11 offset:4112
	v_mov_b32_e32 v211, 0
	v_mov_b32_e32 v213, 0
	;; [unrolled: 1-line block ×3, first 2 shown]
	s_waitcnt lgkmcnt(1)
	v_dot4c_i32_i8_e32 v210, v190, v0
	v_dot4c_i32_i8_e32 v212, v196, v0
	;; [unrolled: 1-line block ×15, first 2 shown]
	v_mov_b32_e32 v216, 0
	v_mov_b32_e32 v217, 0
	v_dot4c_i32_i8_e32 v218, v176, v3
	v_mov_b32_e32 v219, 0
	v_dot4c_i32_i8_e32 v147, v184, v0
	s_waitcnt lgkmcnt(0)
	v_dot4c_i32_i8_e32 v208, v177, v4
	v_dot4c_i32_i8_e32 v210, v197, v4
	;; [unrolled: 1-line block ×47, first 2 shown]
	ds_read_b128 v[4:7], v11 offset:5120
	ds_read_b128 v[0:3], v11 offset:5136
	v_mov_b32_e32 v220, 0
	v_mov_b32_e32 v146, 0
	;; [unrolled: 1-line block ×3, first 2 shown]
	s_waitcnt lgkmcnt(1)
	v_dot4c_i32_i8_e32 v220, v190, v4
	v_dot4c_i32_i8_e32 v220, v190, v5
	;; [unrolled: 1-line block ×6, first 2 shown]
	s_waitcnt lgkmcnt(0)
	v_dot4c_i32_i8_e32 v221, v177, v0
	v_dot4c_i32_i8_e32 v146, v182, v6
	;; [unrolled: 1-line block ×7, first 2 shown]
	v_mul_lo_u32 v208, v208, v204
                                        ; kill: def $vgpr209 killed $sgpr0 killed $exec
	v_dot4c_i32_i8_e32 v220, v197, v2
	v_dot4c_i32_i8_e32 v221, v180, v3
	v_mul_lo_u32 v146, v146, v205
	v_mad_u64_u32 v[208:209], s[18:19], v147, v205, v[208:209]
                                        ; kill: def $vgpr147 killed $sgpr0 killed $exec
	v_dot4c_i32_i8_e32 v220, v197, v3
	v_mad_u64_u32 v[146:147], s[18:19], v221, v204, v[146:147]
	v_cvt_f32_i32_e32 v147, v146
	v_cvt_f32_i32_e32 v146, v208
	;; [unrolled: 1-line block ×4, first 2 shown]
	v_mov_b32_e32 v210, 0
	v_dot4c_i32_i8_e32 v210, v196, v4
	v_dot4c_i32_i8_e32 v210, v196, v5
	v_pk_mul_f32 v[208:209], v[138:139], v[208:209] op_sel_hi:[0,1]
	v_pk_fma_f32 v[146:147], v[136:137], v[146:147], v[208:209] op_sel_hi:[0,1,1] neg_lo:[0,0,1] neg_hi:[0,0,1]
	v_pk_fma_f32 v[30:31], v[144:145], v[146:147], v[30:31]
	v_mov_b32_e32 v146, 0
	v_dot4c_i32_i8_e32 v146, v194, v4
	v_dot4c_i32_i8_e32 v210, v196, v6
	v_mov_b32_e32 v147, 0
	v_dot4c_i32_i8_e32 v146, v191, v5
	v_dot4c_i32_i8_e32 v210, v196, v7
	;; [unrolled: 1-line block ×11, first 2 shown]
	v_mul_lo_u32 v146, v146, v207
	v_mul_lo_u32 v208, v213, v206
                                        ; kill: def $vgpr209 killed $sgpr0 killed $exec
	v_dot4c_i32_i8_e32 v210, v199, v3
	v_mad_u64_u32 v[208:209], s[18:19], v211, v207, v[208:209]
	v_mad_u64_u32 v[146:147], s[18:19], v147, v206, v[146:147]
	v_cvt_f32_i32_e32 v147, v146
	v_cvt_f32_i32_e32 v146, v208
	;; [unrolled: 1-line block ×4, first 2 shown]
	v_mov_b32_e32 v210, 0
	v_dot4c_i32_i8_e32 v210, v171, v4
	v_dot4c_i32_i8_e32 v210, v171, v5
	v_pk_mul_f32 v[208:209], v[142:143], v[208:209] op_sel_hi:[0,1]
	v_pk_fma_f32 v[146:147], v[140:141], v[146:147], v[208:209] op_sel_hi:[0,1,1] neg_lo:[0,0,1] neg_hi:[0,0,1]
	v_pk_fma_f32 v[28:29], v[144:145], v[146:147], v[28:29]
	v_mov_b32_e32 v146, 0
	v_dot4c_i32_i8_e32 v146, v198, v4
	v_dot4c_i32_i8_e32 v210, v171, v6
	v_mov_b32_e32 v147, 0
	v_dot4c_i32_i8_e32 v146, v151, v5
	v_dot4c_i32_i8_e32 v210, v171, v7
	;; [unrolled: 1-line block ×11, first 2 shown]
	v_mul_lo_u32 v146, v146, v203
	v_mul_lo_u32 v208, v216, v202
                                        ; kill: def $vgpr209 killed $sgpr0 killed $exec
	v_dot4c_i32_i8_e32 v210, v185, v3
	v_mad_u64_u32 v[208:209], s[18:19], v214, v203, v[208:209]
	v_mad_u64_u32 v[146:147], s[18:19], v147, v202, v[146:147]
	v_cvt_f32_i32_e32 v147, v146
	v_cvt_f32_i32_e32 v146, v208
	;; [unrolled: 1-line block ×4, first 2 shown]
	v_mov_b32_e32 v212, 0
	v_mov_b32_e32 v215, 0
	;; [unrolled: 1-line block ×3, first 2 shown]
	v_pk_mul_f32 v[208:209], v[10:11], v[208:209] op_sel_hi:[0,1]
	v_pk_fma_f32 v[146:147], v[8:9], v[146:147], v[208:209] op_sel_hi:[0,1,1] neg_lo:[0,0,1] neg_hi:[0,0,1]
	v_pk_fma_f32 v[26:27], v[144:145], v[146:147], v[26:27]
	v_mov_b32_e32 v147, 0
	v_dot4c_i32_i8_e32 v147, v176, v4
	v_mov_b32_e32 v146, 0
	v_dot4c_i32_i8_e32 v147, v176, v5
	v_dot4c_i32_i8_e32 v146, v175, v4
	;; [unrolled: 1-line block ×3, first 2 shown]
	v_mov_b32_e32 v4, 0
	v_dot4c_i32_i8_e32 v146, v172, v5
	v_dot4c_i32_i8_e32 v147, v176, v7
	;; [unrolled: 1-line block ×11, first 2 shown]
	v_mul_lo_u32 v0, v146, v201
	v_mul_lo_u32 v2, v219, v200
                                        ; kill: def $vgpr1 killed $sgpr0 killed $exec
	v_dot4c_i32_i8_e32 v147, v195, v3
	v_mad_u64_u32 v[2:3], s[18:19], v217, v201, v[2:3]
	v_mad_u64_u32 v[0:1], s[18:19], v4, v200, v[0:1]
	v_cvt_f32_i32_e32 v1, v0
	v_cvt_f32_i32_e32 v0, v2
	;; [unrolled: 1-line block ×4, first 2 shown]
	v_mov_b32_e32 v208, 0
	v_mov_b32_e32 v146, 0
	;; [unrolled: 1-line block ×3, first 2 shown]
	v_pk_mul_f32 v[2:3], v[14:15], v[2:3] op_sel_hi:[0,1]
	v_pk_fma_f32 v[0:1], v[12:13], v[0:1], v[2:3] op_sel_hi:[0,1,1] neg_lo:[0,0,1] neg_hi:[0,0,1]
	v_pk_fma_f32 v[24:25], v[144:145], v[0:1], v[24:25]
	ds_read2_b32 v[144:145], v13 offset0:192 offset1:224
	ds_read_b128 v[0:3], v11 offset:6144
	ds_read_b128 v[4:7], v11 offset:6160
	v_mov_b32_e32 v214, 0
	v_mov_b32_e32 v216, 0
	;; [unrolled: 1-line block ×3, first 2 shown]
	s_waitcnt lgkmcnt(1)
	v_dot4c_i32_i8_e32 v212, v190, v0
	v_dot4c_i32_i8_e32 v215, v196, v0
	;; [unrolled: 1-line block ×15, first 2 shown]
	v_mov_b32_e32 v217, 0
	v_mov_b32_e32 v147, 0
	v_dot4c_i32_i8_e32 v146, v176, v3
	v_mov_b32_e32 v209, 0
	v_dot4c_i32_i8_e32 v211, v184, v0
	s_waitcnt lgkmcnt(0)
	v_dot4c_i32_i8_e32 v213, v177, v4
	v_dot4c_i32_i8_e32 v212, v197, v4
	;; [unrolled: 1-line block ×47, first 2 shown]
	ds_read_b128 v[4:7], v11 offset:7168
	ds_read_b128 v[0:3], v11 offset:7184
	v_mov_b32_e32 v218, 0
	s_add_i32 s11, s11, 2
	s_cmp_lt_u32 s16, 22
	s_waitcnt lgkmcnt(1)
	v_dot4c_i32_i8_e32 v218, v184, v4
	v_mov_b32_e32 v184, 0
	v_dot4c_i32_i8_e32 v184, v190, v4
	v_dot4c_i32_i8_e32 v218, v181, v5
	;; [unrolled: 1-line block ×5, first 2 shown]
	v_mov_b32_e32 v182, 0
	v_dot4c_i32_i8_e32 v184, v190, v7
	s_waitcnt lgkmcnt(0)
	v_dot4c_i32_i8_e32 v182, v177, v0
	v_dot4c_i32_i8_e32 v184, v197, v0
	;; [unrolled: 1-line block ×8, first 2 shown]
	v_mul_lo_u32 v178, v218, v205
	v_mul_lo_u32 v180, v213, v204
	v_dot4c_i32_i8_e32 v184, v197, v3
	v_mad_u64_u32 v[180:181], s[18:19], v211, v205, v[180:181]
	v_mad_u64_u32 v[178:179], s[18:19], v182, v204, v[178:179]
	v_cvt_f32_i32_e32 v179, v178
	v_cvt_f32_i32_e32 v178, v180
	v_cvt_f32_i32_e32 v181, v184
	v_cvt_f32_i32_e32 v180, v212
	v_mov_b32_e32 v177, 0
	v_dot4c_i32_i8_e32 v177, v196, v4
	v_dot4c_i32_i8_e32 v177, v196, v5
	v_pk_mul_f32 v[180:181], v[138:139], v[180:181] op_sel_hi:[0,1]
	v_pk_fma_f32 v[178:179], v[136:137], v[178:179], v[180:181] op_sel_hi:[0,1,1] neg_lo:[0,0,1] neg_hi:[0,0,1]
	v_mov_b32_e32 v136, 0
	v_dot4c_i32_i8_e32 v136, v194, v4
	v_dot4c_i32_i8_e32 v177, v196, v6
	v_mov_b32_e32 v180, 0
	v_dot4c_i32_i8_e32 v136, v191, v5
	v_dot4c_i32_i8_e32 v177, v196, v7
	;; [unrolled: 1-line block ×11, first 2 shown]
	v_mul_lo_u32 v136, v136, v207
	v_mul_lo_u32 v138, v216, v206
	v_pk_fma_f32 v[22:23], v[144:145], v[178:179], v[22:23]
	v_dot4c_i32_i8_e32 v177, v199, v3
	v_mad_u64_u32 v[178:179], s[18:19], v214, v207, v[138:139]
	v_mad_u64_u32 v[180:181], s[18:19], v180, v206, v[136:137]
	v_cvt_f32_i32_e32 v179, v180
	v_cvt_f32_i32_e32 v181, v177
	;; [unrolled: 1-line block ×4, first 2 shown]
	v_mov_b32_e32 v136, 0
	v_dot4c_i32_i8_e32 v136, v198, v4
	v_pk_mul_f32 v[180:181], v[142:143], v[180:181] op_sel_hi:[0,1]
	v_pk_fma_f32 v[178:179], v[140:141], v[178:179], v[180:181] op_sel_hi:[0,1,1] neg_lo:[0,0,1] neg_hi:[0,0,1]
	v_mov_b32_e32 v140, 0
	v_dot4c_i32_i8_e32 v140, v171, v4
	v_dot4c_i32_i8_e32 v140, v171, v5
	;; [unrolled: 1-line block ×3, first 2 shown]
	v_mov_b32_e32 v142, 0
	v_dot4c_i32_i8_e32 v136, v151, v5
	v_dot4c_i32_i8_e32 v140, v171, v7
	v_dot4c_i32_i8_e32 v142, v15, v0
	v_dot4c_i32_i8_e32 v136, v152, v6
	v_dot4c_i32_i8_e32 v140, v185, v0
	v_dot4c_i32_i8_e32 v142, v148, v1
	v_dot4c_i32_i8_e32 v136, v153, v7
	v_dot4c_i32_i8_e32 v140, v185, v1
	v_dot4c_i32_i8_e32 v142, v149, v2
	v_dot4c_i32_i8_e32 v140, v185, v2
	v_dot4c_i32_i8_e32 v142, v150, v3
	v_mul_lo_u32 v136, v136, v203
	v_mul_lo_u32 v138, v217, v202
	v_dot4c_i32_i8_e32 v140, v185, v3
	v_mad_u64_u32 v[148:149], s[18:19], v210, v203, v[138:139]
	v_mad_u64_u32 v[150:151], s[18:19], v142, v202, v[136:137]
	v_cvt_f32_i32_e32 v149, v150
	v_cvt_f32_i32_e32 v151, v140
	;; [unrolled: 1-line block ×4, first 2 shown]
                                        ; kill: def $vgpr15 killed $sgpr0 killed $exec
	v_pk_fma_f32 v[20:21], v[144:145], v[178:179], v[20:21]
	s_mov_b32 s17, s16
	v_pk_mul_f32 v[150:151], v[10:11], v[150:151] op_sel_hi:[0,1]
	v_mov_b32_e32 v10, 0
	v_dot4c_i32_i8_e32 v10, v176, v4
	v_pk_fma_f32 v[148:149], v[8:9], v[148:149], v[150:151] op_sel_hi:[0,1,1] neg_lo:[0,0,1] neg_hi:[0,0,1]
	v_mov_b32_e32 v8, 0
	v_dot4c_i32_i8_e32 v10, v176, v5
	v_dot4c_i32_i8_e32 v8, v175, v4
	;; [unrolled: 1-line block ×3, first 2 shown]
	v_mov_b32_e32 v4, 0
	v_dot4c_i32_i8_e32 v8, v172, v5
	v_dot4c_i32_i8_e32 v10, v176, v7
	;; [unrolled: 1-line block ×11, first 2 shown]
	v_mul_lo_u32 v0, v8, v201
	v_mul_lo_u32 v2, v209, v200
                                        ; kill: def $vgpr1 killed $sgpr0 killed $exec
	v_dot4c_i32_i8_e32 v10, v195, v3
	v_mad_u64_u32 v[2:3], s[18:19], v147, v201, v[2:3]
	v_mad_u64_u32 v[0:1], s[18:19], v4, v200, v[0:1]
	v_cvt_f32_i32_e32 v1, v0
	v_cvt_f32_i32_e32 v0, v2
	;; [unrolled: 1-line block ×4, first 2 shown]
	v_pk_fma_f32 v[18:19], v[144:145], v[148:149], v[18:19]
	v_add_u32_e32 v11, 32, v11
	v_pk_mul_f32 v[2:3], v[14:15], v[2:3] op_sel_hi:[0,1]
	v_pk_fma_f32 v[0:1], v[12:13], v[0:1], v[2:3] op_sel_hi:[0,1,1] neg_lo:[0,0,1] neg_hi:[0,0,1]
	v_pk_fma_f32 v[16:17], v[144:145], v[0:1], v[16:17]
	v_add_u32_e32 v13, 4, v13
	s_cbranch_scc1 .LBB128_12
; %bb.13:                               ;   in Loop: Header=BB128_6 Depth=1
	v_add_u32_e32 v8, s9, v109
	v_add_u32_e32 v0, v8, v53
	;; [unrolled: 1-line block ×9, first 2 shown]
	v_mad_i64_i32 v[144:145], s[16:17], v8, 36, v[132:133]
	v_add_u32_e32 v8, 12, v9
	v_mad_i64_i32 v[0:1], s[16:17], v0, 36, v[132:133]
	v_mad_i64_i32 v[2:3], s[16:17], v2, 36, v[132:133]
	;; [unrolled: 1-line block ×4, first 2 shown]
	v_mad_u64_u32 v[8:9], s[16:17], v8, 36, s[2:3]
	s_barrier
	v_mad_i64_i32 v[10:11], s[16:17], v10, 36, v[132:133]
	v_mad_i64_i32 v[12:13], s[16:17], v12, 36, v[132:133]
	;; [unrolled: 1-line block ×3, first 2 shown]
	global_load_dword v8, v[8:9], off
	s_nop 0
	global_load_dword v0, v[0:1], off offset:4
	s_nop 0
	global_load_dword v1, v[2:3], off offset:4
	;; [unrolled: 2-line block ×3, first 2 shown]
	global_load_dword v3, v[6:7], off offset:4
	s_nop 0
	global_load_dword v4, v[10:11], off offset:4
	global_load_dword v5, v[12:13], off offset:4
	global_load_dword v6, v[14:15], off offset:4
	global_load_dword v7, v[144:145], off offset:4
	s_mov_b32 s9, 24
	s_mov_b32 s16, 22
	v_mov_b32_e32 v145, v157
	v_mov_b32_e32 v147, v156
	s_waitcnt vmcnt(8)
	v_cvt_f32_f16_e32 v8, v8
	s_waitcnt vmcnt(7)
	ds_write_b32 v57, v0
	s_waitcnt vmcnt(6)
	ds_write_b32 v61, v1
	s_waitcnt vmcnt(5)
	ds_write_b32 v65, v2
	s_waitcnt vmcnt(4)
	ds_write_b32 v69, v3
	s_waitcnt vmcnt(3)
	ds_write_b32 v73, v4
	s_waitcnt vmcnt(2)
	ds_write_b32 v77, v5
	s_waitcnt vmcnt(1)
	ds_write_b32 v81, v6
	s_waitcnt vmcnt(0)
	ds_write_b32 v85, v7
	ds_write_b32 v51, v8
	s_waitcnt lgkmcnt(0)
	s_barrier
.LBB128_14:                             ;   Parent Loop BB128_6 Depth=1
                                        ; =>  This Inner Loop Header: Depth=2
	s_add_i32 s11, s16, 2
	s_and_b32 s18, s11, 0x3ffffff8
	s_lshl_b32 s18, s18, 2
	v_add_u32_e32 v10, s18, v87
	ds_read2_b32 v[152:153], v147 offset1:32
	ds_read_b128 v[4:7], v145
	ds_read_b128 v[0:3], v145 offset:16
	ds_read2_b32 v[8:9], v10 offset1:1
	s_sub_i32 s17, s16, 22
	s_and_b32 s19, s9, -16
	s_add_i32 s16, s16, s19
	s_lshr_b32 s19, s11, 2
	s_waitcnt lgkmcnt(0)
	v_ashrrev_i32_e32 v8, s17, v8
	v_and_b32_e32 v194, 0x3030303, v8
	v_ashrrev_i32_e32 v8, s17, v9
	v_and_b32_e32 v188, 0x3030303, v8
	ds_read2_b32 v[8:9], v10 offset0:2 offset1:3
	s_and_b32 s19, s19, 0x3ffffffc
	v_add_u32_e32 v154, s16, v161
	v_add_u32_e32 v202, s16, v160
	v_mov_b32_e32 v208, 0
	s_waitcnt lgkmcnt(0)
	v_ashrrev_i32_e32 v8, s17, v8
	v_and_b32_e32 v191, 0x3030303, v8
	v_ashrrev_i32_e32 v8, s17, v9
	v_and_b32_e32 v192, 0x3030303, v8
	ds_read2_b32 v[8:9], v10 offset0:4 offset1:5
	v_mov_b32_e32 v209, 0
	v_mov_b32_e32 v211, 0
	;; [unrolled: 1-line block ×4, first 2 shown]
	s_waitcnt lgkmcnt(0)
	v_ashrrev_i32_e32 v8, s17, v8
	v_and_b32_e32 v181, 0x3030303, v8
	v_ashrrev_i32_e32 v8, s17, v9
	v_and_b32_e32 v182, 0x3030303, v8
	ds_read2_b32 v[8:9], v10 offset0:6 offset1:7
	v_add_u32_e32 v10, s18, v91
	v_dot4c_i32_i8_e32 v208, v181, v0
	v_dot4c_i32_i8_e32 v155, v194, v4
	;; [unrolled: 1-line block ×3, first 2 shown]
	s_waitcnt lgkmcnt(0)
	v_ashrrev_i32_e32 v8, s17, v8
	v_and_b32_e32 v185, 0x3030303, v8
	v_ashrrev_i32_e32 v8, s17, v9
	v_and_b32_e32 v186, 0x3030303, v8
	v_add_u32_e32 v8, s19, v89
	ds_read_b32 v8, v8
	v_mov_b32_e32 v210, 0
	v_dot4c_i32_i8_e32 v155, v188, v5
	v_dot4c_i32_i8_e32 v208, v185, v2
	;; [unrolled: 1-line block ×3, first 2 shown]
	s_waitcnt lgkmcnt(0)
	v_cvt_f32_f16_e32 v144, v8
	v_cvt_f32_f16_sdwa v146, v8 dst_sel:DWORD dst_unused:UNUSED_PAD src0_sel:WORD_1
	ds_read2_b32 v[8:9], v10 offset1:1
	v_dot4c_i32_i8_e32 v208, v186, v3
	v_dot4c_i32_i8_e32 v155, v192, v7
	v_add_u32_e32 v200, s16, v159
	v_add_u32_e32 v199, s16, v158
	s_waitcnt lgkmcnt(0)
	v_ashrrev_i32_e32 v8, s17, v8
	v_and_b32_e32 v193, 0x3030303, v8
	v_ashrrev_i32_e32 v8, s17, v9
	v_and_b32_e32 v187, 0x3030303, v8
	ds_read2_b32 v[8:9], v10 offset0:2 offset1:3
	v_mov_b32_e32 v218, 0
	v_mov_b32_e32 v219, 0
	;; [unrolled: 1-line block ×4, first 2 shown]
	s_waitcnt lgkmcnt(0)
	v_ashrrev_i32_e32 v8, s17, v8
	v_and_b32_e32 v189, 0x3030303, v8
	v_ashrrev_i32_e32 v8, s17, v9
	v_and_b32_e32 v190, 0x3030303, v8
	ds_read2_b32 v[8:9], v10 offset0:4 offset1:5
	v_dot4c_i32_i8_e32 v201, v193, v4
	v_dot4c_i32_i8_e32 v201, v187, v5
	;; [unrolled: 1-line block ×4, first 2 shown]
	s_waitcnt lgkmcnt(0)
	v_ashrrev_i32_e32 v8, s17, v8
	v_and_b32_e32 v179, 0x3030303, v8
	v_ashrrev_i32_e32 v8, s17, v9
	v_and_b32_e32 v180, 0x3030303, v8
	ds_read2_b32 v[8:9], v10 offset0:6 offset1:7
	v_add_u32_e32 v10, s18, v97
	v_dot4c_i32_i8_e32 v212, v179, v0
	v_dot4c_i32_i8_e32 v212, v180, v1
	v_mov_b32_e32 v215, 0
	s_waitcnt lgkmcnt(0)
	v_ashrrev_i32_e32 v8, s17, v8
	v_and_b32_e32 v183, 0x3030303, v8
	v_ashrrev_i32_e32 v8, s17, v9
	v_and_b32_e32 v184, 0x3030303, v8
	v_add_u32_e32 v8, s19, v95
	ds_read_b32 v8, v8
	v_dot4c_i32_i8_e32 v212, v183, v2
	v_dot4c_i32_i8_e32 v212, v184, v3
	v_mov_b32_e32 v207, 0
	v_mov_b32_e32 v213, 0
	s_waitcnt lgkmcnt(0)
	v_cvt_f32_f16_e32 v148, v8
	v_cvt_f32_f16_sdwa v150, v8 dst_sel:DWORD dst_unused:UNUSED_PAD src0_sel:WORD_1
	ds_read2_b32 v[8:9], v10 offset1:1
	v_mov_b32_e32 v214, 0
	v_mov_b32_e32 v220, 0
	s_add_i32 s9, s9, 2
	s_cmp_lt_u32 s11, 30
	s_waitcnt lgkmcnt(0)
	v_ashrrev_i32_e32 v8, s17, v8
	v_and_b32_e32 v198, 0x3030303, v8
	v_ashrrev_i32_e32 v8, s17, v9
	v_and_b32_e32 v195, 0x3030303, v8
	ds_read2_b32 v[8:9], v10 offset0:2 offset1:3
	v_dot4c_i32_i8_e32 v207, v198, v4
	v_dot4c_i32_i8_e32 v207, v195, v5
	s_waitcnt lgkmcnt(0)
	v_ashrrev_i32_e32 v8, s17, v8
	v_and_b32_e32 v196, 0x3030303, v8
	v_ashrrev_i32_e32 v8, s17, v9
	v_and_b32_e32 v197, 0x3030303, v8
	ds_read2_b32 v[8:9], v10 offset0:4 offset1:5
	v_dot4c_i32_i8_e32 v207, v196, v6
	v_dot4c_i32_i8_e32 v207, v197, v7
	s_waitcnt lgkmcnt(0)
	v_ashrrev_i32_e32 v8, s17, v8
	v_and_b32_e32 v171, 0x3030303, v8
	v_ashrrev_i32_e32 v8, s17, v9
	v_and_b32_e32 v172, 0x3030303, v8
	ds_read2_b32 v[8:9], v10 offset0:6 offset1:7
	v_add_u32_e32 v10, s18, v101
	v_dot4c_i32_i8_e32 v215, v171, v0
	v_dot4c_i32_i8_e32 v215, v172, v1
	s_waitcnt lgkmcnt(0)
	v_ashrrev_i32_e32 v8, s17, v8
	v_and_b32_e32 v173, 0x3030303, v8
	v_ashrrev_i32_e32 v8, s17, v9
	v_and_b32_e32 v174, 0x3030303, v8
	v_add_u32_e32 v8, s19, v99
	ds_read_b32 v8, v8
	v_dot4c_i32_i8_e32 v215, v173, v2
	v_dot4c_i32_i8_e32 v215, v174, v3
	s_waitcnt lgkmcnt(0)
	v_cvt_f32_f16_e32 v140, v8
	v_cvt_f32_f16_sdwa v142, v8 dst_sel:DWORD dst_unused:UNUSED_PAD src0_sel:WORD_1
	ds_read2_b32 v[8:9], v10 offset1:1
	s_waitcnt lgkmcnt(0)
	v_ashrrev_i32_e32 v8, s17, v8
	v_and_b32_e32 v178, 0x3030303, v8
	v_ashrrev_i32_e32 v8, s17, v9
	v_and_b32_e32 v175, 0x3030303, v8
	ds_read2_b32 v[8:9], v10 offset0:2 offset1:3
	v_dot4c_i32_i8_e32 v213, v178, v4
	v_dot4c_i32_i8_e32 v213, v175, v5
	s_waitcnt lgkmcnt(0)
	v_ashrrev_i32_e32 v8, s17, v8
	v_and_b32_e32 v176, 0x3030303, v8
	v_ashrrev_i32_e32 v8, s17, v9
	v_and_b32_e32 v177, 0x3030303, v8
	ds_read2_b32 v[8:9], v10 offset0:4 offset1:5
	v_dot4c_i32_i8_e32 v213, v176, v6
	v_dot4c_i32_i8_e32 v213, v177, v7
	;; [unrolled: 8-line block ×3, first 2 shown]
	s_waitcnt lgkmcnt(0)
	v_ashrrev_i32_e32 v8, s17, v8
	v_and_b32_e32 v169, 0x3030303, v8
	v_ashrrev_i32_e32 v8, s17, v9
	v_and_b32_e32 v170, 0x3030303, v8
	v_add_u32_e32 v8, s19, v103
	ds_read_b32 v8, v8
	v_dot4c_i32_i8_e32 v214, v169, v2
	v_dot4c_i32_i8_e32 v214, v170, v3
	s_waitcnt lgkmcnt(0)
	v_cvt_f32_f16_e32 v136, v8
	v_cvt_f32_f16_sdwa v138, v8 dst_sel:DWORD dst_unused:UNUSED_PAD src0_sel:WORD_1
	ds_read_b128 v[12:15], v145 offset:1024
	ds_read_b128 v[8:11], v145 offset:1040
	ds_read_u16 v154, v154 offset:25074
	ds_read_u16 v202, v202 offset:26098
	s_waitcnt lgkmcnt(3)
	v_dot4c_i32_i8_e32 v209, v194, v12
	v_dot4c_i32_i8_e32 v209, v188, v13
	s_waitcnt lgkmcnt(1)
	v_bfe_u32 v203, v154, 4, 4
	v_mul_lo_u32 v206, v203, s1
	v_dot4c_i32_i8_e32 v211, v206, v4
	v_dot4c_i32_i8_e32 v216, v206, v12
	;; [unrolled: 1-line block ×7, first 2 shown]
	v_lshrrev_b32_sdwa v203, v167, v154 dst_sel:DWORD dst_unused:UNUSED_PAD src0_sel:DWORD src1_sel:BYTE_1
	v_dot4c_i32_i8_e32 v216, v206, v14
	v_dot4c_i32_i8_e32 v209, v192, v15
	;; [unrolled: 1-line block ×4, first 2 shown]
	v_mul_lo_u32 v205, v203, s1
	v_and_b32_sdwa v203, v154, v168 dst_sel:DWORD dst_unused:UNUSED_PAD src0_sel:BYTE_1 src1_sel:DWORD
	v_and_b32_e32 v204, 15, v154
	v_dot4c_i32_i8_e32 v216, v206, v15
	v_dot4c_i32_i8_e32 v210, v185, v10
	;; [unrolled: 1-line block ×3, first 2 shown]
	v_mul_lo_u32 v154, v204, v209
	v_mul_lo_u32 v208, v203, v208
	v_dot4c_i32_i8_e32 v216, v205, v8
                                        ; kill: def $vgpr209 killed $sgpr0 killed $exec
	v_dot4c_i32_i8_e32 v210, v186, v11
	v_dot4c_i32_i8_e32 v211, v205, v1
	;; [unrolled: 1-line block ×3, first 2 shown]
	v_mad_u64_u32 v[208:209], s[16:17], v204, v155, v[208:209]
                                        ; kill: def $vgpr155 killed $sgpr0 killed $exec
	v_dot4c_i32_i8_e32 v211, v205, v2
	v_dot4c_i32_i8_e32 v216, v205, v10
	v_mad_u64_u32 v[154:155], s[16:17], v203, v210, v[154:155]
	v_dot4c_i32_i8_e32 v211, v205, v3
	v_dot4c_i32_i8_e32 v216, v205, v11
	v_cvt_f32_i32_e32 v155, v154
	v_cvt_f32_i32_e32 v154, v208
	;; [unrolled: 1-line block ×4, first 2 shown]
	v_pk_mul_f32 v[154:155], v[144:145], v[154:155] op_sel_hi:[0,1]
	v_pk_fma_f32 v[208:209], v[146:147], v[208:209], v[154:155] op_sel:[0,0,1] op_sel_hi:[0,1,0] neg_lo:[1,0,0] neg_hi:[1,0,0]
	v_mov_b32_e32 v154, v153
	v_mov_b32_e32 v155, v152
	v_pk_fma_f32 v[122:123], v[154:155], v[208:209], v[122:123]
	s_waitcnt lgkmcnt(0)
	v_bfe_u32 v208, v202, 4, 4
	v_mul_lo_u32 v211, v208, s1
	v_mov_b32_e32 v152, 0
	v_dot4c_i32_i8_e32 v218, v211, v4
	v_dot4c_i32_i8_e32 v219, v211, v12
	;; [unrolled: 1-line block ×3, first 2 shown]
	v_mov_b32_e32 v153, 0
	v_dot4c_i32_i8_e32 v218, v211, v5
	v_dot4c_i32_i8_e32 v219, v211, v13
	;; [unrolled: 1-line block ×5, first 2 shown]
	v_lshrrev_b32_sdwa v208, v167, v202 dst_sel:DWORD dst_unused:UNUSED_PAD src0_sel:DWORD src1_sel:BYTE_1
	v_dot4c_i32_i8_e32 v219, v211, v14
	v_dot4c_i32_i8_e32 v152, v189, v14
	;; [unrolled: 1-line block ×4, first 2 shown]
	v_mul_lo_u32 v210, v208, s1
	v_dot4c_i32_i8_e32 v219, v211, v15
	v_dot4c_i32_i8_e32 v152, v190, v15
	;; [unrolled: 1-line block ×4, first 2 shown]
	v_and_b32_sdwa v208, v202, v168 dst_sel:DWORD dst_unused:UNUSED_PAD src0_sel:BYTE_1 src1_sel:DWORD
	v_and_b32_e32 v209, 15, v202
	v_dot4c_i32_i8_e32 v219, v210, v8
	v_dot4c_i32_i8_e32 v153, v184, v11
	;; [unrolled: 1-line block ×3, first 2 shown]
	v_mul_lo_u32 v152, v209, v152
	v_mul_lo_u32 v202, v208, v212
	v_dot4c_i32_i8_e32 v219, v210, v9
	v_dot4c_i32_i8_e32 v218, v210, v2
	;; [unrolled: 1-line block ×3, first 2 shown]
	v_mad_u64_u32 v[216:217], s[16:17], v209, v201, v[202:203]
	v_mad_u64_u32 v[152:153], s[16:17], v208, v153, v[152:153]
	ds_read_u16 v201, v200 offset:27122
	v_dot4c_i32_i8_e32 v218, v210, v3
	v_dot4c_i32_i8_e32 v219, v210, v11
	v_cvt_f32_i32_e32 v153, v152
	v_cvt_f32_i32_e32 v152, v216
	;; [unrolled: 1-line block ×4, first 2 shown]
	s_waitcnt lgkmcnt(0)
	v_bfe_u32 v200, v201, 4, 4
	v_pk_mul_f32 v[152:153], v[148:149], v[152:153] op_sel_hi:[0,1]
	v_mul_lo_u32 v212, v200, s1
	v_pk_fma_f32 v[152:153], v[150:151], v[216:217], v[152:153] op_sel:[0,0,1] op_sel_hi:[0,1,0] neg_lo:[1,0,0] neg_hi:[1,0,0]
	v_mov_b32_e32 v218, 0
	v_mov_b32_e32 v219, 0
	v_pk_fma_f32 v[116:117], v[154:155], v[152:153], v[116:117]
	v_mov_b32_e32 v152, 0
	v_dot4c_i32_i8_e32 v218, v212, v4
	v_dot4c_i32_i8_e32 v219, v212, v12
	;; [unrolled: 1-line block ×3, first 2 shown]
	v_mov_b32_e32 v153, 0
	v_dot4c_i32_i8_e32 v218, v212, v5
	v_dot4c_i32_i8_e32 v219, v212, v13
	;; [unrolled: 1-line block ×5, first 2 shown]
	v_lshrrev_b32_sdwa v200, v167, v201 dst_sel:DWORD dst_unused:UNUSED_PAD src0_sel:DWORD src1_sel:BYTE_1
	v_dot4c_i32_i8_e32 v219, v212, v14
	v_dot4c_i32_i8_e32 v152, v196, v14
	;; [unrolled: 1-line block ×4, first 2 shown]
	v_mul_lo_u32 v202, v200, s1
	v_dot4c_i32_i8_e32 v219, v212, v15
	v_dot4c_i32_i8_e32 v152, v197, v15
	v_dot4c_i32_i8_e32 v153, v173, v10
	v_dot4c_i32_i8_e32 v218, v202, v0
	v_and_b32_sdwa v200, v201, v168 dst_sel:DWORD dst_unused:UNUSED_PAD src0_sel:BYTE_1 src1_sel:DWORD
	v_and_b32_e32 v201, 15, v201
	v_dot4c_i32_i8_e32 v219, v202, v8
	v_dot4c_i32_i8_e32 v153, v174, v11
	;; [unrolled: 1-line block ×3, first 2 shown]
	v_mul_lo_u32 v152, v201, v152
	v_mul_lo_u32 v216, v200, v215
	v_dot4c_i32_i8_e32 v219, v202, v9
	v_dot4c_i32_i8_e32 v218, v202, v2
	;; [unrolled: 1-line block ×3, first 2 shown]
	v_mad_u64_u32 v[216:217], s[16:17], v201, v207, v[216:217]
	v_mad_u64_u32 v[152:153], s[16:17], v200, v153, v[152:153]
	v_dot4c_i32_i8_e32 v218, v202, v3
	v_dot4c_i32_i8_e32 v219, v202, v11
	v_cvt_f32_i32_e32 v153, v152
	v_cvt_f32_i32_e32 v152, v216
	v_cvt_f32_i32_e32 v217, v218
	v_cvt_f32_i32_e32 v216, v219
	v_mov_b32_e32 v215, 0
	v_pk_mul_f32 v[152:153], v[140:141], v[152:153] op_sel_hi:[0,1]
	v_dot4c_i32_i8_e32 v215, v178, v12
	v_pk_fma_f32 v[152:153], v[142:143], v[216:217], v[152:153] op_sel:[0,0,1] op_sel_hi:[0,1,0] neg_lo:[1,0,0] neg_hi:[1,0,0]
	v_pk_fma_f32 v[112:113], v[154:155], v[152:153], v[112:113]
	ds_read_u16 v153, v199 offset:28146
	v_mov_b32_e32 v217, 0
	v_mov_b32_e32 v216, 0
	v_dot4c_i32_i8_e32 v215, v175, v13
	v_dot4c_i32_i8_e32 v216, v149, v8
	s_waitcnt lgkmcnt(0)
	v_bfe_u32 v152, v153, 4, 4
	v_mul_lo_u32 v207, v152, s1
	v_dot4c_i32_i8_e32 v217, v207, v4
	v_lshrrev_b32_sdwa v4, v167, v153 dst_sel:DWORD dst_unused:UNUSED_PAD src0_sel:DWORD src1_sel:BYTE_1
	v_mul_lo_u32 v199, v4, s1
	v_mov_b32_e32 v4, 0
	v_dot4c_i32_i8_e32 v217, v207, v5
	v_dot4c_i32_i8_e32 v4, v207, v12
	;; [unrolled: 1-line block ×13, first 2 shown]
	v_and_b32_sdwa v152, v153, v168 dst_sel:DWORD dst_unused:UNUSED_PAD src0_sel:BYTE_1 src1_sel:DWORD
	v_and_b32_e32 v153, 15, v153
	v_dot4c_i32_i8_e32 v4, v199, v8
	v_dot4c_i32_i8_e32 v216, v170, v11
	;; [unrolled: 1-line block ×3, first 2 shown]
	v_mul_lo_u32 v0, v153, v215
	v_mul_lo_u32 v2, v152, v214
	v_dot4c_i32_i8_e32 v4, v199, v9
                                        ; kill: def $vgpr1 killed $sgpr0 killed $exec
	v_dot4c_i32_i8_e32 v217, v199, v3
	v_dot4c_i32_i8_e32 v4, v199, v10
	v_mad_u64_u32 v[2:3], s[16:17], v153, v213, v[2:3]
	v_mad_u64_u32 v[0:1], s[16:17], v152, v216, v[0:1]
	v_dot4c_i32_i8_e32 v4, v199, v11
	v_cvt_f32_i32_e32 v1, v0
	v_cvt_f32_i32_e32 v0, v2
	v_cvt_f32_i32_e32 v3, v217
	v_cvt_f32_i32_e32 v2, v4
	v_mov_b32_e32 v14, 0
	v_pk_mul_f32 v[0:1], v[136:137], v[0:1] op_sel_hi:[0,1]
	v_mov_b32_e32 v214, 0
	v_pk_fma_f32 v[0:1], v[138:139], v[2:3], v[0:1] op_sel:[0,0,1] op_sel_hi:[0,1,0] neg_lo:[1,0,0] neg_hi:[1,0,0]
	v_pk_fma_f32 v[92:93], v[154:155], v[0:1], v[92:93]
	ds_read2_b32 v[8:9], v147 offset0:64 offset1:96
	ds_read_b128 v[0:3], v145 offset:2048
	ds_read_b128 v[4:7], v145 offset:2064
	v_mov_b32_e32 v154, 0
	v_mov_b32_e32 v217, 0
	;; [unrolled: 1-line block ×3, first 2 shown]
	s_waitcnt lgkmcnt(1)
	v_dot4c_i32_i8_e32 v14, v206, v0
	v_dot4c_i32_i8_e32 v154, v211, v0
	;; [unrolled: 1-line block ×13, first 2 shown]
	v_mov_b32_e32 v12, 0
	v_mov_b32_e32 v15, 0
	v_dot4c_i32_i8_e32 v154, v211, v3
	v_mov_b32_e32 v155, 0
	v_mov_b32_e32 v213, 0
	v_dot4c_i32_i8_e32 v214, v212, v3
	;; [unrolled: 3-line block ×3, first 2 shown]
	v_mov_b32_e32 v218, 0
	v_dot4c_i32_i8_e32 v11, v194, v0
	s_waitcnt lgkmcnt(0)
	v_dot4c_i32_i8_e32 v12, v181, v4
	v_dot4c_i32_i8_e32 v14, v205, v4
	;; [unrolled: 1-line block ×47, first 2 shown]
	ds_read_b128 v[4:7], v145 offset:3072
	ds_read_b128 v[0:3], v145 offset:3088
	v_mov_b32_e32 v219, 0
	v_mov_b32_e32 v10, 0
	v_mul_lo_u32 v12, v12, v203
	s_waitcnt lgkmcnt(1)
	v_dot4c_i32_i8_e32 v219, v206, v4
	v_dot4c_i32_i8_e32 v219, v206, v5
	;; [unrolled: 1-line block ×6, first 2 shown]
	s_waitcnt lgkmcnt(0)
	v_dot4c_i32_i8_e32 v220, v181, v0
	v_dot4c_i32_i8_e32 v10, v191, v6
	;; [unrolled: 1-line block ×7, first 2 shown]
                                        ; kill: def $vgpr13 killed $sgpr0 killed $exec
	v_dot4c_i32_i8_e32 v219, v205, v2
	v_dot4c_i32_i8_e32 v220, v186, v3
	v_mul_lo_u32 v10, v10, v204
	v_mad_u64_u32 v[12:13], s[16:17], v11, v204, v[12:13]
                                        ; kill: def $vgpr11 killed $sgpr0 killed $exec
	v_dot4c_i32_i8_e32 v219, v205, v3
	v_mad_u64_u32 v[10:11], s[16:17], v220, v203, v[10:11]
	v_cvt_f32_i32_e32 v11, v10
	v_cvt_f32_i32_e32 v10, v12
	;; [unrolled: 1-line block ×4, first 2 shown]
	v_mov_b32_e32 v14, 0
	v_dot4c_i32_i8_e32 v14, v211, v4
	v_dot4c_i32_i8_e32 v14, v211, v5
	v_pk_mul_f32 v[12:13], v[146:147], v[12:13] op_sel_hi:[0,1]
	v_pk_fma_f32 v[10:11], v[144:145], v[10:11], v[12:13] op_sel_hi:[0,1,1] neg_lo:[0,0,1] neg_hi:[0,0,1]
	v_pk_fma_f32 v[38:39], v[8:9], v[10:11], v[38:39]
	v_mov_b32_e32 v10, 0
	v_dot4c_i32_i8_e32 v10, v193, v4
	v_dot4c_i32_i8_e32 v14, v211, v6
	v_mov_b32_e32 v11, 0
	v_dot4c_i32_i8_e32 v10, v187, v5
	v_dot4c_i32_i8_e32 v14, v211, v7
	;; [unrolled: 1-line block ×11, first 2 shown]
	v_mul_lo_u32 v10, v10, v209
	v_mul_lo_u32 v12, v155, v208
                                        ; kill: def $vgpr13 killed $sgpr0 killed $exec
	v_dot4c_i32_i8_e32 v14, v210, v3
	v_mad_u64_u32 v[12:13], s[16:17], v15, v209, v[12:13]
	v_mad_u64_u32 v[10:11], s[16:17], v11, v208, v[10:11]
	v_cvt_f32_i32_e32 v11, v10
	v_cvt_f32_i32_e32 v10, v12
	;; [unrolled: 1-line block ×4, first 2 shown]
	v_mov_b32_e32 v14, 0
	v_dot4c_i32_i8_e32 v14, v212, v4
	v_dot4c_i32_i8_e32 v14, v212, v5
	v_pk_mul_f32 v[12:13], v[150:151], v[12:13] op_sel_hi:[0,1]
	v_pk_fma_f32 v[10:11], v[148:149], v[10:11], v[12:13] op_sel_hi:[0,1,1] neg_lo:[0,0,1] neg_hi:[0,0,1]
	v_pk_fma_f32 v[36:37], v[8:9], v[10:11], v[36:37]
	v_mov_b32_e32 v10, 0
	v_dot4c_i32_i8_e32 v10, v198, v4
	v_dot4c_i32_i8_e32 v14, v212, v6
	v_mov_b32_e32 v11, 0
	v_dot4c_i32_i8_e32 v10, v195, v5
	v_dot4c_i32_i8_e32 v14, v212, v7
	;; [unrolled: 1-line block ×11, first 2 shown]
	v_mul_lo_u32 v10, v10, v201
	v_mul_lo_u32 v12, v215, v200
                                        ; kill: def $vgpr13 killed $sgpr0 killed $exec
	v_dot4c_i32_i8_e32 v14, v202, v3
	v_mad_u64_u32 v[12:13], s[16:17], v213, v201, v[12:13]
	v_mad_u64_u32 v[10:11], s[16:17], v11, v200, v[10:11]
	v_cvt_f32_i32_e32 v11, v10
	v_cvt_f32_i32_e32 v10, v12
	;; [unrolled: 1-line block ×4, first 2 shown]
	v_mov_b32_e32 v14, 0
	v_mov_b32_e32 v154, 0
	v_mov_b32_e32 v214, 0
	v_pk_mul_f32 v[12:13], v[142:143], v[12:13] op_sel_hi:[0,1]
	v_pk_fma_f32 v[10:11], v[140:141], v[10:11], v[12:13] op_sel_hi:[0,1,1] neg_lo:[0,0,1] neg_hi:[0,0,1]
	v_pk_fma_f32 v[34:35], v[8:9], v[10:11], v[34:35]
	v_mov_b32_e32 v11, 0
	v_dot4c_i32_i8_e32 v11, v207, v4
	v_mov_b32_e32 v10, 0
	v_dot4c_i32_i8_e32 v11, v207, v5
	v_dot4c_i32_i8_e32 v10, v178, v4
	;; [unrolled: 1-line block ×3, first 2 shown]
	v_mov_b32_e32 v4, 0
	v_dot4c_i32_i8_e32 v10, v175, v5
	v_dot4c_i32_i8_e32 v11, v207, v7
	;; [unrolled: 1-line block ×11, first 2 shown]
	v_mul_lo_u32 v0, v10, v153
	v_mul_lo_u32 v2, v218, v152
                                        ; kill: def $vgpr1 killed $sgpr0 killed $exec
	v_dot4c_i32_i8_e32 v11, v199, v3
	v_mad_u64_u32 v[2:3], s[16:17], v216, v153, v[2:3]
	v_mad_u64_u32 v[0:1], s[16:17], v4, v152, v[0:1]
	v_cvt_f32_i32_e32 v1, v0
	v_cvt_f32_i32_e32 v0, v2
	;; [unrolled: 1-line block ×4, first 2 shown]
	v_mov_b32_e32 v217, 0
	v_mov_b32_e32 v11, 0
	;; [unrolled: 1-line block ×3, first 2 shown]
	v_pk_mul_f32 v[2:3], v[138:139], v[2:3] op_sel_hi:[0,1]
	v_pk_fma_f32 v[0:1], v[136:137], v[0:1], v[2:3] op_sel_hi:[0,1,1] neg_lo:[0,0,1] neg_hi:[0,0,1]
	v_pk_fma_f32 v[32:33], v[8:9], v[0:1], v[32:33]
	ds_read2_b32 v[8:9], v147 offset0:128 offset1:160
	ds_read_b128 v[0:3], v145 offset:4096
	ds_read_b128 v[4:7], v145 offset:4112
	v_mov_b32_e32 v15, 0
	v_mov_b32_e32 v155, 0
	;; [unrolled: 1-line block ×3, first 2 shown]
	s_waitcnt lgkmcnt(1)
	v_dot4c_i32_i8_e32 v14, v206, v0
	v_dot4c_i32_i8_e32 v154, v211, v0
	;; [unrolled: 1-line block ×15, first 2 shown]
	v_mov_b32_e32 v215, 0
	v_mov_b32_e32 v216, 0
	v_dot4c_i32_i8_e32 v217, v207, v3
	v_mov_b32_e32 v218, 0
	v_dot4c_i32_i8_e32 v11, v194, v0
	s_waitcnt lgkmcnt(0)
	v_dot4c_i32_i8_e32 v12, v181, v4
	v_dot4c_i32_i8_e32 v14, v205, v4
	;; [unrolled: 1-line block ×47, first 2 shown]
	ds_read_b128 v[4:7], v145 offset:5120
	ds_read_b128 v[0:3], v145 offset:5136
	v_mov_b32_e32 v219, 0
	v_mov_b32_e32 v10, 0
	;; [unrolled: 1-line block ×3, first 2 shown]
	s_waitcnt lgkmcnt(1)
	v_dot4c_i32_i8_e32 v219, v206, v4
	v_dot4c_i32_i8_e32 v219, v206, v5
	;; [unrolled: 1-line block ×6, first 2 shown]
	s_waitcnt lgkmcnt(0)
	v_dot4c_i32_i8_e32 v220, v181, v0
	v_dot4c_i32_i8_e32 v10, v191, v6
	;; [unrolled: 1-line block ×7, first 2 shown]
	v_mul_lo_u32 v12, v12, v203
                                        ; kill: def $vgpr13 killed $sgpr0 killed $exec
	v_dot4c_i32_i8_e32 v219, v205, v2
	v_dot4c_i32_i8_e32 v220, v186, v3
	v_mul_lo_u32 v10, v10, v204
	v_mad_u64_u32 v[12:13], s[16:17], v11, v204, v[12:13]
                                        ; kill: def $vgpr11 killed $sgpr0 killed $exec
	v_dot4c_i32_i8_e32 v219, v205, v3
	v_mad_u64_u32 v[10:11], s[16:17], v220, v203, v[10:11]
	v_cvt_f32_i32_e32 v11, v10
	v_cvt_f32_i32_e32 v10, v12
	;; [unrolled: 1-line block ×4, first 2 shown]
	v_mov_b32_e32 v14, 0
	v_dot4c_i32_i8_e32 v14, v211, v4
	v_dot4c_i32_i8_e32 v14, v211, v5
	v_pk_mul_f32 v[12:13], v[146:147], v[12:13] op_sel_hi:[0,1]
	v_pk_fma_f32 v[10:11], v[144:145], v[10:11], v[12:13] op_sel_hi:[0,1,1] neg_lo:[0,0,1] neg_hi:[0,0,1]
	v_pk_fma_f32 v[30:31], v[8:9], v[10:11], v[30:31]
	v_mov_b32_e32 v10, 0
	v_dot4c_i32_i8_e32 v10, v193, v4
	v_dot4c_i32_i8_e32 v14, v211, v6
	v_mov_b32_e32 v11, 0
	v_dot4c_i32_i8_e32 v10, v187, v5
	v_dot4c_i32_i8_e32 v14, v211, v7
	;; [unrolled: 1-line block ×11, first 2 shown]
	v_mul_lo_u32 v10, v10, v209
	v_mul_lo_u32 v12, v155, v208
                                        ; kill: def $vgpr13 killed $sgpr0 killed $exec
	v_dot4c_i32_i8_e32 v14, v210, v3
	v_mad_u64_u32 v[12:13], s[16:17], v15, v209, v[12:13]
	v_mad_u64_u32 v[10:11], s[16:17], v11, v208, v[10:11]
	v_cvt_f32_i32_e32 v11, v10
	v_cvt_f32_i32_e32 v10, v12
	;; [unrolled: 1-line block ×4, first 2 shown]
	v_mov_b32_e32 v14, 0
	v_dot4c_i32_i8_e32 v14, v212, v4
	v_dot4c_i32_i8_e32 v14, v212, v5
	v_pk_mul_f32 v[12:13], v[150:151], v[12:13] op_sel_hi:[0,1]
	v_pk_fma_f32 v[10:11], v[148:149], v[10:11], v[12:13] op_sel_hi:[0,1,1] neg_lo:[0,0,1] neg_hi:[0,0,1]
	v_pk_fma_f32 v[28:29], v[8:9], v[10:11], v[28:29]
	v_mov_b32_e32 v10, 0
	v_dot4c_i32_i8_e32 v10, v198, v4
	v_dot4c_i32_i8_e32 v14, v212, v6
	v_mov_b32_e32 v11, 0
	v_dot4c_i32_i8_e32 v10, v195, v5
	v_dot4c_i32_i8_e32 v14, v212, v7
	;; [unrolled: 1-line block ×11, first 2 shown]
	v_mul_lo_u32 v10, v10, v201
	v_mul_lo_u32 v12, v215, v200
                                        ; kill: def $vgpr13 killed $sgpr0 killed $exec
	v_dot4c_i32_i8_e32 v14, v202, v3
	v_mad_u64_u32 v[12:13], s[16:17], v213, v201, v[12:13]
	v_mad_u64_u32 v[10:11], s[16:17], v11, v200, v[10:11]
	v_cvt_f32_i32_e32 v11, v10
	v_cvt_f32_i32_e32 v10, v12
	;; [unrolled: 1-line block ×4, first 2 shown]
	v_mov_b32_e32 v213, 0
	v_mov_b32_e32 v215, 0
	;; [unrolled: 1-line block ×3, first 2 shown]
	v_pk_mul_f32 v[12:13], v[142:143], v[12:13] op_sel_hi:[0,1]
	v_pk_fma_f32 v[10:11], v[140:141], v[10:11], v[12:13] op_sel_hi:[0,1,1] neg_lo:[0,0,1] neg_hi:[0,0,1]
	v_pk_fma_f32 v[26:27], v[8:9], v[10:11], v[26:27]
	v_mov_b32_e32 v11, 0
	v_dot4c_i32_i8_e32 v11, v207, v4
	v_mov_b32_e32 v10, 0
	v_dot4c_i32_i8_e32 v11, v207, v5
	v_dot4c_i32_i8_e32 v10, v178, v4
	;; [unrolled: 1-line block ×3, first 2 shown]
	v_mov_b32_e32 v4, 0
	v_dot4c_i32_i8_e32 v10, v175, v5
	v_dot4c_i32_i8_e32 v11, v207, v7
	;; [unrolled: 1-line block ×11, first 2 shown]
	v_mul_lo_u32 v0, v10, v153
	v_mul_lo_u32 v2, v218, v152
                                        ; kill: def $vgpr1 killed $sgpr0 killed $exec
	v_dot4c_i32_i8_e32 v11, v199, v3
	v_mad_u64_u32 v[2:3], s[16:17], v216, v153, v[2:3]
	v_mad_u64_u32 v[0:1], s[16:17], v4, v152, v[0:1]
	v_cvt_f32_i32_e32 v1, v0
	v_cvt_f32_i32_e32 v0, v2
	;; [unrolled: 1-line block ×4, first 2 shown]
	v_mov_b32_e32 v13, 0
	v_mov_b32_e32 v10, 0
	;; [unrolled: 1-line block ×3, first 2 shown]
	v_pk_mul_f32 v[2:3], v[138:139], v[2:3] op_sel_hi:[0,1]
	v_pk_fma_f32 v[0:1], v[136:137], v[0:1], v[2:3] op_sel_hi:[0,1,1] neg_lo:[0,0,1] neg_hi:[0,0,1]
	v_pk_fma_f32 v[24:25], v[8:9], v[0:1], v[24:25]
	ds_read2_b32 v[8:9], v147 offset0:192 offset1:224
	ds_read_b128 v[0:3], v145 offset:6144
	ds_read_b128 v[4:7], v145 offset:6160
	v_mov_b32_e32 v214, 0
	v_mov_b32_e32 v216, 0
	;; [unrolled: 1-line block ×3, first 2 shown]
	s_waitcnt lgkmcnt(1)
	v_dot4c_i32_i8_e32 v213, v206, v0
	v_dot4c_i32_i8_e32 v215, v211, v0
	;; [unrolled: 1-line block ×15, first 2 shown]
	v_mov_b32_e32 v217, 0
	v_mov_b32_e32 v11, 0
	v_dot4c_i32_i8_e32 v10, v207, v3
	v_mov_b32_e32 v12, 0
	v_dot4c_i32_i8_e32 v15, v194, v0
	s_waitcnt lgkmcnt(0)
	v_dot4c_i32_i8_e32 v155, v181, v4
	v_dot4c_i32_i8_e32 v213, v205, v4
	;; [unrolled: 1-line block ×47, first 2 shown]
	ds_read_b128 v[4:7], v145 offset:7168
	ds_read_b128 v[0:3], v145 offset:7184
	v_mov_b32_e32 v154, 0
	s_waitcnt lgkmcnt(1)
	v_dot4c_i32_i8_e32 v154, v194, v4
	v_mov_b32_e32 v194, 0
	v_dot4c_i32_i8_e32 v194, v206, v4
	v_dot4c_i32_i8_e32 v194, v206, v5
	;; [unrolled: 1-line block ×5, first 2 shown]
	v_mov_b32_e32 v188, 0
	s_waitcnt lgkmcnt(0)
	v_dot4c_i32_i8_e32 v188, v181, v0
	v_dot4c_i32_i8_e32 v194, v205, v0
	;; [unrolled: 1-line block ×8, first 2 shown]
	v_mul_lo_u32 v182, v155, v203
	v_dot4c_i32_i8_e32 v188, v186, v3
	v_dot4c_i32_i8_e32 v194, v205, v3
	v_mul_lo_u32 v154, v154, v204
                                        ; kill: def $vgpr155 killed $sgpr0 killed $exec
	v_mad_u64_u32 v[204:205], s[16:17], v15, v204, v[182:183]
	v_mov_b32_e32 v182, 0
	v_mad_u64_u32 v[154:155], s[16:17], v188, v203, v[154:155]
	v_dot4c_i32_i8_e32 v182, v211, v4
	v_cvt_f32_i32_e32 v155, v154
	v_cvt_f32_i32_e32 v154, v204
	;; [unrolled: 1-line block ×4, first 2 shown]
	v_mov_b32_e32 v15, 0
	v_dot4c_i32_i8_e32 v182, v211, v5
	v_dot4c_i32_i8_e32 v15, v193, v4
	;; [unrolled: 1-line block ×3, first 2 shown]
	v_mov_b32_e32 v181, 0
	v_dot4c_i32_i8_e32 v15, v187, v5
	v_dot4c_i32_i8_e32 v182, v211, v7
	;; [unrolled: 1-line block ×6, first 2 shown]
	v_pk_mul_f32 v[204:205], v[146:147], v[204:205] op_sel_hi:[0,1]
	v_dot4c_i32_i8_e32 v15, v190, v7
	v_dot4c_i32_i8_e32 v182, v210, v1
	v_dot4c_i32_i8_e32 v181, v183, v2
	v_pk_fma_f32 v[154:155], v[144:145], v[154:155], v[204:205] op_sel_hi:[0,1,1] neg_lo:[0,0,1] neg_hi:[0,0,1]
	v_dot4c_i32_i8_e32 v182, v210, v2
	v_dot4c_i32_i8_e32 v181, v184, v3
	v_mul_lo_u32 v144, v15, v209
	v_mul_lo_u32 v146, v216, v208
	v_pk_fma_f32 v[22:23], v[8:9], v[154:155], v[22:23]
	v_dot4c_i32_i8_e32 v182, v210, v3
	v_mad_u64_u32 v[154:155], s[16:17], v214, v209, v[146:147]
	v_mad_u64_u32 v[180:181], s[16:17], v181, v208, v[144:145]
	v_cvt_f32_i32_e32 v155, v180
	v_cvt_f32_i32_e32 v181, v182
	;; [unrolled: 1-line block ×4, first 2 shown]
	v_mov_b32_e32 v15, 0
	v_dot4c_i32_i8_e32 v15, v198, v4
	v_pk_mul_f32 v[180:181], v[150:151], v[180:181] op_sel_hi:[0,1]
	v_pk_fma_f32 v[154:155], v[148:149], v[154:155], v[180:181] op_sel_hi:[0,1,1] neg_lo:[0,0,1] neg_hi:[0,0,1]
	v_mov_b32_e32 v148, 0
	v_dot4c_i32_i8_e32 v148, v212, v4
	v_dot4c_i32_i8_e32 v148, v212, v5
	;; [unrolled: 1-line block ×3, first 2 shown]
	v_mov_b32_e32 v150, 0
	v_dot4c_i32_i8_e32 v15, v195, v5
	v_dot4c_i32_i8_e32 v148, v212, v7
	;; [unrolled: 1-line block ×11, first 2 shown]
	v_mul_lo_u32 v144, v15, v201
	v_mul_lo_u32 v146, v217, v200
	v_pk_fma_f32 v[20:21], v[8:9], v[154:155], v[20:21]
	v_dot4c_i32_i8_e32 v148, v202, v3
	v_mad_u64_u32 v[14:15], s[16:17], v14, v201, v[146:147]
	v_mad_u64_u32 v[154:155], s[16:17], v150, v200, v[144:145]
	v_cvt_f32_i32_e32 v15, v154
	v_cvt_f32_i32_e32 v155, v148
	;; [unrolled: 1-line block ×4, first 2 shown]
	v_mov_b32_e32 v13, 0
	v_dot4c_i32_i8_e32 v13, v178, v4
	v_pk_mul_f32 v[154:155], v[142:143], v[154:155] op_sel_hi:[0,1]
	v_pk_fma_f32 v[14:15], v[140:141], v[14:15], v[154:155] op_sel_hi:[0,1,1] neg_lo:[0,0,1] neg_hi:[0,0,1]
	v_pk_fma_f32 v[18:19], v[8:9], v[14:15], v[18:19]
	v_mov_b32_e32 v14, 0
	v_dot4c_i32_i8_e32 v14, v207, v4
	v_dot4c_i32_i8_e32 v14, v207, v5
	v_dot4c_i32_i8_e32 v14, v207, v6
	v_mov_b32_e32 v4, 0
	v_dot4c_i32_i8_e32 v13, v175, v5
	v_dot4c_i32_i8_e32 v14, v207, v7
	;; [unrolled: 1-line block ×11, first 2 shown]
	v_mul_lo_u32 v0, v13, v153
	v_mul_lo_u32 v2, v12, v152
                                        ; kill: def $vgpr1 killed $sgpr0 killed $exec
	v_dot4c_i32_i8_e32 v14, v199, v3
	v_mad_u64_u32 v[2:3], s[16:17], v11, v153, v[2:3]
	v_mad_u64_u32 v[0:1], s[16:17], v4, v152, v[0:1]
	v_cvt_f32_i32_e32 v1, v0
	v_cvt_f32_i32_e32 v0, v2
	;; [unrolled: 1-line block ×4, first 2 shown]
	v_add_u32_e32 v147, 4, v147
	v_add_u32_e32 v145, 32, v145
	s_mov_b32 s16, s11
	v_pk_mul_f32 v[2:3], v[138:139], v[2:3] op_sel_hi:[0,1]
	v_pk_fma_f32 v[0:1], v[136:137], v[0:1], v[2:3] op_sel_hi:[0,1,1] neg_lo:[0,0,1] neg_hi:[0,0,1]
	v_pk_fma_f32 v[16:17], v[8:9], v[0:1], v[16:17]
	s_cbranch_scc1 .LBB128_14
; %bb.15:                               ;   in Loop: Header=BB128_6 Depth=1
	s_barrier
	s_branch .LBB128_5
.LBB128_16:
	v_mov_b32_e32 v1, v43
.LBB128_17:
	v_cmp_gt_u32_e32 vcc, s10, v45
	s_and_saveexec_b64 s[0:1], vcc
	s_cbranch_execz .LBB128_68
; %bb.18:
	v_add_u32_e32 v0, s6, v41
	v_mul_lo_u32 v5, v45, s14
	v_cmp_gt_u32_e32 vcc, s14, v0
	s_and_saveexec_b64 s[2:3], vcc
	s_cbranch_execz .LBB128_20
; %bb.19:
	v_add_u32_e32 v2, v0, v5
	v_mov_b32_e32 v3, 0
	v_lshlrev_b64 v[2:3], 2, v[2:3]
	s_waitcnt lgkmcnt(0)
	v_mov_b32_e32 v4, s13
	v_add_co_u32_e64 v2, s[0:1], s12, v2
	v_addc_co_u32_e64 v3, s[0:1], v4, v3, s[0:1]
	global_store_dword v[2:3], v123, off
.LBB128_20:
	s_or_b64 exec, exec, s[2:3]
	v_add_u32_e32 v2, 32, v0
	v_cmp_gt_u32_e64 s[0:1], s14, v2
	s_and_saveexec_b64 s[4:5], s[0:1]
	s_cbranch_execz .LBB128_22
; %bb.21:
	v_add_u32_e32 v6, v2, v5
	v_mov_b32_e32 v7, 0
	v_lshlrev_b64 v[6:7], 2, v[6:7]
	s_waitcnt lgkmcnt(0)
	v_mov_b32_e32 v3, s13
	v_add_co_u32_e64 v6, s[2:3], s12, v6
	v_addc_co_u32_e64 v7, s[2:3], v3, v7, s[2:3]
	global_store_dword v[6:7], v117, off
.LBB128_22:
	s_or_b64 exec, exec, s[4:5]
	v_add_u32_e32 v3, 64, v0
	v_cmp_gt_u32_e64 s[2:3], s14, v3
	s_and_saveexec_b64 s[6:7], s[2:3]
	;; [unrolled: 15-line block ×3, first 2 shown]
	s_cbranch_execz .LBB128_26
; %bb.25:
	v_add_u32_e32 v6, v4, v5
	v_mov_b32_e32 v7, 0
	v_lshlrev_b64 v[6:7], 2, v[6:7]
	s_waitcnt lgkmcnt(0)
	v_mov_b32_e32 v5, s13
	v_add_co_u32_e64 v6, s[6:7], s12, v6
	v_addc_co_u32_e64 v7, s[6:7], v5, v7, s[6:7]
	global_store_dword v[6:7], v93, off
.LBB128_26:
	s_or_b64 exec, exec, s[8:9]
	v_add3_u32 v5, v1, s15, 8
	v_cmp_gt_u32_e64 s[6:7], s10, v5
	s_and_b64 exec, exec, s[6:7]
	s_cbranch_execz .LBB128_68
; %bb.27:
	v_mul_lo_u32 v5, v5, s14
	s_and_saveexec_b64 s[8:9], vcc
	s_cbranch_execnz .LBB128_69
; %bb.28:
	s_or_b64 exec, exec, s[8:9]
	s_and_saveexec_b64 s[8:9], s[0:1]
	s_cbranch_execnz .LBB128_70
.LBB128_29:
	s_or_b64 exec, exec, s[8:9]
	s_and_saveexec_b64 s[8:9], s[2:3]
	s_cbranch_execnz .LBB128_71
.LBB128_30:
	s_or_b64 exec, exec, s[8:9]
	s_and_saveexec_b64 s[8:9], s[4:5]
	s_cbranch_execz .LBB128_32
.LBB128_31:
	v_add_u32_e32 v6, v5, v4
	v_mov_b32_e32 v7, 0
	v_lshlrev_b64 v[6:7], 2, v[6:7]
	s_waitcnt lgkmcnt(0)
	v_mov_b32_e32 v5, s13
	v_add_co_u32_e64 v6, s[6:7], s12, v6
	v_addc_co_u32_e64 v7, s[6:7], v5, v7, s[6:7]
	global_store_dword v[6:7], v92, off
.LBB128_32:
	s_or_b64 exec, exec, s[8:9]
	v_add3_u32 v5, v1, s15, 16
	v_cmp_gt_u32_e64 s[6:7], s10, v5
	s_and_b64 exec, exec, s[6:7]
	s_cbranch_execz .LBB128_68
; %bb.33:
	v_mul_lo_u32 v5, v5, s14
	s_and_saveexec_b64 s[8:9], vcc
	s_cbranch_execnz .LBB128_72
; %bb.34:
	s_or_b64 exec, exec, s[8:9]
	s_and_saveexec_b64 s[8:9], s[0:1]
	s_cbranch_execnz .LBB128_73
.LBB128_35:
	s_or_b64 exec, exec, s[8:9]
	s_and_saveexec_b64 s[8:9], s[2:3]
	s_cbranch_execnz .LBB128_74
.LBB128_36:
	s_or_b64 exec, exec, s[8:9]
	s_and_saveexec_b64 s[8:9], s[4:5]
	s_cbranch_execz .LBB128_38
.LBB128_37:
	v_add_u32_e32 v6, v5, v4
	v_mov_b32_e32 v7, 0
	v_lshlrev_b64 v[6:7], 2, v[6:7]
	s_waitcnt lgkmcnt(0)
	v_mov_b32_e32 v5, s13
	v_add_co_u32_e64 v6, s[6:7], s12, v6
	v_addc_co_u32_e64 v7, s[6:7], v5, v7, s[6:7]
	global_store_dword v[6:7], v32, off
.LBB128_38:
	s_or_b64 exec, exec, s[8:9]
	v_add3_u32 v5, v1, s15, 24
	v_cmp_gt_u32_e64 s[6:7], s10, v5
	s_and_b64 exec, exec, s[6:7]
	s_cbranch_execz .LBB128_68
; %bb.39:
	v_mul_lo_u32 v5, v5, s14
	s_and_saveexec_b64 s[8:9], vcc
	s_cbranch_execnz .LBB128_75
; %bb.40:
	s_or_b64 exec, exec, s[8:9]
	s_and_saveexec_b64 s[8:9], s[0:1]
	s_cbranch_execnz .LBB128_76
.LBB128_41:
	s_or_b64 exec, exec, s[8:9]
	s_and_saveexec_b64 s[8:9], s[2:3]
	s_cbranch_execnz .LBB128_77
.LBB128_42:
	s_or_b64 exec, exec, s[8:9]
	s_and_saveexec_b64 s[8:9], s[4:5]
	s_cbranch_execz .LBB128_44
.LBB128_43:
	v_add_u32_e32 v6, v5, v4
	v_mov_b32_e32 v7, 0
	v_lshlrev_b64 v[6:7], 2, v[6:7]
	s_waitcnt lgkmcnt(0)
	v_mov_b32_e32 v5, s13
	v_add_co_u32_e64 v6, s[6:7], s12, v6
	v_addc_co_u32_e64 v7, s[6:7], v5, v7, s[6:7]
	global_store_dword v[6:7], v33, off
.LBB128_44:
	s_or_b64 exec, exec, s[8:9]
	v_add3_u32 v5, v1, s15, 32
	v_cmp_gt_u32_e64 s[6:7], s10, v5
	s_and_b64 exec, exec, s[6:7]
	s_cbranch_execz .LBB128_68
; %bb.45:
	v_mul_lo_u32 v5, v5, s14
	s_and_saveexec_b64 s[8:9], vcc
	s_cbranch_execnz .LBB128_78
; %bb.46:
	s_or_b64 exec, exec, s[8:9]
	s_and_saveexec_b64 s[8:9], s[0:1]
	s_cbranch_execnz .LBB128_79
.LBB128_47:
	s_or_b64 exec, exec, s[8:9]
	s_and_saveexec_b64 s[8:9], s[2:3]
	s_cbranch_execnz .LBB128_80
.LBB128_48:
	s_or_b64 exec, exec, s[8:9]
	s_and_saveexec_b64 s[8:9], s[4:5]
	s_cbranch_execz .LBB128_50
.LBB128_49:
	v_add_u32_e32 v6, v5, v4
	v_mov_b32_e32 v7, 0
	v_lshlrev_b64 v[6:7], 2, v[6:7]
	s_waitcnt lgkmcnt(0)
	v_mov_b32_e32 v5, s13
	v_add_co_u32_e64 v6, s[6:7], s12, v6
	v_addc_co_u32_e64 v7, s[6:7], v5, v7, s[6:7]
	global_store_dword v[6:7], v24, off
.LBB128_50:
	s_or_b64 exec, exec, s[8:9]
	v_add3_u32 v5, v1, s15, 40
	v_cmp_gt_u32_e64 s[6:7], s10, v5
	s_and_b64 exec, exec, s[6:7]
	s_cbranch_execz .LBB128_68
; %bb.51:
	v_mul_lo_u32 v5, v5, s14
	s_and_saveexec_b64 s[8:9], vcc
	s_cbranch_execnz .LBB128_81
; %bb.52:
	s_or_b64 exec, exec, s[8:9]
	s_and_saveexec_b64 s[8:9], s[0:1]
	s_cbranch_execnz .LBB128_82
.LBB128_53:
	s_or_b64 exec, exec, s[8:9]
	s_and_saveexec_b64 s[8:9], s[2:3]
	s_cbranch_execnz .LBB128_83
.LBB128_54:
	s_or_b64 exec, exec, s[8:9]
	s_and_saveexec_b64 s[8:9], s[4:5]
	s_cbranch_execz .LBB128_56
.LBB128_55:
	v_add_u32_e32 v6, v5, v4
	v_mov_b32_e32 v7, 0
	v_lshlrev_b64 v[6:7], 2, v[6:7]
	s_waitcnt lgkmcnt(0)
	v_mov_b32_e32 v5, s13
	v_add_co_u32_e64 v6, s[6:7], s12, v6
	v_addc_co_u32_e64 v7, s[6:7], v5, v7, s[6:7]
	global_store_dword v[6:7], v25, off
.LBB128_56:
	s_or_b64 exec, exec, s[8:9]
	v_add3_u32 v5, v1, s15, 48
	v_cmp_gt_u32_e64 s[6:7], s10, v5
	s_and_b64 exec, exec, s[6:7]
	s_cbranch_execz .LBB128_68
; %bb.57:
	v_mul_lo_u32 v5, v5, s14
	s_and_saveexec_b64 s[8:9], vcc
	s_cbranch_execnz .LBB128_84
; %bb.58:
	s_or_b64 exec, exec, s[8:9]
	s_and_saveexec_b64 s[8:9], s[0:1]
	s_cbranch_execnz .LBB128_85
.LBB128_59:
	s_or_b64 exec, exec, s[8:9]
	s_and_saveexec_b64 s[8:9], s[2:3]
	s_cbranch_execnz .LBB128_86
.LBB128_60:
	s_or_b64 exec, exec, s[8:9]
	s_and_saveexec_b64 s[8:9], s[4:5]
	s_cbranch_execz .LBB128_62
.LBB128_61:
	v_add_u32_e32 v6, v5, v4
	v_mov_b32_e32 v7, 0
	v_lshlrev_b64 v[6:7], 2, v[6:7]
	s_waitcnt lgkmcnt(0)
	v_mov_b32_e32 v5, s13
	v_add_co_u32_e64 v6, s[6:7], s12, v6
	v_addc_co_u32_e64 v7, s[6:7], v5, v7, s[6:7]
	global_store_dword v[6:7], v16, off
.LBB128_62:
	s_or_b64 exec, exec, s[8:9]
	v_add3_u32 v1, v1, s15, 56
	v_cmp_gt_u32_e64 s[6:7], s10, v1
	s_and_b64 exec, exec, s[6:7]
	s_cbranch_execz .LBB128_68
; %bb.63:
	v_mul_lo_u32 v1, v1, s14
	s_and_saveexec_b64 s[6:7], vcc
	s_cbranch_execnz .LBB128_87
; %bb.64:
	s_or_b64 exec, exec, s[6:7]
	s_and_saveexec_b64 s[6:7], s[0:1]
	s_cbranch_execnz .LBB128_88
.LBB128_65:
	s_or_b64 exec, exec, s[6:7]
	s_and_saveexec_b64 s[0:1], s[2:3]
	s_cbranch_execnz .LBB128_89
.LBB128_66:
	s_or_b64 exec, exec, s[0:1]
	s_and_b64 exec, exec, s[4:5]
	s_cbranch_execz .LBB128_68
.LBB128_67:
	v_add_u32_e32 v0, v1, v4
	v_mov_b32_e32 v1, 0
	v_lshlrev_b64 v[0:1], 2, v[0:1]
	s_waitcnt lgkmcnt(0)
	v_mov_b32_e32 v2, s13
	v_add_co_u32_e32 v0, vcc, s12, v0
	v_addc_co_u32_e32 v1, vcc, v2, v1, vcc
	global_store_dword v[0:1], v17, off
.LBB128_68:
	s_endpgm
.LBB128_69:
	v_add_u32_e32 v6, v5, v0
	v_mov_b32_e32 v7, 0
	v_lshlrev_b64 v[6:7], 2, v[6:7]
	s_waitcnt lgkmcnt(0)
	v_mov_b32_e32 v8, s13
	v_add_co_u32_e64 v6, s[6:7], s12, v6
	v_addc_co_u32_e64 v7, s[6:7], v8, v7, s[6:7]
	global_store_dword v[6:7], v122, off
	s_or_b64 exec, exec, s[8:9]
	s_and_saveexec_b64 s[8:9], s[0:1]
	s_cbranch_execz .LBB128_29
.LBB128_70:
	v_add_u32_e32 v6, v5, v2
	v_mov_b32_e32 v7, 0
	v_lshlrev_b64 v[6:7], 2, v[6:7]
	s_waitcnt lgkmcnt(0)
	v_mov_b32_e32 v8, s13
	v_add_co_u32_e64 v6, s[6:7], s12, v6
	v_addc_co_u32_e64 v7, s[6:7], v8, v7, s[6:7]
	global_store_dword v[6:7], v116, off
	s_or_b64 exec, exec, s[8:9]
	s_and_saveexec_b64 s[8:9], s[2:3]
	s_cbranch_execz .LBB128_30
.LBB128_71:
	v_add_u32_e32 v6, v5, v3
	v_mov_b32_e32 v7, 0
	v_lshlrev_b64 v[6:7], 2, v[6:7]
	s_waitcnt lgkmcnt(0)
	v_mov_b32_e32 v8, s13
	v_add_co_u32_e64 v6, s[6:7], s12, v6
	v_addc_co_u32_e64 v7, s[6:7], v8, v7, s[6:7]
	global_store_dword v[6:7], v112, off
	s_or_b64 exec, exec, s[8:9]
	s_and_saveexec_b64 s[8:9], s[4:5]
	s_cbranch_execnz .LBB128_31
	s_branch .LBB128_32
.LBB128_72:
	v_add_u32_e32 v6, v5, v0
	v_mov_b32_e32 v7, 0
	v_lshlrev_b64 v[6:7], 2, v[6:7]
	s_waitcnt lgkmcnt(0)
	v_mov_b32_e32 v8, s13
	v_add_co_u32_e64 v6, s[6:7], s12, v6
	v_addc_co_u32_e64 v7, s[6:7], v8, v7, s[6:7]
	global_store_dword v[6:7], v38, off
	s_or_b64 exec, exec, s[8:9]
	s_and_saveexec_b64 s[8:9], s[0:1]
	s_cbranch_execz .LBB128_35
.LBB128_73:
	v_add_u32_e32 v6, v5, v2
	v_mov_b32_e32 v7, 0
	v_lshlrev_b64 v[6:7], 2, v[6:7]
	s_waitcnt lgkmcnt(0)
	v_mov_b32_e32 v8, s13
	v_add_co_u32_e64 v6, s[6:7], s12, v6
	v_addc_co_u32_e64 v7, s[6:7], v8, v7, s[6:7]
	global_store_dword v[6:7], v36, off
	s_or_b64 exec, exec, s[8:9]
	s_and_saveexec_b64 s[8:9], s[2:3]
	s_cbranch_execz .LBB128_36
.LBB128_74:
	v_add_u32_e32 v6, v5, v3
	v_mov_b32_e32 v7, 0
	v_lshlrev_b64 v[6:7], 2, v[6:7]
	s_waitcnt lgkmcnt(0)
	v_mov_b32_e32 v8, s13
	v_add_co_u32_e64 v6, s[6:7], s12, v6
	v_addc_co_u32_e64 v7, s[6:7], v8, v7, s[6:7]
	global_store_dword v[6:7], v34, off
	s_or_b64 exec, exec, s[8:9]
	s_and_saveexec_b64 s[8:9], s[4:5]
	s_cbranch_execnz .LBB128_37
	s_branch .LBB128_38
.LBB128_75:
	v_add_u32_e32 v6, v5, v0
	v_mov_b32_e32 v7, 0
	v_lshlrev_b64 v[6:7], 2, v[6:7]
	s_waitcnt lgkmcnt(0)
	v_mov_b32_e32 v8, s13
	v_add_co_u32_e64 v6, s[6:7], s12, v6
	v_addc_co_u32_e64 v7, s[6:7], v8, v7, s[6:7]
	global_store_dword v[6:7], v39, off
	s_or_b64 exec, exec, s[8:9]
	s_and_saveexec_b64 s[8:9], s[0:1]
	s_cbranch_execz .LBB128_41
.LBB128_76:
	v_add_u32_e32 v6, v5, v2
	v_mov_b32_e32 v7, 0
	v_lshlrev_b64 v[6:7], 2, v[6:7]
	s_waitcnt lgkmcnt(0)
	v_mov_b32_e32 v8, s13
	v_add_co_u32_e64 v6, s[6:7], s12, v6
	v_addc_co_u32_e64 v7, s[6:7], v8, v7, s[6:7]
	global_store_dword v[6:7], v37, off
	s_or_b64 exec, exec, s[8:9]
	s_and_saveexec_b64 s[8:9], s[2:3]
	s_cbranch_execz .LBB128_42
.LBB128_77:
	v_add_u32_e32 v6, v5, v3
	v_mov_b32_e32 v7, 0
	v_lshlrev_b64 v[6:7], 2, v[6:7]
	s_waitcnt lgkmcnt(0)
	v_mov_b32_e32 v8, s13
	v_add_co_u32_e64 v6, s[6:7], s12, v6
	v_addc_co_u32_e64 v7, s[6:7], v8, v7, s[6:7]
	global_store_dword v[6:7], v35, off
	s_or_b64 exec, exec, s[8:9]
	s_and_saveexec_b64 s[8:9], s[4:5]
	s_cbranch_execnz .LBB128_43
	s_branch .LBB128_44
.LBB128_78:
	v_add_u32_e32 v6, v5, v0
	v_mov_b32_e32 v7, 0
	v_lshlrev_b64 v[6:7], 2, v[6:7]
	s_waitcnt lgkmcnt(0)
	v_mov_b32_e32 v8, s13
	v_add_co_u32_e64 v6, s[6:7], s12, v6
	v_addc_co_u32_e64 v7, s[6:7], v8, v7, s[6:7]
	global_store_dword v[6:7], v30, off
	s_or_b64 exec, exec, s[8:9]
	s_and_saveexec_b64 s[8:9], s[0:1]
	s_cbranch_execz .LBB128_47
.LBB128_79:
	v_add_u32_e32 v6, v5, v2
	v_mov_b32_e32 v7, 0
	v_lshlrev_b64 v[6:7], 2, v[6:7]
	s_waitcnt lgkmcnt(0)
	v_mov_b32_e32 v8, s13
	v_add_co_u32_e64 v6, s[6:7], s12, v6
	v_addc_co_u32_e64 v7, s[6:7], v8, v7, s[6:7]
	global_store_dword v[6:7], v28, off
	s_or_b64 exec, exec, s[8:9]
	s_and_saveexec_b64 s[8:9], s[2:3]
	s_cbranch_execz .LBB128_48
.LBB128_80:
	v_add_u32_e32 v6, v5, v3
	v_mov_b32_e32 v7, 0
	v_lshlrev_b64 v[6:7], 2, v[6:7]
	s_waitcnt lgkmcnt(0)
	v_mov_b32_e32 v8, s13
	v_add_co_u32_e64 v6, s[6:7], s12, v6
	v_addc_co_u32_e64 v7, s[6:7], v8, v7, s[6:7]
	global_store_dword v[6:7], v26, off
	s_or_b64 exec, exec, s[8:9]
	s_and_saveexec_b64 s[8:9], s[4:5]
	s_cbranch_execnz .LBB128_49
	s_branch .LBB128_50
.LBB128_81:
	v_add_u32_e32 v6, v5, v0
	v_mov_b32_e32 v7, 0
	v_lshlrev_b64 v[6:7], 2, v[6:7]
	s_waitcnt lgkmcnt(0)
	v_mov_b32_e32 v8, s13
	v_add_co_u32_e64 v6, s[6:7], s12, v6
	v_addc_co_u32_e64 v7, s[6:7], v8, v7, s[6:7]
	global_store_dword v[6:7], v31, off
	s_or_b64 exec, exec, s[8:9]
	s_and_saveexec_b64 s[8:9], s[0:1]
	s_cbranch_execz .LBB128_53
.LBB128_82:
	v_add_u32_e32 v6, v5, v2
	v_mov_b32_e32 v7, 0
	v_lshlrev_b64 v[6:7], 2, v[6:7]
	s_waitcnt lgkmcnt(0)
	v_mov_b32_e32 v8, s13
	v_add_co_u32_e64 v6, s[6:7], s12, v6
	v_addc_co_u32_e64 v7, s[6:7], v8, v7, s[6:7]
	global_store_dword v[6:7], v29, off
	s_or_b64 exec, exec, s[8:9]
	s_and_saveexec_b64 s[8:9], s[2:3]
	s_cbranch_execz .LBB128_54
.LBB128_83:
	v_add_u32_e32 v6, v5, v3
	v_mov_b32_e32 v7, 0
	v_lshlrev_b64 v[6:7], 2, v[6:7]
	s_waitcnt lgkmcnt(0)
	v_mov_b32_e32 v8, s13
	v_add_co_u32_e64 v6, s[6:7], s12, v6
	v_addc_co_u32_e64 v7, s[6:7], v8, v7, s[6:7]
	global_store_dword v[6:7], v27, off
	s_or_b64 exec, exec, s[8:9]
	s_and_saveexec_b64 s[8:9], s[4:5]
	s_cbranch_execnz .LBB128_55
	s_branch .LBB128_56
.LBB128_84:
	v_add_u32_e32 v6, v5, v0
	v_mov_b32_e32 v7, 0
	v_lshlrev_b64 v[6:7], 2, v[6:7]
	s_waitcnt lgkmcnt(0)
	v_mov_b32_e32 v8, s13
	v_add_co_u32_e64 v6, s[6:7], s12, v6
	v_addc_co_u32_e64 v7, s[6:7], v8, v7, s[6:7]
	global_store_dword v[6:7], v22, off
	s_or_b64 exec, exec, s[8:9]
	s_and_saveexec_b64 s[8:9], s[0:1]
	s_cbranch_execz .LBB128_59
.LBB128_85:
	v_add_u32_e32 v6, v5, v2
	v_mov_b32_e32 v7, 0
	v_lshlrev_b64 v[6:7], 2, v[6:7]
	s_waitcnt lgkmcnt(0)
	v_mov_b32_e32 v8, s13
	v_add_co_u32_e64 v6, s[6:7], s12, v6
	v_addc_co_u32_e64 v7, s[6:7], v8, v7, s[6:7]
	global_store_dword v[6:7], v20, off
	s_or_b64 exec, exec, s[8:9]
	s_and_saveexec_b64 s[8:9], s[2:3]
	s_cbranch_execz .LBB128_60
.LBB128_86:
	v_add_u32_e32 v6, v5, v3
	v_mov_b32_e32 v7, 0
	v_lshlrev_b64 v[6:7], 2, v[6:7]
	s_waitcnt lgkmcnt(0)
	v_mov_b32_e32 v8, s13
	v_add_co_u32_e64 v6, s[6:7], s12, v6
	v_addc_co_u32_e64 v7, s[6:7], v8, v7, s[6:7]
	global_store_dword v[6:7], v18, off
	s_or_b64 exec, exec, s[8:9]
	s_and_saveexec_b64 s[8:9], s[4:5]
	s_cbranch_execnz .LBB128_61
	s_branch .LBB128_62
.LBB128_87:
	v_add_u32_e32 v6, v1, v0
	v_mov_b32_e32 v7, 0
	v_lshlrev_b64 v[6:7], 2, v[6:7]
	s_waitcnt lgkmcnt(0)
	v_mov_b32_e32 v0, s13
	v_add_co_u32_e32 v6, vcc, s12, v6
	v_addc_co_u32_e32 v7, vcc, v0, v7, vcc
	global_store_dword v[6:7], v23, off
	s_or_b64 exec, exec, s[6:7]
	s_and_saveexec_b64 s[6:7], s[0:1]
	s_cbranch_execz .LBB128_65
.LBB128_88:
	v_add_u32_e32 v6, v1, v2
	v_mov_b32_e32 v7, 0
	v_lshlrev_b64 v[6:7], 2, v[6:7]
	s_waitcnt lgkmcnt(0)
	v_mov_b32_e32 v0, s13
	v_add_co_u32_e32 v6, vcc, s12, v6
	v_addc_co_u32_e32 v7, vcc, v0, v7, vcc
	global_store_dword v[6:7], v21, off
	s_or_b64 exec, exec, s[6:7]
	s_and_saveexec_b64 s[0:1], s[2:3]
	s_cbranch_execz .LBB128_66
.LBB128_89:
	v_add_u32_e32 v2, v1, v3
	v_mov_b32_e32 v3, 0
	v_lshlrev_b64 v[2:3], 2, v[2:3]
	s_waitcnt lgkmcnt(0)
	v_mov_b32_e32 v0, s13
	v_add_co_u32_e32 v2, vcc, s12, v2
	v_addc_co_u32_e32 v3, vcc, v0, v3, vcc
	global_store_dword v[2:3], v19, off
	s_or_b64 exec, exec, s[0:1]
	s_and_b64 exec, exec, s[4:5]
	s_cbranch_execnz .LBB128_67
	s_branch .LBB128_68
	.section	.rodata,"a",@progbits
	.p2align	6, 0x0
	.amdhsa_kernel _ZL12mul_mat_q2_KIfLb1EEvPKvS1_PT_iiiii
		.amdhsa_group_segment_fixed_size 31392
		.amdhsa_private_segment_fixed_size 0
		.amdhsa_kernarg_size 44
		.amdhsa_user_sgpr_count 6
		.amdhsa_user_sgpr_private_segment_buffer 1
		.amdhsa_user_sgpr_dispatch_ptr 0
		.amdhsa_user_sgpr_queue_ptr 0
		.amdhsa_user_sgpr_kernarg_segment_ptr 1
		.amdhsa_user_sgpr_dispatch_id 0
		.amdhsa_user_sgpr_flat_scratch_init 0
		.amdhsa_user_sgpr_kernarg_preload_length 0
		.amdhsa_user_sgpr_kernarg_preload_offset 0
		.amdhsa_user_sgpr_private_segment_size 0
		.amdhsa_uses_dynamic_stack 0
		.amdhsa_system_sgpr_private_segment_wavefront_offset 0
		.amdhsa_system_sgpr_workgroup_id_x 1
		.amdhsa_system_sgpr_workgroup_id_y 1
		.amdhsa_system_sgpr_workgroup_id_z 0
		.amdhsa_system_sgpr_workgroup_info 0
		.amdhsa_system_vgpr_workitem_id 1
		.amdhsa_next_free_vgpr 223
		.amdhsa_next_free_sgpr 22
		.amdhsa_accum_offset 224
		.amdhsa_reserve_vcc 1
		.amdhsa_reserve_flat_scratch 0
		.amdhsa_float_round_mode_32 0
		.amdhsa_float_round_mode_16_64 0
		.amdhsa_float_denorm_mode_32 3
		.amdhsa_float_denorm_mode_16_64 3
		.amdhsa_dx10_clamp 1
		.amdhsa_ieee_mode 1
		.amdhsa_fp16_overflow 0
		.amdhsa_tg_split 0
		.amdhsa_exception_fp_ieee_invalid_op 0
		.amdhsa_exception_fp_denorm_src 0
		.amdhsa_exception_fp_ieee_div_zero 0
		.amdhsa_exception_fp_ieee_overflow 0
		.amdhsa_exception_fp_ieee_underflow 0
		.amdhsa_exception_fp_ieee_inexact 0
		.amdhsa_exception_int_div_zero 0
	.end_amdhsa_kernel
	.section	.text._ZL12mul_mat_q2_KIfLb1EEvPKvS1_PT_iiiii,"axG",@progbits,_ZL12mul_mat_q2_KIfLb1EEvPKvS1_PT_iiiii,comdat
.Lfunc_end128:
	.size	_ZL12mul_mat_q2_KIfLb1EEvPKvS1_PT_iiiii, .Lfunc_end128-_ZL12mul_mat_q2_KIfLb1EEvPKvS1_PT_iiiii
                                        ; -- End function
	.section	.AMDGPU.csdata,"",@progbits
; Kernel info:
; codeLenInByte = 25808
; NumSgprs: 26
; NumVgprs: 223
; NumAgprs: 0
; TotalNumVgprs: 223
; ScratchSize: 0
; MemoryBound: 0
; FloatMode: 240
; IeeeMode: 1
; LDSByteSize: 31392 bytes/workgroup (compile time only)
; SGPRBlocks: 3
; VGPRBlocks: 27
; NumSGPRsForWavesPerEU: 26
; NumVGPRsForWavesPerEU: 223
; AccumOffset: 224
; Occupancy: 2
; WaveLimiterHint : 0
; COMPUTE_PGM_RSRC2:SCRATCH_EN: 0
; COMPUTE_PGM_RSRC2:USER_SGPR: 6
; COMPUTE_PGM_RSRC2:TRAP_HANDLER: 0
; COMPUTE_PGM_RSRC2:TGID_X_EN: 1
; COMPUTE_PGM_RSRC2:TGID_Y_EN: 1
; COMPUTE_PGM_RSRC2:TGID_Z_EN: 0
; COMPUTE_PGM_RSRC2:TIDIG_COMP_CNT: 1
; COMPUTE_PGM_RSRC3_GFX90A:ACCUM_OFFSET: 55
; COMPUTE_PGM_RSRC3_GFX90A:TG_SPLIT: 0
	.section	.text._ZL12mul_mat_q3_KIfLb0EEvPKvS1_PT_iiiii,"axG",@progbits,_ZL12mul_mat_q3_KIfLb0EEvPKvS1_PT_iiiii,comdat
	.globl	_ZL12mul_mat_q3_KIfLb0EEvPKvS1_PT_iiiii ; -- Begin function _ZL12mul_mat_q3_KIfLb0EEvPKvS1_PT_iiiii
	.p2align	8
	.type	_ZL12mul_mat_q3_KIfLb0EEvPKvS1_PT_iiiii,@function
_ZL12mul_mat_q3_KIfLb0EEvPKvS1_PT_iiiii: ; @_ZL12mul_mat_q3_KIfLb0EEvPKvS1_PT_iiiii
; %bb.0:
	s_load_dword s14, s[4:5], 0x18
	s_load_dwordx4 s[8:11], s[4:5], 0x20
	s_waitcnt lgkmcnt(0)
	s_lshl_b32 s11, s7, 6
	v_bfe_u32 v43, v0, 10, 10
	s_cmpk_gt_i32 s14, 0xff
	s_cbranch_scc1 .LBB129_2
; %bb.1:
	v_bfe_u32 v1, v0, 10, 10
	v_and_b32_e32 v39, 0x3ff, v0
	v_add_u32_e32 v79, s11, v1
	s_mov_b64 s[0:1], 0
	s_mov_b32 s2, 0
	s_branch .LBB129_3
.LBB129_2:
	s_mov_b64 s[0:1], -1
                                        ; implicit-def: $sgpr2
                                        ; implicit-def: $vgpr1
                                        ; implicit-def: $vgpr39
                                        ; implicit-def: $vgpr79
.LBB129_3:
	s_load_dwordx2 s[12:13], s[4:5], 0x10
	s_lshl_b32 s6, s6, 7
	s_andn2_b64 vcc, exec, s[0:1]
	v_mov_b32_e32 v9, s2
	v_mov_b32_e32 v17, s2
	;; [unrolled: 1-line block ×32, first 2 shown]
	s_cbranch_vccnz .LBB129_17
; %bb.4:
	s_load_dwordx4 s[0:3], s[4:5], 0x0
	s_ashr_i32 s4, s14, 31
	s_lshr_b32 s4, s4, 24
	s_add_i32 s14, s14, s4
	s_ashr_i32 s5, s9, 31
	s_ashr_i32 s4, s14, 8
	s_lshr_b32 s5, s5, 27
	s_add_i32 s5, s9, s5
	s_mul_i32 s7, s4, s6
	s_ashr_i32 s15, s5, 5
	s_mul_hi_i32 s9, s7, 0x6e
	s_mulk_i32 s7, 0x6e
	s_waitcnt lgkmcnt(0)
	s_add_u32 s0, s0, s7
	s_addc_u32 s1, s1, s9
	v_and_b32_e32 v39, 0x3ff, v0
	s_lshl_b32 s9, s4, 3
	v_mov_b32_e32 v2, s9
	v_lshlrev_b32_e32 v94, 4, v43
	v_lshrrev_b32_e32 v4, 1, v39
	v_mad_i32_i24 v14, s4, v43, v2
	v_and_b32_e32 v44, 1, v39
	v_add_u32_e32 v2, v4, v94
	v_and_b32_e32 v3, 0x7f, v2
	v_lshlrev_b32_e32 v5, 2, v44
	v_lshrrev_b32_e32 v2, 2, v2
	v_mul_i32_i24_e32 v46, s4, v3
	v_lshl_or_b32 v3, v3, 3, v5
	v_and_b32_e32 v2, 28, v2
	s_mov_b32 s16, 0x9380
	v_lshrrev_b32_e32 v8, 4, v39
	v_add3_u32 v95, v3, v2, s16
	v_lshlrev_b32_e32 v2, 1, v43
	v_add_u32_e32 v3, v8, v2
	v_add_u16_e32 v2, v8, v2
	v_and_b32_e32 v0, 15, v39
	v_lshrrev_b16_e32 v2, 1, v2
	v_lshlrev_b32_e32 v10, 2, v0
	v_lshlrev_b32_e32 v2, 2, v2
	s_movk_i32 s17, 0x4200
	s_lshl_b32 s18, s4, 4
	v_add3_u32 v5, v2, v10, s17
	v_add_u32_e32 v2, 16, v3
	v_mov_b32_e32 v7, s18
	v_mad_i32_i24 v54, s4, v3, v7
	v_lshlrev_b32_e32 v7, 1, v2
	v_lshlrev_b32_e32 v9, 6, v2
	v_add_u32_e32 v2, 32, v3
	v_lshlrev_b32_e32 v11, 1, v2
	v_lshlrev_b32_e32 v13, 6, v2
	v_add_u32_e32 v2, 48, v3
	;; [unrolled: 3-line block ×6, first 2 shown]
	v_cmp_lt_u32_e32 vcc, 7, v0
	v_and_b32_e32 v0, 7, v39
	v_mul_i32_i24_e32 v52, s4, v3
	v_lshlrev_b32_e32 v6, 6, v3
	v_lshlrev_b32_e32 v3, 1, v2
	v_cndmask_b32_e64 v48, 0, 1, vcc
	v_lshlrev_b32_e32 v50, 2, v0
	v_add_u32_e32 v56, s18, v54
	v_and_b32_e32 v3, 0xffc, v3
	v_cmp_lt_u32_e32 vcc, 3, v0
	v_and_b32_e32 v0, 3, v39
	v_add_u32_e32 v58, s18, v56
	v_add3_u32 v31, v3, v10, s17
	v_cndmask_b32_e64 v68, 0, 1, vcc
	v_add_u16_e32 v3, -2, v0
	v_cmp_gt_u32_e32 vcc, 2, v0
	v_add_u32_e32 v60, s18, v58
	v_cndmask_b32_e32 v3, v3, v0, vcc
	v_cmp_lt_u32_e32 vcc, 1, v0
	v_add_u32_e32 v62, s18, v60
	v_lshrrev_b32_e32 v99, 3, v39
	v_cndmask_b32_e64 v35, 0, 1, vcc
	v_lshlrev_b32_e32 v1, 2, v39
	s_movk_i32 s14, 0x84
	v_and_b32_e32 v7, 0xffc, v7
	v_and_b32_e32 v11, 0xffc, v11
	;; [unrolled: 1-line block ×5, first 2 shown]
	v_add_u32_e32 v64, s18, v62
	v_and_b32_e32 v27, 0xffc, v27
	v_lshlrev_b32_e32 v33, 6, v2
	v_lshl_add_u32 v2, v43, 2, v99
	v_lshlrev_b32_e32 v101, 2, v35
	v_mov_b32_e32 v35, 2
	v_mad_u32_u24 v55, v43, s14, v1
	v_add3_u32 v7, v7, v10, s17
	v_add3_u32 v11, v11, v10, s17
	;; [unrolled: 1-line block ×6, first 2 shown]
	v_add_u32_e32 v66, s18, v64
	v_lshlrev_b32_sdwa v70, v35, v3 dst_sel:DWORD dst_unused:UNUSED_PAD src0_sel:DWORD src1_sel:BYTE_0
	v_and_b32_e32 v3, 0x7fc, v2
	s_mov_b32 s17, 0x8300
	s_lshl_b32 s18, s4, 5
	v_and_b32_e32 v1, 28, v1
	v_add3_u32 v35, v3, v50, s17
	v_add_u32_e32 v3, 32, v2
	v_mov_b32_e32 v41, s18
	v_add_co_u32_e32 v80, vcc, s2, v1
	v_lshrrev_b32_e32 v1, 2, v39
	v_mul_i32_i24_e32 v72, s4, v2
	v_lshlrev_b32_e32 v37, 5, v2
	v_mad_i32_i24 v74, s4, v2, v41
	v_and_b32_e32 v41, 0xffc, v3
	v_lshlrev_b32_e32 v45, 5, v3
	v_add_u32_e32 v3, 64, v2
	v_add_u32_e32 v2, 0x60, v2
	v_lshl_add_u32 v1, v43, 3, v1
	v_and_b32_e32 v47, 0xffc, v3
	v_lshlrev_b32_e32 v49, 5, v3
	v_and_b32_e32 v3, 0xffc, v2
	v_mov_b32_e32 v71, s3
	v_and_b32_e32 v1, 63, v1
	v_add3_u32 v41, v41, v50, s17
	v_add3_u32 v47, v47, v50, s17
	;; [unrolled: 1-line block ×3, first 2 shown]
	s_add_i32 s17, s8, -1
	v_addc_co_u32_e32 v81, vcc, 0, v71, vcc
	v_or_b32_e32 v71, s11, v1
	v_add_u32_e32 v76, s18, v74
	v_min_i32_e32 v71, s17, v71
	v_lshlrev_b32_e32 v102, 1, v0
	v_add_u32_e32 v78, s18, v76
	v_mad_u64_u32 v[82:83], s[18:19], v71, s15, v[0:1]
	v_lshlrev_b32_e32 v0, 2, v0
	v_add_u32_e32 v79, s11, v43
	v_lshl_or_b32 v0, v1, 4, v0
	v_lshlrev_b32_e32 v53, 5, v2
	v_cvt_f64_i32_e32 v[2:3], s17
	v_add_u32_e32 v105, 0x97a0, v0
	v_cvt_f64_u32_e32 v[0:1], v79
	v_min_f64 v[0:1], v[0:1], v[2:3]
	v_cvt_i32_f64_e32 v0, v[0:1]
	v_mul_lo_u32 v106, s15, v0
	v_add_u32_e32 v0, 8, v79
	v_cvt_f64_u32_e32 v[0:1], v0
	v_min_f64 v[0:1], v[0:1], v[2:3]
	v_cvt_i32_f64_e32 v0, v[0:1]
	v_mul_lo_u32 v109, s15, v0
	;; [unrolled: 5-line block ×7, first 2 shown]
	v_add_u32_e32 v0, 56, v79
	v_cvt_f64_u32_e32 v[0:1], v0
	v_add_u32_e32 v16, s9, v14
	v_min_f64 v[0:1], v[0:1], v[2:3]
	v_add_u32_e32 v18, s9, v16
	v_cvt_i32_f64_e32 v0, v[0:1]
	v_add_u32_e32 v20, s9, v18
	v_mul_lo_u32 v123, s15, v0
	v_add_u32_e32 v0, 32, v39
	v_add_u32_e32 v22, s9, v20
	v_lshrrev_b32_e32 v1, 1, v0
	v_add_u32_e32 v24, s9, v22
	v_lshl_add_u32 v129, v0, 4, v1
	v_mov_b32_e32 v1, 0x1080
	v_add_u32_e32 v26, s9, v24
	v_lshl_add_u32 v126, v39, 4, v4
	v_lshlrev_b32_e32 v4, 2, v8
	v_lshlrev_b32_e32 v83, 3, v39
	v_mad_u32_u24 v130, v39, s14, v1
	v_lshrrev_b32_e32 v1, 2, v0
	v_add_u32_e32 v28, s9, v26
	v_add3_u32 v128, v4, v83, s16
	v_and_b32_e32 v1, 0x7c, v1
	v_lshlrev_b32_e32 v4, 3, v0
	v_add_u32_e32 v30, s9, v28
	v_add_u32_e32 v2, 64, v39
	v_add3_u32 v131, v4, v1, s16
	v_mov_b32_e32 v1, 0x2100
	v_add_u32_e32 v32, s9, v30
	v_and_b32_e32 v57, 31, v39
	v_lshlrev_b32_e32 v107, 7, v43
	v_lshrrev_b32_e32 v3, 1, v2
	v_mad_u32_u24 v133, v39, s14, v1
	v_lshrrev_b32_e32 v1, 2, v2
	v_add_u32_e32 v34, s9, v32
	v_lshl_or_b32 v57, v57, 2, v107
	v_lshl_add_u32 v132, v2, 4, v3
	v_and_b32_e32 v1, 0x7c, v1
	v_lshlrev_b32_e32 v3, 3, v2
	v_add_u32_e32 v36, s9, v34
	v_add_u32_e32 v108, 0x6300, v57
	;; [unrolled: 1-line block ×10, first 2 shown]
	v_add3_u32 v134, v3, v1, s16
	v_mov_b32_e32 v1, 0x3180
	v_add_u32_e32 v38, s9, v36
	v_mad_u32_u24 v136, v39, s14, v1
	v_lshrrev_b32_e32 v1, 2, v57
	v_add_u32_e32 v40, s9, v38
	v_lshrrev_b32_e32 v71, 1, v57
	v_and_b32_e32 v1, 0x7c, v1
	v_lshlrev_b32_e32 v3, 3, v57
	v_and_b32_e32 v141, 0xfc, v39
	v_and_b32_e32 v143, 0x1fc, v0
	;; [unrolled: 1-line block ×4, first 2 shown]
	s_movk_i32 s5, 0x6e
	s_mov_b32 s7, 0
	v_mul_i32_i24_e32 v12, s4, v43
	v_add_u32_e32 v59, 0x420, v55
	v_add_u32_e32 v61, 0x840, v55
	;; [unrolled: 1-line block ×16, first 2 shown]
	s_movk_i32 s9, 0x60
	v_lshlrev_b32_e32 v125, 5, v39
	v_mul_u32_u24_e32 v127, 0x84, v39
	v_lshl_add_u32 v135, v57, 4, v71
	v_add3_u32 v137, v3, v1, s16
	v_lshrrev_b32_e32 v138, 3, v0
	v_lshrrev_b32_e32 v139, 3, v2
	;; [unrolled: 1-line block ×3, first 2 shown]
	v_or_b32_e32 v142, 0x6300, v141
	v_add_u32_e32 v144, 0x6300, v143
	v_add_u32_e32 v146, 0x6300, v145
	;; [unrolled: 1-line block ×13, first 2 shown]
	s_mov_b32 s14, 0x30303030
	s_movk_i32 s15, 0x3f00
	s_movk_i32 s16, 0xe000
	v_add_u32_e32 v159, v35, v37
	v_add_u32_e32 v160, v41, v45
	;; [unrolled: 1-line block ×4, first 2 shown]
	v_mov_b32_e32 v163, 8
	v_mov_b32_e32 v118, 0
	;; [unrolled: 1-line block ×33, first 2 shown]
	s_branch .LBB129_6
.LBB129_5:                              ;   in Loop: Header=BB129_6 Depth=1
	s_add_i32 s7, s7, 2
	s_cmp_ge_i32 s7, s4
	s_cbranch_scc1 .LBB129_16
.LBB129_6:                              ; =>This Loop Header: Depth=1
                                        ;     Child Loop BB129_7 Depth 2
                                        ;     Child Loop BB129_9 Depth 2
	;; [unrolled: 1-line block ×4, first 2 shown]
	s_mul_i32 s18, s7, 0x6e
	s_mul_hi_u32 s17, s7, 0x6e
	s_add_u32 s18, s0, s18
	s_addc_u32 s19, s1, s17
	v_pk_mov_b32 v[0:1], s[18:19], s[18:19] op_sel:[0,1]
	v_mad_u64_u32 v[2:3], s[18:19], v8, s5, v[0:1]
	v_add_co_u32_e32 v2, vcc, v2, v10
	v_addc_co_u32_e32 v3, vcc, 0, v3, vcc
	v_add_co_u32_e32 v2, vcc, 32, v2
	v_addc_co_u32_e32 v3, vcc, 0, v3, vcc
	v_mad_u64_u32 v[4:5], s[18:19], v12, s5, v[2:3]
	v_mad_u64_u32 v[6:7], s[18:19], v14, s5, v[2:3]
	;; [unrolled: 1-line block ×8, first 2 shown]
	global_load_dword v172, v[4:5], off
	global_load_dword v173, v[6:7], off
	;; [unrolled: 1-line block ×7, first 2 shown]
	s_nop 0
	global_load_dword v170, v[170:171], off
	v_mad_u64_u32 v[4:5], s[18:19], v28, s5, v[2:3]
	v_mad_u64_u32 v[6:7], s[18:19], v30, s5, v[2:3]
	;; [unrolled: 1-line block ×8, first 2 shown]
	global_load_dword v171, v[4:5], off
	global_load_dword v179, v[6:7], off
	;; [unrolled: 1-line block ×4, first 2 shown]
	s_nop 0
	global_load_dword v164, v[164:165], off
	s_nop 0
	global_load_dword v165, v[166:167], off
	;; [unrolled: 2-line block ×3, first 2 shown]
	global_load_dword v167, v[2:3], off
	v_mad_u64_u32 v[2:3], s[18:19], v46, s5, v[0:1]
	v_mad_u64_u32 v[2:3], s[18:19], v44, s5, v[2:3]
	global_load_ushort v168, v[2:3], off offset:108
	v_mad_u64_u32 v[4:5], s[18:19], v48, s5, v[0:1]
	v_add_co_u32_e32 v4, vcc, v4, v50
	v_addc_co_u32_e32 v5, vcc, 0, v5, vcc
	v_mad_u64_u32 v[6:7], s[18:19], v52, s5, v[4:5]
	v_mad_u64_u32 v[84:85], s[18:19], v54, s5, v[4:5]
	global_load_dword v169, v[6:7], off
	global_load_dword v182, v[84:85], off
	v_mad_u64_u32 v[2:3], s[18:19], v56, s5, v[4:5]
	v_mad_u64_u32 v[86:87], s[18:19], v58, s5, v[4:5]
	global_load_dword v183, v[2:3], off
	global_load_dword v184, v[86:87], off
	;; [unrolled: 4-line block ×3, first 2 shown]
	v_mad_u64_u32 v[0:1], s[18:19], v68, s5, v[0:1]
	v_mad_u64_u32 v[2:3], s[18:19], v64, s5, v[4:5]
	v_add_co_u32_e32 v0, vcc, s9, v0
	global_load_dword v187, v[2:3], off
	v_mad_u64_u32 v[2:3], s[18:19], v66, s5, v[4:5]
	v_addc_co_u32_e32 v1, vcc, 0, v1, vcc
	global_load_dword v188, v[2:3], off
	v_mad_u64_u32 v[2:3], s[18:19], v72, s5, v[0:1]
	v_add_co_u32_e32 v4, vcc, v2, v70
	v_addc_co_u32_e32 v5, vcc, 0, v3, vcc
	global_load_dword v189, v[4:5], off
	v_mad_u64_u32 v[4:5], s[18:19], v74, s5, v[0:1]
	v_add_co_u32_e32 v6, vcc, v4, v70
	v_addc_co_u32_e32 v7, vcc, 0, v5, vcc
	v_mad_u64_u32 v[84:85], s[18:19], v76, s5, v[0:1]
	v_add_co_u32_e32 v86, vcc, v84, v70
	v_mad_u64_u32 v[0:1], s[18:19], v78, s5, v[0:1]
	v_addc_co_u32_e32 v87, vcc, 0, v85, vcc
	global_load_dword v190, v[0:1], off offset:8
	global_load_dword v191, v[86:87], off
	global_load_dword v192, v[84:85], off offset:8
	global_load_dword v193, v[6:7], off
	global_load_dword v194, v[4:5], off offset:8
	global_load_dword v195, v[2:3], off offset:8
	v_add_co_u32_e32 v0, vcc, v0, v70
	s_waitcnt vmcnt(31)
	ds_write_b32 v55, v172
	s_waitcnt vmcnt(30)
	ds_write_b32 v59, v173
	s_waitcnt vmcnt(29)
	ds_write_b32 v61, v174
	s_waitcnt vmcnt(28)
	ds_write_b32 v63, v175
	s_waitcnt vmcnt(27)
	ds_write_b32 v65, v176
	s_waitcnt vmcnt(26)
	ds_write_b32 v67, v177
	s_waitcnt vmcnt(25)
	ds_write_b32 v69, v178
	s_waitcnt vmcnt(24)
	ds_write_b32 v73, v170
	s_waitcnt vmcnt(23)
	ds_write_b32 v75, v171
	s_waitcnt vmcnt(22)
	ds_write_b32 v77, v179
	s_waitcnt vmcnt(21)
	ds_write_b32 v88, v180
	s_waitcnt vmcnt(20)
	ds_write_b32 v89, v181
	s_waitcnt vmcnt(19)
	ds_write_b32 v90, v164
	v_addc_co_u32_e32 v1, vcc, 0, v1, vcc
	s_lshl_b32 s17, s7, 3
	v_add_u32_e32 v164, s17, v82
	v_mad_u64_u32 v[170:171], s[18:19], v164, 36, s[2:3]
	s_mov_b32 s21, -2
	s_waitcnt vmcnt(15)
	v_cvt_f32_f16_e32 v2, v168
	ds_write_b32 v91, v165
	ds_write_b32 v92, v166
	;; [unrolled: 1-line block ×4, first 2 shown]
	global_load_dword v172, v[0:1], off
	v_add_u32_e32 v168, s17, v99
	v_add_u32_e32 v0, v168, v106
	;; [unrolled: 1-line block ×5, first 2 shown]
	v_mad_i64_i32 v[0:1], s[18:19], v0, 36, v[80:81]
	s_waitcnt vmcnt(15)
	v_not_b32_e32 v2, v169
	ds_write_b32 v151, v2
	s_waitcnt vmcnt(14)
	v_not_b32_e32 v2, v182
	ds_write_b32 v152, v2
	v_mad_i64_i32 v[4:5], s[18:19], v4, 36, v[80:81]
	s_waitcnt vmcnt(13)
	v_not_b32_e32 v2, v183
	ds_write_b32 v153, v2
	s_waitcnt vmcnt(12)
	v_not_b32_e32 v2, v184
	ds_write_b32 v154, v2
	;; [unrolled: 3-line block ×4, first 2 shown]
	v_add_u32_e32 v2, v168, v109
	v_mad_i64_i32 v[2:3], s[18:19], v2, 36, v[80:81]
	v_mad_i64_i32 v[6:7], s[18:19], v6, 36, v[80:81]
	;; [unrolled: 1-line block ×3, first 2 shown]
	v_add_u32_e32 v86, v168, v119
	v_add_u32_e32 v166, v168, v121
	;; [unrolled: 1-line block ×3, first 2 shown]
	v_mad_i64_i32 v[86:87], s[18:19], v86, 36, v[80:81]
	v_mad_i64_i32 v[166:167], s[18:19], v166, 36, v[80:81]
	;; [unrolled: 1-line block ×3, first 2 shown]
	global_load_dword v0, v[0:1], off offset:4
	s_nop 0
	global_load_dword v1, v[2:3], off offset:4
	s_nop 0
	global_load_dword v2, v[4:5], off offset:4
	global_load_dword v3, v[6:7], off offset:4
	s_nop 0
	global_load_dword v4, v[84:85], off offset:4
	global_load_dword v5, v[170:171], off
	global_load_dword v6, v[86:87], off offset:4
	global_load_dword v7, v[166:167], off offset:4
	s_nop 0
	global_load_dword v84, v[168:169], off offset:4
	s_waitcnt vmcnt(18)
	v_not_b32_e32 v165, v187
	s_waitcnt vmcnt(17)
	v_not_b32_e32 v85, v188
	ds_write_b32 v157, v165
	ds_write_b32 v158, v85
	s_waitcnt vmcnt(16)
	v_ashrrev_i32_e32 v85, v101, v189
	v_and_b32_e32 v85, 0xf0f0f0f, v85
	v_mov_b32_e32 v165, v107
	v_mov_b32_e32 v166, v94
	s_mov_b32 s18, 0
	s_mov_b32 s19, 0
	s_waitcnt vmcnt(10)
	v_ashrrev_i32_e32 v86, v102, v195
	v_lshlrev_b32_e32 v86, 4, v86
	v_and_or_b32 v85, v86, s14, v85
	v_lshlrev_b16_e32 v87, 8, v85
	v_and_b32_e32 v86, 0x3f00, v85
	v_add_u16_e32 v87, 0xe000, v87
	v_or_b32_sdwa v86, v86, v87 dst_sel:DWORD dst_unused:UNUSED_PAD src0_sel:DWORD src1_sel:BYTE_1
	v_and_b32_sdwa v87, v85, s15 dst_sel:DWORD dst_unused:UNUSED_PAD src0_sel:WORD_1 src1_sel:DWORD
	v_lshlrev_b16_sdwa v85, v163, v85 dst_sel:DWORD dst_unused:UNUSED_PAD src0_sel:DWORD src1_sel:WORD_1
	v_add_u16_e32 v85, 0xe000, v85
	v_or_b32_sdwa v85, v87, v85 dst_sel:DWORD dst_unused:UNUSED_PAD src0_sel:DWORD src1_sel:BYTE_1
	v_add_u16_e32 v86, 0xe000, v86
	v_add_u16_sdwa v85, v85, s16 dst_sel:WORD_1 dst_unused:UNUSED_PAD src0_sel:DWORD src1_sel:DWORD
	v_or_b32_e32 v85, v86, v85
	ds_write_b32 v159, v85
	v_ashrrev_i32_e32 v85, v101, v193
	v_ashrrev_i32_e32 v86, v102, v194
	v_and_b32_e32 v85, 0xf0f0f0f, v85
	v_lshlrev_b32_e32 v86, 4, v86
	v_and_or_b32 v85, v86, s14, v85
	v_lshlrev_b16_e32 v87, 8, v85
	v_and_b32_e32 v86, 0x3f00, v85
	v_add_u16_e32 v87, 0xe000, v87
	v_or_b32_sdwa v86, v86, v87 dst_sel:DWORD dst_unused:UNUSED_PAD src0_sel:DWORD src1_sel:BYTE_1
	v_and_b32_sdwa v87, v85, s15 dst_sel:DWORD dst_unused:UNUSED_PAD src0_sel:WORD_1 src1_sel:DWORD
	v_lshlrev_b16_sdwa v85, v163, v85 dst_sel:DWORD dst_unused:UNUSED_PAD src0_sel:DWORD src1_sel:WORD_1
	v_add_u16_e32 v85, 0xe000, v85
	v_or_b32_sdwa v85, v87, v85 dst_sel:DWORD dst_unused:UNUSED_PAD src0_sel:DWORD src1_sel:BYTE_1
	v_add_u16_e32 v86, 0xe000, v86
	v_add_u16_sdwa v85, v85, s16 dst_sel:WORD_1 dst_unused:UNUSED_PAD src0_sel:DWORD src1_sel:DWORD
	v_or_b32_e32 v85, v86, v85
	ds_write_b32 v160, v85
	v_ashrrev_i32_e32 v85, v101, v191
	v_ashrrev_i32_e32 v86, v102, v192
	v_and_b32_e32 v85, 0xf0f0f0f, v85
	v_lshlrev_b32_e32 v86, 4, v86
	v_and_or_b32 v85, v86, s14, v85
	v_lshlrev_b16_e32 v87, 8, v85
	v_and_b32_e32 v86, 0x3f00, v85
	v_add_u16_e32 v87, 0xe000, v87
	v_or_b32_sdwa v86, v86, v87 dst_sel:DWORD dst_unused:UNUSED_PAD src0_sel:DWORD src1_sel:BYTE_1
	v_and_b32_sdwa v87, v85, s15 dst_sel:DWORD dst_unused:UNUSED_PAD src0_sel:WORD_1 src1_sel:DWORD
	v_lshlrev_b16_sdwa v85, v163, v85 dst_sel:DWORD dst_unused:UNUSED_PAD src0_sel:DWORD src1_sel:WORD_1
	v_add_u16_e32 v85, 0xe000, v85
	v_or_b32_sdwa v85, v87, v85 dst_sel:DWORD dst_unused:UNUSED_PAD src0_sel:DWORD src1_sel:BYTE_1
	v_add_u16_e32 v86, 0xe000, v86
	v_add_u16_sdwa v85, v85, s16 dst_sel:WORD_1 dst_unused:UNUSED_PAD src0_sel:DWORD src1_sel:DWORD
	v_or_b32_e32 v85, v86, v85
	ds_write_b32 v161, v85
	s_waitcnt vmcnt(9)
	v_ashrrev_i32_e32 v85, v101, v172
	v_ashrrev_i32_e32 v86, v102, v190
	v_and_b32_e32 v85, 0xf0f0f0f, v85
	v_lshlrev_b32_e32 v86, 4, v86
	v_and_or_b32 v85, v86, s14, v85
	v_lshlrev_b16_e32 v87, 8, v85
	v_and_b32_e32 v86, 0x3f00, v85
	v_add_u16_e32 v87, 0xe000, v87
	v_or_b32_sdwa v86, v86, v87 dst_sel:DWORD dst_unused:UNUSED_PAD src0_sel:DWORD src1_sel:BYTE_1
	v_and_b32_sdwa v87, v85, s15 dst_sel:DWORD dst_unused:UNUSED_PAD src0_sel:WORD_1 src1_sel:DWORD
	v_lshlrev_b16_sdwa v85, v163, v85 dst_sel:DWORD dst_unused:UNUSED_PAD src0_sel:DWORD src1_sel:WORD_1
	v_add_u16_e32 v85, 0xe000, v85
	v_or_b32_sdwa v85, v87, v85 dst_sel:DWORD dst_unused:UNUSED_PAD src0_sel:DWORD src1_sel:BYTE_1
	v_add_u16_e32 v86, 0xe000, v86
	v_add_u16_sdwa v85, v85, s16 dst_sel:WORD_1 dst_unused:UNUSED_PAD src0_sel:DWORD src1_sel:DWORD
	v_or_b32_e32 v85, v86, v85
	ds_write_b32 v162, v85
	s_waitcnt vmcnt(8)
	ds_write_b32 v108, v0
	s_waitcnt vmcnt(7)
	;; [unrolled: 2-line block ×6, first 2 shown]
	v_cvt_f32_f16_e32 v0, v5
	s_waitcnt vmcnt(2)
	ds_write_b32 v120, v6
	s_waitcnt vmcnt(1)
	ds_write_b32 v122, v7
	;; [unrolled: 2-line block ×3, first 2 shown]
	ds_write_b32 v105, v0
	s_waitcnt lgkmcnt(0)
	s_barrier
.LBB129_7:                              ;   Parent Loop BB129_6 Depth=1
                                        ; =>  This Inner Loop Header: Depth=2
	s_add_i32 s20, s21, 2
	s_and_b32 s22, s19, -16
	s_lshr_b32 s24, s20, 4
	v_add_u32_e32 v86, s22, v125
	s_and_b32 s23, s20, 0x3ffffff8
	s_lshl_b32 s22, s24, 3
	s_lshl_b32 s23, s23, 2
	v_add_lshl_u32 v176, v126, s22, 2
	v_add_u32_e32 v0, 0x9600, v166
	v_add_u32_e32 v87, s23, v127
	;; [unrolled: 1-line block ×3, first 2 shown]
	ds_read2_b32 v[84:85], v0 offset0:104 offset1:136
	ds_read_b128 v[4:7], v165 offset:25344
	ds_read_b128 v[0:3], v165 offset:25360
	ds_read2_b32 v[168:169], v87 offset1:1
	ds_read2_b32 v[170:171], v170 offset1:1
	s_lshl_b32 s24, s24, 2
	v_add_lshl_u32 v198, v132, s22, 2
	v_add_lshl_u32 v188, v129, s22, 2
	s_waitcnt lgkmcnt(1)
	v_ashrrev_i32_e32 v167, s20, v168
	s_waitcnt lgkmcnt(0)
	v_ashrrev_i32_e32 v170, s18, v170
	v_lshlrev_b32_e32 v170, 2, v170
	v_and_b32_e32 v168, 0x3030303, v167
	v_bfe_u32 v167, v167, 24, 2
	v_and_b32_e32 v170, 0x4040404, v170
	v_sub_u16_e32 v172, v168, v170
	v_sub_u16_sdwa v173, v168, v170 dst_sel:BYTE_1 dst_unused:UNUSED_PAD src0_sel:BYTE_1 src1_sel:BYTE_1
	v_sub_u16_sdwa v167, v167, v170 dst_sel:BYTE_1 dst_unused:UNUSED_PAD src0_sel:DWORD src1_sel:BYTE_3
	v_sub_u16_sdwa v168, v168, v170 dst_sel:DWORD dst_unused:UNUSED_PAD src0_sel:WORD_1 src1_sel:WORD_1
	v_ashrrev_i32_e32 v170, s18, v171
	v_or_b32_sdwa v167, v168, v167 dst_sel:WORD_1 dst_unused:UNUSED_PAD src0_sel:BYTE_0 src1_sel:DWORD
	v_ashrrev_i32_e32 v168, s20, v169
	v_lshlrev_b32_e32 v170, 2, v170
	v_or_b32_sdwa v172, v172, v173 dst_sel:DWORD dst_unused:UNUSED_PAD src0_sel:BYTE_0 src1_sel:DWORD
	v_and_b32_e32 v169, 0x3030303, v168
	v_bfe_u32 v168, v168, 24, 2
	v_and_b32_e32 v170, 0x4040404, v170
	v_or_b32_sdwa v167, v172, v167 dst_sel:DWORD dst_unused:UNUSED_PAD src0_sel:WORD_0 src1_sel:DWORD
	v_sub_u16_e32 v171, v169, v170
	v_sub_u16_sdwa v172, v169, v170 dst_sel:BYTE_1 dst_unused:UNUSED_PAD src0_sel:BYTE_1 src1_sel:BYTE_1
	v_sub_u16_sdwa v168, v168, v170 dst_sel:BYTE_1 dst_unused:UNUSED_PAD src0_sel:DWORD src1_sel:BYTE_3
	v_sub_u16_sdwa v169, v169, v170 dst_sel:DWORD dst_unused:UNUSED_PAD src0_sel:WORD_1 src1_sel:WORD_1
	v_or_b32_sdwa v171, v171, v172 dst_sel:DWORD dst_unused:UNUSED_PAD src0_sel:BYTE_0 src1_sel:DWORD
	v_or_b32_sdwa v168, v169, v168 dst_sel:WORD_1 dst_unused:UNUSED_PAD src0_sel:BYTE_0 src1_sel:DWORD
	v_add_u32_e32 v172, 0x4208, v176
	v_or_b32_sdwa v168, v171, v168 dst_sel:DWORD dst_unused:UNUSED_PAD src0_sel:WORD_0 src1_sel:DWORD
	ds_read2_b32 v[170:171], v87 offset0:2 offset1:3
	ds_read2_b32 v[172:173], v172 offset1:1
	v_add_u32_e32 v192, 0x4200, v198
	v_add_lshl_u32 v210, v135, s22, 2
	s_add_i32 s19, s19, 2
	s_waitcnt lgkmcnt(1)
	v_ashrrev_i32_e32 v169, s20, v170
	s_waitcnt lgkmcnt(0)
	v_ashrrev_i32_e32 v172, s18, v172
	v_lshlrev_b32_e32 v172, 2, v172
	v_and_b32_e32 v170, 0x3030303, v169
	v_bfe_u32 v169, v169, 24, 2
	v_and_b32_e32 v172, 0x4040404, v172
	v_sub_u16_e32 v174, v170, v172
	v_sub_u16_sdwa v175, v170, v172 dst_sel:BYTE_1 dst_unused:UNUSED_PAD src0_sel:BYTE_1 src1_sel:BYTE_1
	v_sub_u16_sdwa v169, v169, v172 dst_sel:BYTE_1 dst_unused:UNUSED_PAD src0_sel:DWORD src1_sel:BYTE_3
	v_sub_u16_sdwa v170, v170, v172 dst_sel:DWORD dst_unused:UNUSED_PAD src0_sel:WORD_1 src1_sel:WORD_1
	v_ashrrev_i32_e32 v172, s18, v173
	v_or_b32_sdwa v169, v170, v169 dst_sel:WORD_1 dst_unused:UNUSED_PAD src0_sel:BYTE_0 src1_sel:DWORD
	v_ashrrev_i32_e32 v170, s20, v171
	v_lshlrev_b32_e32 v172, 2, v172
	v_or_b32_sdwa v174, v174, v175 dst_sel:DWORD dst_unused:UNUSED_PAD src0_sel:BYTE_0 src1_sel:DWORD
	v_and_b32_e32 v171, 0x3030303, v170
	v_bfe_u32 v170, v170, 24, 2
	v_and_b32_e32 v172, 0x4040404, v172
	v_or_b32_sdwa v169, v174, v169 dst_sel:DWORD dst_unused:UNUSED_PAD src0_sel:WORD_0 src1_sel:DWORD
	v_sub_u16_e32 v173, v171, v172
	v_sub_u16_sdwa v174, v171, v172 dst_sel:BYTE_1 dst_unused:UNUSED_PAD src0_sel:BYTE_1 src1_sel:BYTE_1
	v_sub_u16_sdwa v170, v170, v172 dst_sel:BYTE_1 dst_unused:UNUSED_PAD src0_sel:DWORD src1_sel:BYTE_3
	v_sub_u16_sdwa v171, v171, v172 dst_sel:DWORD dst_unused:UNUSED_PAD src0_sel:WORD_1 src1_sel:WORD_1
	v_or_b32_sdwa v173, v173, v174 dst_sel:DWORD dst_unused:UNUSED_PAD src0_sel:BYTE_0 src1_sel:DWORD
	v_or_b32_sdwa v170, v171, v170 dst_sel:WORD_1 dst_unused:UNUSED_PAD src0_sel:BYTE_0 src1_sel:DWORD
	v_add_u32_e32 v174, 0x4210, v176
	v_or_b32_sdwa v170, v173, v170 dst_sel:DWORD dst_unused:UNUSED_PAD src0_sel:WORD_0 src1_sel:DWORD
	ds_read2_b32 v[172:173], v87 offset0:4 offset1:5
	ds_read2_b32 v[174:175], v174 offset1:1
	ds_read2_b32 v[192:193], v192 offset1:1
	s_waitcnt lgkmcnt(2)
	v_ashrrev_i32_e32 v171, s20, v172
	s_waitcnt lgkmcnt(1)
	v_ashrrev_i32_e32 v174, s18, v174
	v_lshlrev_b32_e32 v174, 2, v174
	v_and_b32_e32 v172, 0x3030303, v171
	v_bfe_u32 v171, v171, 24, 2
	v_and_b32_e32 v174, 0x4040404, v174
	v_sub_u16_e32 v177, v172, v174
	v_sub_u16_sdwa v178, v172, v174 dst_sel:BYTE_1 dst_unused:UNUSED_PAD src0_sel:BYTE_1 src1_sel:BYTE_1
	v_sub_u16_sdwa v171, v171, v174 dst_sel:BYTE_1 dst_unused:UNUSED_PAD src0_sel:DWORD src1_sel:BYTE_3
	v_sub_u16_sdwa v172, v172, v174 dst_sel:DWORD dst_unused:UNUSED_PAD src0_sel:WORD_1 src1_sel:WORD_1
	v_ashrrev_i32_e32 v174, s18, v175
	v_or_b32_sdwa v171, v172, v171 dst_sel:WORD_1 dst_unused:UNUSED_PAD src0_sel:BYTE_0 src1_sel:DWORD
	v_ashrrev_i32_e32 v172, s20, v173
	v_lshlrev_b32_e32 v174, 2, v174
	v_or_b32_sdwa v177, v177, v178 dst_sel:DWORD dst_unused:UNUSED_PAD src0_sel:BYTE_0 src1_sel:DWORD
	v_and_b32_e32 v173, 0x3030303, v172
	v_bfe_u32 v172, v172, 24, 2
	v_and_b32_e32 v174, 0x4040404, v174
	v_or_b32_sdwa v171, v177, v171 dst_sel:DWORD dst_unused:UNUSED_PAD src0_sel:WORD_0 src1_sel:DWORD
	v_sub_u16_e32 v175, v173, v174
	v_sub_u16_sdwa v177, v173, v174 dst_sel:BYTE_1 dst_unused:UNUSED_PAD src0_sel:BYTE_1 src1_sel:BYTE_1
	v_sub_u16_sdwa v172, v172, v174 dst_sel:BYTE_1 dst_unused:UNUSED_PAD src0_sel:DWORD src1_sel:BYTE_3
	v_sub_u16_sdwa v173, v173, v174 dst_sel:DWORD dst_unused:UNUSED_PAD src0_sel:WORD_1 src1_sel:WORD_1
	v_or_b32_sdwa v175, v175, v177 dst_sel:DWORD dst_unused:UNUSED_PAD src0_sel:BYTE_0 src1_sel:DWORD
	v_or_b32_sdwa v172, v173, v172 dst_sel:WORD_1 dst_unused:UNUSED_PAD src0_sel:BYTE_0 src1_sel:DWORD
	v_or_b32_sdwa v173, v175, v172 dst_sel:DWORD dst_unused:UNUSED_PAD src0_sel:WORD_0 src1_sel:DWORD
	ds_read2_b32 v[174:175], v87 offset0:6 offset1:7
	s_waitcnt lgkmcnt(1)
	v_ashrrev_i32_e32 v192, s18, v192
	v_lshlrev_b32_e32 v192, 2, v192
	v_and_b32_e32 v192, 0x4040404, v192
	s_waitcnt lgkmcnt(0)
	v_ashrrev_i32_e32 v87, s20, v174
	v_add_u32_e32 v174, 0x4218, v176
	ds_read2_b32 v[176:177], v174 offset1:1
	v_and_b32_e32 v172, 0x3030303, v87
	v_bfe_u32 v87, v87, 24, 2
	s_waitcnt lgkmcnt(0)
	v_ashrrev_i32_e32 v174, s18, v176
	v_lshlrev_b32_e32 v174, 2, v174
	v_and_b32_e32 v174, 0x4040404, v174
	v_sub_u16_e32 v176, v172, v174
	v_sub_u16_sdwa v178, v172, v174 dst_sel:BYTE_1 dst_unused:UNUSED_PAD src0_sel:BYTE_1 src1_sel:BYTE_1
	v_sub_u16_sdwa v87, v87, v174 dst_sel:BYTE_1 dst_unused:UNUSED_PAD src0_sel:DWORD src1_sel:BYTE_3
	v_sub_u16_sdwa v172, v172, v174 dst_sel:DWORD dst_unused:UNUSED_PAD src0_sel:WORD_1 src1_sel:WORD_1
	v_or_b32_sdwa v176, v176, v178 dst_sel:DWORD dst_unused:UNUSED_PAD src0_sel:BYTE_0 src1_sel:DWORD
	v_or_b32_sdwa v87, v172, v87 dst_sel:WORD_1 dst_unused:UNUSED_PAD src0_sel:BYTE_0 src1_sel:DWORD
	v_or_b32_sdwa v174, v176, v87 dst_sel:DWORD dst_unused:UNUSED_PAD src0_sel:WORD_0 src1_sel:DWORD
	v_ashrrev_i32_e32 v87, s20, v175
	v_ashrrev_i32_e32 v175, s18, v177
	v_lshlrev_b32_e32 v175, 2, v175
	v_and_b32_e32 v172, 0x3030303, v87
	v_bfe_u32 v87, v87, 24, 2
	v_and_b32_e32 v175, 0x4040404, v175
	v_sub_u16_e32 v176, v172, v175
	v_sub_u16_sdwa v177, v172, v175 dst_sel:BYTE_1 dst_unused:UNUSED_PAD src0_sel:BYTE_1 src1_sel:BYTE_1
	v_sub_u16_sdwa v87, v87, v175 dst_sel:BYTE_1 dst_unused:UNUSED_PAD src0_sel:DWORD src1_sel:BYTE_3
	v_sub_u16_sdwa v172, v172, v175 dst_sel:DWORD dst_unused:UNUSED_PAD src0_sel:WORD_1 src1_sel:WORD_1
	v_or_b32_sdwa v176, v176, v177 dst_sel:DWORD dst_unused:UNUSED_PAD src0_sel:BYTE_0 src1_sel:DWORD
	v_or_b32_sdwa v87, v172, v87 dst_sel:WORD_1 dst_unused:UNUSED_PAD src0_sel:BYTE_0 src1_sel:DWORD
	v_or_b32_sdwa v175, v176, v87 dst_sel:DWORD dst_unused:UNUSED_PAD src0_sel:WORD_0 src1_sel:DWORD
	v_add3_u32 v87, v142, s21, v86
	v_add_u32_e32 v172, s24, v128
	ds_read_b32 v172, v172
	ds_read_u16 v87, v87 offset:8194
	v_mov_b32_e32 v176, 0
	v_dot4c_i32_i8_e32 v176, v167, v4
	v_dot4c_i32_i8_e32 v176, v168, v5
	;; [unrolled: 1-line block ×3, first 2 shown]
	s_waitcnt lgkmcnt(0)
	v_lshrrev_b16_e32 v178, 8, v87
	v_bfe_i32 v177, v87, 0, 8
	v_mov_b32_e32 v87, 0
	v_dot4c_i32_i8_e32 v87, v171, v0
	v_dot4c_i32_i8_e32 v87, v173, v1
	;; [unrolled: 1-line block ×5, first 2 shown]
	v_bfe_i32 v179, v178, 0, 8
	v_mul_lo_u32 v176, v176, v177
	s_nop 0
	v_mad_u64_u32 v[180:181], s[26:27], v87, v179, v[176:177]
	v_cvt_f32_i32_e32 v176, v180
	v_mul_f32_e32 v87, v84, v172
	v_fmac_f32_e32 v118, v87, v176
	v_add_u32_e32 v87, s23, v130
	ds_read2_b32 v[180:181], v87 offset1:1
	s_waitcnt lgkmcnt(0)
	v_ashrrev_i32_e32 v176, s20, v180
	v_add_u32_e32 v180, 0x4200, v188
	ds_read2_b32 v[182:183], v180 offset1:1
	v_and_b32_e32 v178, 0x3030303, v176
	v_bfe_u32 v176, v176, 24, 2
	s_waitcnt lgkmcnt(0)
	v_ashrrev_i32_e32 v180, s18, v182
	v_lshlrev_b32_e32 v180, 2, v180
	v_and_b32_e32 v180, 0x4040404, v180
	v_sub_u16_e32 v182, v178, v180
	v_sub_u16_sdwa v184, v178, v180 dst_sel:BYTE_1 dst_unused:UNUSED_PAD src0_sel:BYTE_1 src1_sel:BYTE_1
	v_sub_u16_sdwa v176, v176, v180 dst_sel:BYTE_1 dst_unused:UNUSED_PAD src0_sel:DWORD src1_sel:BYTE_3
	v_sub_u16_sdwa v178, v178, v180 dst_sel:DWORD dst_unused:UNUSED_PAD src0_sel:WORD_1 src1_sel:WORD_1
	v_or_b32_sdwa v176, v178, v176 dst_sel:WORD_1 dst_unused:UNUSED_PAD src0_sel:BYTE_0 src1_sel:DWORD
	v_ashrrev_i32_e32 v178, s20, v181
	v_ashrrev_i32_e32 v181, s18, v183
	v_lshlrev_b32_e32 v181, 2, v181
	v_or_b32_sdwa v182, v182, v184 dst_sel:DWORD dst_unused:UNUSED_PAD src0_sel:BYTE_0 src1_sel:DWORD
	v_and_b32_e32 v180, 0x3030303, v178
	v_bfe_u32 v178, v178, 24, 2
	v_and_b32_e32 v181, 0x4040404, v181
	v_or_b32_sdwa v176, v182, v176 dst_sel:DWORD dst_unused:UNUSED_PAD src0_sel:WORD_0 src1_sel:DWORD
	v_sub_u16_e32 v182, v180, v181
	v_sub_u16_sdwa v183, v180, v181 dst_sel:BYTE_1 dst_unused:UNUSED_PAD src0_sel:BYTE_1 src1_sel:BYTE_1
	v_sub_u16_sdwa v178, v178, v181 dst_sel:BYTE_1 dst_unused:UNUSED_PAD src0_sel:DWORD src1_sel:BYTE_3
	v_sub_u16_sdwa v180, v180, v181 dst_sel:DWORD dst_unused:UNUSED_PAD src0_sel:WORD_1 src1_sel:WORD_1
	v_or_b32_sdwa v182, v182, v183 dst_sel:DWORD dst_unused:UNUSED_PAD src0_sel:BYTE_0 src1_sel:DWORD
	v_or_b32_sdwa v178, v180, v178 dst_sel:WORD_1 dst_unused:UNUSED_PAD src0_sel:BYTE_0 src1_sel:DWORD
	v_or_b32_sdwa v178, v182, v178 dst_sel:DWORD dst_unused:UNUSED_PAD src0_sel:WORD_0 src1_sel:DWORD
	v_add_u32_e32 v182, 0x4208, v188
	ds_read2_b32 v[180:181], v87 offset0:2 offset1:3
	ds_read2_b32 v[182:183], v182 offset1:1
	s_waitcnt lgkmcnt(1)
	v_ashrrev_i32_e32 v180, s20, v180
	s_waitcnt lgkmcnt(0)
	v_ashrrev_i32_e32 v182, s18, v182
	v_lshlrev_b32_e32 v182, 2, v182
	v_and_b32_e32 v184, 0x3030303, v180
	v_bfe_u32 v180, v180, 24, 2
	v_and_b32_e32 v182, 0x4040404, v182
	v_ashrrev_i32_e32 v183, s18, v183
	v_sub_u16_e32 v185, v184, v182
	v_sub_u16_sdwa v186, v184, v182 dst_sel:BYTE_1 dst_unused:UNUSED_PAD src0_sel:BYTE_1 src1_sel:BYTE_1
	v_sub_u16_sdwa v180, v180, v182 dst_sel:BYTE_1 dst_unused:UNUSED_PAD src0_sel:DWORD src1_sel:BYTE_3
	v_sub_u16_sdwa v182, v184, v182 dst_sel:DWORD dst_unused:UNUSED_PAD src0_sel:WORD_1 src1_sel:WORD_1
	v_ashrrev_i32_e32 v181, s20, v181
	v_lshlrev_b32_e32 v183, 2, v183
	v_or_b32_sdwa v185, v185, v186 dst_sel:DWORD dst_unused:UNUSED_PAD src0_sel:BYTE_0 src1_sel:DWORD
	v_or_b32_sdwa v180, v182, v180 dst_sel:WORD_1 dst_unused:UNUSED_PAD src0_sel:BYTE_0 src1_sel:DWORD
	v_and_b32_e32 v182, 0x3030303, v181
	v_bfe_u32 v181, v181, 24, 2
	v_and_b32_e32 v183, 0x4040404, v183
	v_or_b32_sdwa v180, v185, v180 dst_sel:DWORD dst_unused:UNUSED_PAD src0_sel:WORD_0 src1_sel:DWORD
	v_sub_u16_e32 v184, v182, v183
	v_sub_u16_sdwa v185, v182, v183 dst_sel:BYTE_1 dst_unused:UNUSED_PAD src0_sel:BYTE_1 src1_sel:BYTE_1
	v_sub_u16_sdwa v181, v181, v183 dst_sel:BYTE_1 dst_unused:UNUSED_PAD src0_sel:DWORD src1_sel:BYTE_3
	v_sub_u16_sdwa v182, v182, v183 dst_sel:DWORD dst_unused:UNUSED_PAD src0_sel:WORD_1 src1_sel:WORD_1
	v_or_b32_sdwa v184, v184, v185 dst_sel:DWORD dst_unused:UNUSED_PAD src0_sel:BYTE_0 src1_sel:DWORD
	v_or_b32_sdwa v181, v182, v181 dst_sel:WORD_1 dst_unused:UNUSED_PAD src0_sel:BYTE_0 src1_sel:DWORD
	v_or_b32_sdwa v181, v184, v181 dst_sel:DWORD dst_unused:UNUSED_PAD src0_sel:WORD_0 src1_sel:DWORD
	v_add_u32_e32 v184, 0x4210, v188
	ds_read2_b32 v[182:183], v87 offset0:4 offset1:5
	ds_read2_b32 v[184:185], v184 offset1:1
	s_waitcnt lgkmcnt(1)
	v_ashrrev_i32_e32 v182, s20, v182
	s_waitcnt lgkmcnt(0)
	v_ashrrev_i32_e32 v184, s18, v184
	v_lshlrev_b32_e32 v184, 2, v184
	v_and_b32_e32 v186, 0x3030303, v182
	v_bfe_u32 v182, v182, 24, 2
	v_and_b32_e32 v184, 0x4040404, v184
	v_ashrrev_i32_e32 v185, s18, v185
	v_sub_u16_e32 v187, v186, v184
	v_sub_u16_sdwa v189, v186, v184 dst_sel:BYTE_1 dst_unused:UNUSED_PAD src0_sel:BYTE_1 src1_sel:BYTE_1
	v_sub_u16_sdwa v182, v182, v184 dst_sel:BYTE_1 dst_unused:UNUSED_PAD src0_sel:DWORD src1_sel:BYTE_3
	v_sub_u16_sdwa v184, v186, v184 dst_sel:DWORD dst_unused:UNUSED_PAD src0_sel:WORD_1 src1_sel:WORD_1
	v_ashrrev_i32_e32 v183, s20, v183
	v_lshlrev_b32_e32 v185, 2, v185
	v_or_b32_sdwa v187, v187, v189 dst_sel:DWORD dst_unused:UNUSED_PAD src0_sel:BYTE_0 src1_sel:DWORD
	v_or_b32_sdwa v182, v184, v182 dst_sel:WORD_1 dst_unused:UNUSED_PAD src0_sel:BYTE_0 src1_sel:DWORD
	v_and_b32_e32 v184, 0x3030303, v183
	v_bfe_u32 v183, v183, 24, 2
	v_and_b32_e32 v185, 0x4040404, v185
	v_or_b32_sdwa v182, v187, v182 dst_sel:DWORD dst_unused:UNUSED_PAD src0_sel:WORD_0 src1_sel:DWORD
	v_sub_u16_e32 v186, v184, v185
	v_sub_u16_sdwa v187, v184, v185 dst_sel:BYTE_1 dst_unused:UNUSED_PAD src0_sel:BYTE_1 src1_sel:BYTE_1
	v_sub_u16_sdwa v183, v183, v185 dst_sel:BYTE_1 dst_unused:UNUSED_PAD src0_sel:DWORD src1_sel:BYTE_3
	v_sub_u16_sdwa v184, v184, v185 dst_sel:DWORD dst_unused:UNUSED_PAD src0_sel:WORD_1 src1_sel:WORD_1
	v_or_b32_sdwa v186, v186, v187 dst_sel:DWORD dst_unused:UNUSED_PAD src0_sel:BYTE_0 src1_sel:DWORD
	v_or_b32_sdwa v183, v184, v183 dst_sel:WORD_1 dst_unused:UNUSED_PAD src0_sel:BYTE_0 src1_sel:DWORD
	v_add_u32_e32 v185, 0x4218, v188
	v_or_b32_sdwa v184, v186, v183 dst_sel:DWORD dst_unused:UNUSED_PAD src0_sel:WORD_0 src1_sel:DWORD
	ds_read2_b32 v[186:187], v87 offset0:6 offset1:7
	ds_read2_b32 v[188:189], v185 offset1:1
	s_waitcnt lgkmcnt(1)
	v_ashrrev_i32_e32 v87, s20, v186
	s_waitcnt lgkmcnt(0)
	v_ashrrev_i32_e32 v185, s18, v188
	v_lshlrev_b32_e32 v185, 2, v185
	v_and_b32_e32 v183, 0x3030303, v87
	v_bfe_u32 v87, v87, 24, 2
	v_and_b32_e32 v185, 0x4040404, v185
	v_sub_u16_e32 v186, v183, v185
	v_sub_u16_sdwa v188, v183, v185 dst_sel:BYTE_1 dst_unused:UNUSED_PAD src0_sel:BYTE_1 src1_sel:BYTE_1
	v_sub_u16_sdwa v87, v87, v185 dst_sel:BYTE_1 dst_unused:UNUSED_PAD src0_sel:DWORD src1_sel:BYTE_3
	v_sub_u16_sdwa v183, v183, v185 dst_sel:DWORD dst_unused:UNUSED_PAD src0_sel:WORD_1 src1_sel:WORD_1
	v_or_b32_sdwa v186, v186, v188 dst_sel:DWORD dst_unused:UNUSED_PAD src0_sel:BYTE_0 src1_sel:DWORD
	v_or_b32_sdwa v87, v183, v87 dst_sel:WORD_1 dst_unused:UNUSED_PAD src0_sel:BYTE_0 src1_sel:DWORD
	v_or_b32_sdwa v185, v186, v87 dst_sel:DWORD dst_unused:UNUSED_PAD src0_sel:WORD_0 src1_sel:DWORD
	v_ashrrev_i32_e32 v186, s18, v189
	v_ashrrev_i32_e32 v87, s20, v187
	v_lshlrev_b32_e32 v186, 2, v186
	v_and_b32_e32 v183, 0x3030303, v87
	v_bfe_u32 v87, v87, 24, 2
	v_and_b32_e32 v186, 0x4040404, v186
	v_sub_u16_e32 v187, v183, v186
	v_sub_u16_sdwa v188, v183, v186 dst_sel:BYTE_1 dst_unused:UNUSED_PAD src0_sel:BYTE_1 src1_sel:BYTE_1
	v_sub_u16_sdwa v87, v87, v186 dst_sel:BYTE_1 dst_unused:UNUSED_PAD src0_sel:DWORD src1_sel:BYTE_3
	v_sub_u16_sdwa v183, v183, v186 dst_sel:DWORD dst_unused:UNUSED_PAD src0_sel:WORD_1 src1_sel:WORD_1
	v_or_b32_sdwa v187, v187, v188 dst_sel:DWORD dst_unused:UNUSED_PAD src0_sel:BYTE_0 src1_sel:DWORD
	v_or_b32_sdwa v87, v183, v87 dst_sel:WORD_1 dst_unused:UNUSED_PAD src0_sel:BYTE_0 src1_sel:DWORD
	v_or_b32_sdwa v186, v187, v87 dst_sel:DWORD dst_unused:UNUSED_PAD src0_sel:WORD_0 src1_sel:DWORD
	v_add3_u32 v87, v144, s21, v86
	v_add_u32_e32 v183, s24, v131
	ds_read_b32 v183, v183
	ds_read_u16 v87, v87 offset:9218
	v_mov_b32_e32 v188, 0
	v_dot4c_i32_i8_e32 v188, v176, v4
	v_dot4c_i32_i8_e32 v188, v178, v5
	;; [unrolled: 1-line block ×3, first 2 shown]
	s_waitcnt lgkmcnt(0)
	v_lshrrev_b16_e32 v189, 8, v87
	v_bfe_i32 v187, v87, 0, 8
	v_mov_b32_e32 v87, 0
	v_dot4c_i32_i8_e32 v87, v182, v0
	v_dot4c_i32_i8_e32 v87, v184, v1
	;; [unrolled: 1-line block ×5, first 2 shown]
	v_bfe_i32 v190, v189, 0, 8
	v_mul_lo_u32 v188, v188, v187
	s_nop 0
	v_mad_u64_u32 v[188:189], s[26:27], v87, v190, v[188:189]
	v_cvt_f32_i32_e32 v188, v188
	v_mul_f32_e32 v87, v84, v183
	v_fmac_f32_e32 v110, v87, v188
	v_add_u32_e32 v87, s23, v133
	ds_read2_b32 v[188:189], v87 offset1:1
	s_waitcnt lgkmcnt(0)
	v_ashrrev_i32_e32 v188, s20, v188
	v_and_b32_e32 v191, 0x3030303, v188
	v_bfe_u32 v188, v188, 24, 2
	v_sub_u16_e32 v194, v191, v192
	v_sub_u16_sdwa v195, v191, v192 dst_sel:BYTE_1 dst_unused:UNUSED_PAD src0_sel:BYTE_1 src1_sel:BYTE_1
	v_sub_u16_sdwa v188, v188, v192 dst_sel:BYTE_1 dst_unused:UNUSED_PAD src0_sel:DWORD src1_sel:BYTE_3
	v_sub_u16_sdwa v191, v191, v192 dst_sel:DWORD dst_unused:UNUSED_PAD src0_sel:WORD_1 src1_sel:WORD_1
	v_ashrrev_i32_e32 v192, s18, v193
	v_ashrrev_i32_e32 v189, s20, v189
	v_lshlrev_b32_e32 v192, 2, v192
	v_or_b32_sdwa v194, v194, v195 dst_sel:DWORD dst_unused:UNUSED_PAD src0_sel:BYTE_0 src1_sel:DWORD
	v_or_b32_sdwa v188, v191, v188 dst_sel:WORD_1 dst_unused:UNUSED_PAD src0_sel:BYTE_0 src1_sel:DWORD
	v_and_b32_e32 v191, 0x3030303, v189
	v_bfe_u32 v189, v189, 24, 2
	v_and_b32_e32 v192, 0x4040404, v192
	v_or_b32_sdwa v188, v194, v188 dst_sel:DWORD dst_unused:UNUSED_PAD src0_sel:WORD_0 src1_sel:DWORD
	v_sub_u16_e32 v193, v191, v192
	v_sub_u16_sdwa v194, v191, v192 dst_sel:BYTE_1 dst_unused:UNUSED_PAD src0_sel:BYTE_1 src1_sel:BYTE_1
	v_sub_u16_sdwa v189, v189, v192 dst_sel:BYTE_1 dst_unused:UNUSED_PAD src0_sel:DWORD src1_sel:BYTE_3
	v_sub_u16_sdwa v191, v191, v192 dst_sel:DWORD dst_unused:UNUSED_PAD src0_sel:WORD_1 src1_sel:WORD_1
	v_or_b32_sdwa v193, v193, v194 dst_sel:DWORD dst_unused:UNUSED_PAD src0_sel:BYTE_0 src1_sel:DWORD
	v_or_b32_sdwa v189, v191, v189 dst_sel:WORD_1 dst_unused:UNUSED_PAD src0_sel:BYTE_0 src1_sel:DWORD
	v_add_u32_e32 v194, 0x4208, v198
	v_or_b32_sdwa v189, v193, v189 dst_sel:DWORD dst_unused:UNUSED_PAD src0_sel:WORD_0 src1_sel:DWORD
	ds_read2_b32 v[192:193], v87 offset0:2 offset1:3
	ds_read2_b32 v[194:195], v194 offset1:1
	s_waitcnt lgkmcnt(1)
	v_ashrrev_i32_e32 v191, s20, v192
	s_waitcnt lgkmcnt(0)
	v_ashrrev_i32_e32 v194, s18, v194
	v_lshlrev_b32_e32 v194, 2, v194
	v_and_b32_e32 v192, 0x3030303, v191
	v_bfe_u32 v191, v191, 24, 2
	v_and_b32_e32 v194, 0x4040404, v194
	v_sub_u16_e32 v196, v192, v194
	v_sub_u16_sdwa v197, v192, v194 dst_sel:BYTE_1 dst_unused:UNUSED_PAD src0_sel:BYTE_1 src1_sel:BYTE_1
	v_sub_u16_sdwa v191, v191, v194 dst_sel:BYTE_1 dst_unused:UNUSED_PAD src0_sel:DWORD src1_sel:BYTE_3
	v_sub_u16_sdwa v192, v192, v194 dst_sel:DWORD dst_unused:UNUSED_PAD src0_sel:WORD_1 src1_sel:WORD_1
	v_ashrrev_i32_e32 v194, s18, v195
	v_or_b32_sdwa v191, v192, v191 dst_sel:WORD_1 dst_unused:UNUSED_PAD src0_sel:BYTE_0 src1_sel:DWORD
	v_ashrrev_i32_e32 v192, s20, v193
	v_lshlrev_b32_e32 v194, 2, v194
	v_or_b32_sdwa v196, v196, v197 dst_sel:DWORD dst_unused:UNUSED_PAD src0_sel:BYTE_0 src1_sel:DWORD
	v_and_b32_e32 v193, 0x3030303, v192
	v_bfe_u32 v192, v192, 24, 2
	v_and_b32_e32 v194, 0x4040404, v194
	v_or_b32_sdwa v191, v196, v191 dst_sel:DWORD dst_unused:UNUSED_PAD src0_sel:WORD_0 src1_sel:DWORD
	v_sub_u16_e32 v195, v193, v194
	v_sub_u16_sdwa v196, v193, v194 dst_sel:BYTE_1 dst_unused:UNUSED_PAD src0_sel:BYTE_1 src1_sel:BYTE_1
	v_sub_u16_sdwa v192, v192, v194 dst_sel:BYTE_1 dst_unused:UNUSED_PAD src0_sel:DWORD src1_sel:BYTE_3
	v_sub_u16_sdwa v193, v193, v194 dst_sel:DWORD dst_unused:UNUSED_PAD src0_sel:WORD_1 src1_sel:WORD_1
	v_or_b32_sdwa v195, v195, v196 dst_sel:DWORD dst_unused:UNUSED_PAD src0_sel:BYTE_0 src1_sel:DWORD
	v_or_b32_sdwa v192, v193, v192 dst_sel:WORD_1 dst_unused:UNUSED_PAD src0_sel:BYTE_0 src1_sel:DWORD
	v_add_u32_e32 v196, 0x4210, v198
	v_or_b32_sdwa v192, v195, v192 dst_sel:DWORD dst_unused:UNUSED_PAD src0_sel:WORD_0 src1_sel:DWORD
	ds_read2_b32 v[194:195], v87 offset0:4 offset1:5
	ds_read2_b32 v[196:197], v196 offset1:1
	s_waitcnt lgkmcnt(1)
	v_ashrrev_i32_e32 v193, s20, v194
	s_waitcnt lgkmcnt(0)
	v_ashrrev_i32_e32 v196, s18, v196
	v_lshlrev_b32_e32 v196, 2, v196
	v_and_b32_e32 v194, 0x3030303, v193
	v_bfe_u32 v193, v193, 24, 2
	v_and_b32_e32 v196, 0x4040404, v196
	v_sub_u16_e32 v199, v194, v196
	v_sub_u16_sdwa v200, v194, v196 dst_sel:BYTE_1 dst_unused:UNUSED_PAD src0_sel:BYTE_1 src1_sel:BYTE_1
	v_sub_u16_sdwa v193, v193, v196 dst_sel:BYTE_1 dst_unused:UNUSED_PAD src0_sel:DWORD src1_sel:BYTE_3
	v_sub_u16_sdwa v194, v194, v196 dst_sel:DWORD dst_unused:UNUSED_PAD src0_sel:WORD_1 src1_sel:WORD_1
	v_ashrrev_i32_e32 v196, s18, v197
	v_or_b32_sdwa v193, v194, v193 dst_sel:WORD_1 dst_unused:UNUSED_PAD src0_sel:BYTE_0 src1_sel:DWORD
	v_ashrrev_i32_e32 v194, s20, v195
	v_lshlrev_b32_e32 v196, 2, v196
	v_or_b32_sdwa v199, v199, v200 dst_sel:DWORD dst_unused:UNUSED_PAD src0_sel:BYTE_0 src1_sel:DWORD
	v_and_b32_e32 v195, 0x3030303, v194
	v_bfe_u32 v194, v194, 24, 2
	v_and_b32_e32 v196, 0x4040404, v196
	v_or_b32_sdwa v193, v199, v193 dst_sel:DWORD dst_unused:UNUSED_PAD src0_sel:WORD_0 src1_sel:DWORD
	v_sub_u16_e32 v197, v195, v196
	v_sub_u16_sdwa v199, v195, v196 dst_sel:BYTE_1 dst_unused:UNUSED_PAD src0_sel:BYTE_1 src1_sel:BYTE_1
	v_sub_u16_sdwa v194, v194, v196 dst_sel:BYTE_1 dst_unused:UNUSED_PAD src0_sel:DWORD src1_sel:BYTE_3
	v_sub_u16_sdwa v195, v195, v196 dst_sel:DWORD dst_unused:UNUSED_PAD src0_sel:WORD_1 src1_sel:WORD_1
	v_or_b32_sdwa v197, v197, v199 dst_sel:DWORD dst_unused:UNUSED_PAD src0_sel:BYTE_0 src1_sel:DWORD
	v_or_b32_sdwa v194, v195, v194 dst_sel:WORD_1 dst_unused:UNUSED_PAD src0_sel:BYTE_0 src1_sel:DWORD
	v_or_b32_sdwa v195, v197, v194 dst_sel:DWORD dst_unused:UNUSED_PAD src0_sel:WORD_0 src1_sel:DWORD
	ds_read2_b32 v[196:197], v87 offset0:6 offset1:7
	s_waitcnt lgkmcnt(0)
	v_ashrrev_i32_e32 v87, s20, v196
	v_add_u32_e32 v196, 0x4218, v198
	ds_read2_b32 v[198:199], v196 offset1:1
	v_and_b32_e32 v194, 0x3030303, v87
	v_bfe_u32 v87, v87, 24, 2
	s_waitcnt lgkmcnt(0)
	v_ashrrev_i32_e32 v196, s18, v198
	v_lshlrev_b32_e32 v196, 2, v196
	v_and_b32_e32 v196, 0x4040404, v196
	v_sub_u16_e32 v198, v194, v196
	v_sub_u16_sdwa v200, v194, v196 dst_sel:BYTE_1 dst_unused:UNUSED_PAD src0_sel:BYTE_1 src1_sel:BYTE_1
	v_sub_u16_sdwa v87, v87, v196 dst_sel:BYTE_1 dst_unused:UNUSED_PAD src0_sel:DWORD src1_sel:BYTE_3
	v_sub_u16_sdwa v194, v194, v196 dst_sel:DWORD dst_unused:UNUSED_PAD src0_sel:WORD_1 src1_sel:WORD_1
	v_or_b32_sdwa v198, v198, v200 dst_sel:DWORD dst_unused:UNUSED_PAD src0_sel:BYTE_0 src1_sel:DWORD
	v_or_b32_sdwa v87, v194, v87 dst_sel:WORD_1 dst_unused:UNUSED_PAD src0_sel:BYTE_0 src1_sel:DWORD
	v_or_b32_sdwa v196, v198, v87 dst_sel:DWORD dst_unused:UNUSED_PAD src0_sel:WORD_0 src1_sel:DWORD
	v_ashrrev_i32_e32 v87, s20, v197
	v_ashrrev_i32_e32 v197, s18, v199
	v_lshlrev_b32_e32 v197, 2, v197
	v_and_b32_e32 v194, 0x3030303, v87
	v_bfe_u32 v87, v87, 24, 2
	v_and_b32_e32 v197, 0x4040404, v197
	v_sub_u16_e32 v198, v194, v197
	v_sub_u16_sdwa v199, v194, v197 dst_sel:BYTE_1 dst_unused:UNUSED_PAD src0_sel:BYTE_1 src1_sel:BYTE_1
	v_sub_u16_sdwa v87, v87, v197 dst_sel:BYTE_1 dst_unused:UNUSED_PAD src0_sel:DWORD src1_sel:BYTE_3
	v_sub_u16_sdwa v194, v194, v197 dst_sel:DWORD dst_unused:UNUSED_PAD src0_sel:WORD_1 src1_sel:WORD_1
	v_or_b32_sdwa v198, v198, v199 dst_sel:DWORD dst_unused:UNUSED_PAD src0_sel:BYTE_0 src1_sel:DWORD
	v_or_b32_sdwa v87, v194, v87 dst_sel:WORD_1 dst_unused:UNUSED_PAD src0_sel:BYTE_0 src1_sel:DWORD
	v_or_b32_sdwa v197, v198, v87 dst_sel:DWORD dst_unused:UNUSED_PAD src0_sel:WORD_0 src1_sel:DWORD
	v_add3_u32 v87, v146, s21, v86
	v_add_u32_e32 v194, s24, v134
	ds_read_b32 v194, v194
	ds_read_u16 v87, v87 offset:10242
	v_mov_b32_e32 v199, 0
	v_dot4c_i32_i8_e32 v199, v188, v4
	v_dot4c_i32_i8_e32 v199, v189, v5
	;; [unrolled: 1-line block ×3, first 2 shown]
	s_waitcnt lgkmcnt(0)
	v_lshrrev_b16_e32 v201, 8, v87
	v_bfe_i32 v198, v87, 0, 8
	v_mov_b32_e32 v87, 0
	v_dot4c_i32_i8_e32 v87, v193, v0
	v_dot4c_i32_i8_e32 v87, v195, v1
	;; [unrolled: 1-line block ×5, first 2 shown]
	v_bfe_i32 v201, v201, 0, 8
	v_mul_lo_u32 v200, v199, v198
	v_add3_u32 v86, v148, s21, v86
	v_mad_u64_u32 v[202:203], s[26:27], v87, v201, v[200:201]
	v_cvt_f32_i32_e32 v199, v202
	v_mul_f32_e32 v87, v84, v194
	s_mov_b32 s21, s20
	v_fmac_f32_e32 v104, v87, v199
	v_add_u32_e32 v87, s23, v136
	ds_read2_b32 v[202:203], v87 offset1:1
	s_waitcnt lgkmcnt(0)
	v_ashrrev_i32_e32 v199, s20, v202
	v_add_u32_e32 v202, 0x4200, v210
	ds_read2_b32 v[204:205], v202 offset1:1
	v_and_b32_e32 v200, 0x3030303, v199
	v_bfe_u32 v199, v199, 24, 2
	s_waitcnt lgkmcnt(0)
	v_ashrrev_i32_e32 v202, s18, v204
	v_lshlrev_b32_e32 v202, 2, v202
	v_and_b32_e32 v202, 0x4040404, v202
	v_sub_u16_e32 v204, v200, v202
	v_sub_u16_sdwa v206, v200, v202 dst_sel:BYTE_1 dst_unused:UNUSED_PAD src0_sel:BYTE_1 src1_sel:BYTE_1
	v_sub_u16_sdwa v199, v199, v202 dst_sel:BYTE_1 dst_unused:UNUSED_PAD src0_sel:DWORD src1_sel:BYTE_3
	v_sub_u16_sdwa v200, v200, v202 dst_sel:DWORD dst_unused:UNUSED_PAD src0_sel:WORD_1 src1_sel:WORD_1
	v_or_b32_sdwa v199, v200, v199 dst_sel:WORD_1 dst_unused:UNUSED_PAD src0_sel:BYTE_0 src1_sel:DWORD
	v_ashrrev_i32_e32 v200, s20, v203
	v_ashrrev_i32_e32 v203, s18, v205
	v_lshlrev_b32_e32 v203, 2, v203
	v_or_b32_sdwa v204, v204, v206 dst_sel:DWORD dst_unused:UNUSED_PAD src0_sel:BYTE_0 src1_sel:DWORD
	v_and_b32_e32 v202, 0x3030303, v200
	v_bfe_u32 v200, v200, 24, 2
	v_and_b32_e32 v203, 0x4040404, v203
	v_or_b32_sdwa v199, v204, v199 dst_sel:DWORD dst_unused:UNUSED_PAD src0_sel:WORD_0 src1_sel:DWORD
	v_sub_u16_e32 v204, v202, v203
	v_sub_u16_sdwa v205, v202, v203 dst_sel:BYTE_1 dst_unused:UNUSED_PAD src0_sel:BYTE_1 src1_sel:BYTE_1
	v_sub_u16_sdwa v200, v200, v203 dst_sel:BYTE_1 dst_unused:UNUSED_PAD src0_sel:DWORD src1_sel:BYTE_3
	v_sub_u16_sdwa v202, v202, v203 dst_sel:DWORD dst_unused:UNUSED_PAD src0_sel:WORD_1 src1_sel:WORD_1
	v_or_b32_sdwa v204, v204, v205 dst_sel:DWORD dst_unused:UNUSED_PAD src0_sel:BYTE_0 src1_sel:DWORD
	v_or_b32_sdwa v200, v202, v200 dst_sel:WORD_1 dst_unused:UNUSED_PAD src0_sel:BYTE_0 src1_sel:DWORD
	v_or_b32_sdwa v200, v204, v200 dst_sel:DWORD dst_unused:UNUSED_PAD src0_sel:WORD_0 src1_sel:DWORD
	v_add_u32_e32 v204, 0x4208, v210
	ds_read2_b32 v[202:203], v87 offset0:2 offset1:3
	ds_read2_b32 v[204:205], v204 offset1:1
	s_waitcnt lgkmcnt(1)
	v_ashrrev_i32_e32 v202, s20, v202
	s_waitcnt lgkmcnt(0)
	v_ashrrev_i32_e32 v204, s18, v204
	v_lshlrev_b32_e32 v204, 2, v204
	v_and_b32_e32 v206, 0x3030303, v202
	v_bfe_u32 v202, v202, 24, 2
	v_and_b32_e32 v204, 0x4040404, v204
	v_ashrrev_i32_e32 v205, s18, v205
	v_sub_u16_e32 v207, v206, v204
	v_sub_u16_sdwa v208, v206, v204 dst_sel:BYTE_1 dst_unused:UNUSED_PAD src0_sel:BYTE_1 src1_sel:BYTE_1
	v_sub_u16_sdwa v202, v202, v204 dst_sel:BYTE_1 dst_unused:UNUSED_PAD src0_sel:DWORD src1_sel:BYTE_3
	v_sub_u16_sdwa v204, v206, v204 dst_sel:DWORD dst_unused:UNUSED_PAD src0_sel:WORD_1 src1_sel:WORD_1
	v_ashrrev_i32_e32 v203, s20, v203
	v_lshlrev_b32_e32 v205, 2, v205
	v_or_b32_sdwa v207, v207, v208 dst_sel:DWORD dst_unused:UNUSED_PAD src0_sel:BYTE_0 src1_sel:DWORD
	v_or_b32_sdwa v202, v204, v202 dst_sel:WORD_1 dst_unused:UNUSED_PAD src0_sel:BYTE_0 src1_sel:DWORD
	v_and_b32_e32 v204, 0x3030303, v203
	v_bfe_u32 v203, v203, 24, 2
	v_and_b32_e32 v205, 0x4040404, v205
	v_or_b32_sdwa v202, v207, v202 dst_sel:DWORD dst_unused:UNUSED_PAD src0_sel:WORD_0 src1_sel:DWORD
	v_sub_u16_e32 v206, v204, v205
	v_sub_u16_sdwa v207, v204, v205 dst_sel:BYTE_1 dst_unused:UNUSED_PAD src0_sel:BYTE_1 src1_sel:BYTE_1
	v_sub_u16_sdwa v203, v203, v205 dst_sel:BYTE_1 dst_unused:UNUSED_PAD src0_sel:DWORD src1_sel:BYTE_3
	v_sub_u16_sdwa v204, v204, v205 dst_sel:DWORD dst_unused:UNUSED_PAD src0_sel:WORD_1 src1_sel:WORD_1
	v_or_b32_sdwa v206, v206, v207 dst_sel:DWORD dst_unused:UNUSED_PAD src0_sel:BYTE_0 src1_sel:DWORD
	v_or_b32_sdwa v203, v204, v203 dst_sel:WORD_1 dst_unused:UNUSED_PAD src0_sel:BYTE_0 src1_sel:DWORD
	v_or_b32_sdwa v203, v206, v203 dst_sel:DWORD dst_unused:UNUSED_PAD src0_sel:WORD_0 src1_sel:DWORD
	v_add_u32_e32 v206, 0x4210, v210
	ds_read2_b32 v[204:205], v87 offset0:4 offset1:5
	ds_read2_b32 v[206:207], v206 offset1:1
	s_waitcnt lgkmcnt(1)
	v_ashrrev_i32_e32 v204, s20, v204
	s_waitcnt lgkmcnt(0)
	v_ashrrev_i32_e32 v206, s18, v206
	v_lshlrev_b32_e32 v206, 2, v206
	v_and_b32_e32 v208, 0x3030303, v204
	v_bfe_u32 v204, v204, 24, 2
	v_and_b32_e32 v206, 0x4040404, v206
	v_ashrrev_i32_e32 v207, s18, v207
	v_sub_u16_e32 v209, v208, v206
	v_sub_u16_sdwa v211, v208, v206 dst_sel:BYTE_1 dst_unused:UNUSED_PAD src0_sel:BYTE_1 src1_sel:BYTE_1
	v_sub_u16_sdwa v204, v204, v206 dst_sel:BYTE_1 dst_unused:UNUSED_PAD src0_sel:DWORD src1_sel:BYTE_3
	v_sub_u16_sdwa v206, v208, v206 dst_sel:DWORD dst_unused:UNUSED_PAD src0_sel:WORD_1 src1_sel:WORD_1
	v_ashrrev_i32_e32 v205, s20, v205
	v_lshlrev_b32_e32 v207, 2, v207
	v_or_b32_sdwa v209, v209, v211 dst_sel:DWORD dst_unused:UNUSED_PAD src0_sel:BYTE_0 src1_sel:DWORD
	v_or_b32_sdwa v204, v206, v204 dst_sel:WORD_1 dst_unused:UNUSED_PAD src0_sel:BYTE_0 src1_sel:DWORD
	v_and_b32_e32 v206, 0x3030303, v205
	v_bfe_u32 v205, v205, 24, 2
	v_and_b32_e32 v207, 0x4040404, v207
	v_or_b32_sdwa v204, v209, v204 dst_sel:DWORD dst_unused:UNUSED_PAD src0_sel:WORD_0 src1_sel:DWORD
	v_sub_u16_e32 v208, v206, v207
	v_sub_u16_sdwa v209, v206, v207 dst_sel:BYTE_1 dst_unused:UNUSED_PAD src0_sel:BYTE_1 src1_sel:BYTE_1
	v_sub_u16_sdwa v205, v205, v207 dst_sel:BYTE_1 dst_unused:UNUSED_PAD src0_sel:DWORD src1_sel:BYTE_3
	v_sub_u16_sdwa v206, v206, v207 dst_sel:DWORD dst_unused:UNUSED_PAD src0_sel:WORD_1 src1_sel:WORD_1
	v_or_b32_sdwa v208, v208, v209 dst_sel:DWORD dst_unused:UNUSED_PAD src0_sel:BYTE_0 src1_sel:DWORD
	v_or_b32_sdwa v205, v206, v205 dst_sel:WORD_1 dst_unused:UNUSED_PAD src0_sel:BYTE_0 src1_sel:DWORD
	v_add_u32_e32 v207, 0x4218, v210
	v_or_b32_sdwa v206, v208, v205 dst_sel:DWORD dst_unused:UNUSED_PAD src0_sel:WORD_0 src1_sel:DWORD
	ds_read2_b32 v[208:209], v87 offset0:6 offset1:7
	ds_read2_b32 v[210:211], v207 offset1:1
	s_waitcnt lgkmcnt(1)
	v_ashrrev_i32_e32 v87, s20, v208
	s_waitcnt lgkmcnt(0)
	v_ashrrev_i32_e32 v207, s18, v210
	v_lshlrev_b32_e32 v207, 2, v207
	v_and_b32_e32 v205, 0x3030303, v87
	v_bfe_u32 v87, v87, 24, 2
	v_and_b32_e32 v207, 0x4040404, v207
	v_sub_u16_e32 v208, v205, v207
	v_sub_u16_sdwa v210, v205, v207 dst_sel:BYTE_1 dst_unused:UNUSED_PAD src0_sel:BYTE_1 src1_sel:BYTE_1
	v_sub_u16_sdwa v87, v87, v207 dst_sel:BYTE_1 dst_unused:UNUSED_PAD src0_sel:DWORD src1_sel:BYTE_3
	v_sub_u16_sdwa v205, v205, v207 dst_sel:DWORD dst_unused:UNUSED_PAD src0_sel:WORD_1 src1_sel:WORD_1
	v_or_b32_sdwa v208, v208, v210 dst_sel:DWORD dst_unused:UNUSED_PAD src0_sel:BYTE_0 src1_sel:DWORD
	v_or_b32_sdwa v87, v205, v87 dst_sel:WORD_1 dst_unused:UNUSED_PAD src0_sel:BYTE_0 src1_sel:DWORD
	v_or_b32_sdwa v207, v208, v87 dst_sel:DWORD dst_unused:UNUSED_PAD src0_sel:WORD_0 src1_sel:DWORD
	v_ashrrev_i32_e32 v208, s18, v211
	v_ashrrev_i32_e32 v87, s20, v209
	v_lshlrev_b32_e32 v208, 2, v208
	v_and_b32_e32 v205, 0x3030303, v87
	v_bfe_u32 v87, v87, 24, 2
	v_and_b32_e32 v208, 0x4040404, v208
	v_sub_u16_e32 v209, v205, v208
	v_sub_u16_sdwa v210, v205, v208 dst_sel:BYTE_1 dst_unused:UNUSED_PAD src0_sel:BYTE_1 src1_sel:BYTE_1
	v_sub_u16_sdwa v87, v87, v208 dst_sel:BYTE_1 dst_unused:UNUSED_PAD src0_sel:DWORD src1_sel:BYTE_3
	v_sub_u16_sdwa v205, v205, v208 dst_sel:DWORD dst_unused:UNUSED_PAD src0_sel:WORD_1 src1_sel:WORD_1
	v_or_b32_sdwa v209, v209, v210 dst_sel:DWORD dst_unused:UNUSED_PAD src0_sel:BYTE_0 src1_sel:DWORD
	v_or_b32_sdwa v87, v205, v87 dst_sel:WORD_1 dst_unused:UNUSED_PAD src0_sel:BYTE_0 src1_sel:DWORD
	v_or_b32_sdwa v208, v209, v87 dst_sel:DWORD dst_unused:UNUSED_PAD src0_sel:WORD_0 src1_sel:DWORD
	v_add_u32_e32 v87, s24, v137
	ds_read_b32 v205, v87
	v_mov_b32_e32 v87, 0
	v_dot4c_i32_i8_e32 v87, v199, v4
	ds_read_u16 v4, v86 offset:11266
	v_dot4c_i32_i8_e32 v87, v200, v5
	v_dot4c_i32_i8_e32 v87, v202, v6
	v_mov_b32_e32 v6, 0
	v_dot4c_i32_i8_e32 v6, v204, v0
	v_dot4c_i32_i8_e32 v6, v206, v1
	;; [unrolled: 1-line block ×3, first 2 shown]
	s_waitcnt lgkmcnt(0)
	v_lshrrev_b16_e32 v5, 8, v4
	v_bfe_i32 v209, v4, 0, 8
	v_dot4c_i32_i8_e32 v6, v207, v2
	v_mul_lo_u32 v4, v87, v209
	v_dot4c_i32_i8_e32 v6, v208, v3
	v_bfe_i32 v210, v5, 0, 8
	v_mov_b32_e32 v86, 0
	s_add_i32 s18, s18, 1
	v_mad_u64_u32 v[0:1], s[22:23], v6, v210, v[4:5]
	v_cvt_f32_i32_e32 v0, v0
	v_mul_f32_e32 v1, v84, v205
	v_mov_b32_e32 v84, 0
	s_cmp_lt_u32 s20, 6
	v_fmac_f32_e32 v103, v1, v0
	ds_read_b128 v[0:3], v165 offset:26368
	ds_read_b128 v[4:7], v165 offset:26384
	s_waitcnt lgkmcnt(1)
	v_dot4c_i32_i8_e32 v84, v167, v0
	v_dot4c_i32_i8_e32 v84, v168, v1
	s_waitcnt lgkmcnt(0)
	v_dot4c_i32_i8_e32 v86, v171, v4
	v_dot4c_i32_i8_e32 v84, v169, v2
	;; [unrolled: 1-line block ×6, first 2 shown]
	s_nop 0
	v_mul_lo_u32 v84, v84, v177
	s_nop 0
	v_mad_u64_u32 v[86:87], s[22:23], v86, v179, v[84:85]
	v_cvt_f32_i32_e32 v86, v86
	v_mul_f32_e32 v84, v172, v85
	v_fmac_f32_e32 v100, v84, v86
	v_mov_b32_e32 v84, 0
	v_dot4c_i32_i8_e32 v84, v176, v0
	v_mov_b32_e32 v86, 0
	v_dot4c_i32_i8_e32 v84, v178, v1
	v_dot4c_i32_i8_e32 v86, v182, v4
	;; [unrolled: 1-line block ×7, first 2 shown]
	s_nop 0
	v_mul_lo_u32 v84, v84, v187
	s_nop 0
	v_mad_u64_u32 v[86:87], s[22:23], v86, v190, v[84:85]
	v_cvt_f32_i32_e32 v86, v86
	v_mul_f32_e32 v84, v183, v85
	v_fmac_f32_e32 v98, v84, v86
	v_mov_b32_e32 v84, 0
	v_dot4c_i32_i8_e32 v84, v188, v0
	v_mov_b32_e32 v86, 0
	v_dot4c_i32_i8_e32 v84, v189, v1
	v_dot4c_i32_i8_e32 v86, v193, v4
	;; [unrolled: 1-line block ×7, first 2 shown]
	s_nop 0
	v_mul_lo_u32 v84, v84, v198
	s_nop 0
	v_mad_u64_u32 v[86:87], s[22:23], v86, v201, v[84:85]
	v_cvt_f32_i32_e32 v86, v86
	v_mul_f32_e32 v84, v194, v85
	v_fmac_f32_e32 v97, v84, v86
	v_mov_b32_e32 v84, 0
	v_dot4c_i32_i8_e32 v84, v199, v0
	v_dot4c_i32_i8_e32 v84, v200, v1
	v_mov_b32_e32 v1, 0
	v_dot4c_i32_i8_e32 v1, v204, v4
	v_dot4c_i32_i8_e32 v84, v202, v2
	;; [unrolled: 1-line block ×6, first 2 shown]
	s_nop 0
	v_mul_lo_u32 v0, v84, v209
	s_nop 0
	v_mad_u64_u32 v[0:1], s[22:23], v1, v210, v[0:1]
	v_cvt_f32_i32_e32 v0, v0
	v_mul_f32_e32 v1, v205, v85
	v_fmac_f32_e32 v96, v1, v0
	v_add_u32_e32 v0, 0x9800, v166
	ds_read2_b32 v[6:7], v0 offset0:40 offset1:72
	ds_read_b128 v[2:5], v165 offset:27392
	ds_read_b128 v[84:87], v165 offset:27408
	v_mov_b32_e32 v1, 0
	v_add_u32_e32 v166, 4, v166
	s_waitcnt lgkmcnt(1)
	v_dot4c_i32_i8_e32 v1, v167, v2
	v_dot4c_i32_i8_e32 v1, v168, v3
	;; [unrolled: 1-line block ×4, first 2 shown]
	s_nop 2
	v_mul_lo_u32 v212, v1, v177
	v_mov_b32_e32 v1, 0
	s_waitcnt lgkmcnt(0)
	v_dot4c_i32_i8_e32 v1, v171, v84
	v_dot4c_i32_i8_e32 v1, v173, v85
	v_dot4c_i32_i8_e32 v1, v174, v86
	v_dot4c_i32_i8_e32 v1, v175, v87
	s_nop 2
	v_mad_u64_u32 v[212:213], s[22:23], v1, v179, v[212:213]
	v_cvt_f32_i32_e32 v211, v212
	v_mul_f32_e32 v1, v172, v6
	v_fmac_f32_e32 v83, v1, v211
	v_mov_b32_e32 v1, 0
	v_dot4c_i32_i8_e32 v1, v176, v2
	v_dot4c_i32_i8_e32 v1, v178, v3
	v_dot4c_i32_i8_e32 v1, v180, v4
	v_dot4c_i32_i8_e32 v1, v181, v5
	s_nop 2
	v_mul_lo_u32 v212, v1, v187
	v_mov_b32_e32 v1, 0
	v_dot4c_i32_i8_e32 v1, v182, v84
	v_dot4c_i32_i8_e32 v1, v184, v85
	v_dot4c_i32_i8_e32 v1, v185, v86
	v_dot4c_i32_i8_e32 v1, v186, v87
	s_nop 2
	v_mad_u64_u32 v[212:213], s[22:23], v1, v190, v[212:213]
	v_cvt_f32_i32_e32 v211, v212
	v_mul_f32_e32 v1, v183, v6
	v_fmac_f32_e32 v71, v1, v211
	v_mov_b32_e32 v1, 0
	v_dot4c_i32_i8_e32 v1, v188, v2
	v_dot4c_i32_i8_e32 v1, v189, v3
	v_dot4c_i32_i8_e32 v1, v191, v4
	v_dot4c_i32_i8_e32 v1, v192, v5
	s_nop 2
	v_mul_lo_u32 v212, v1, v198
	v_mov_b32_e32 v1, 0
	;; [unrolled: 17-line block ×3, first 2 shown]
	v_dot4c_i32_i8_e32 v1, v204, v84
	v_dot4c_i32_i8_e32 v1, v206, v85
	;; [unrolled: 1-line block ×4, first 2 shown]
	s_nop 2
	v_mad_u64_u32 v[2:3], s[22:23], v1, v210, v[2:3]
	v_cvt_f32_i32_e32 v2, v2
	v_mul_f32_e32 v1, v205, v6
	v_fmac_f32_e32 v53, v1, v2
	ds_read_b128 v[2:5], v165 offset:28416
	ds_read_b128 v[84:87], v165 offset:28432
	v_mov_b32_e32 v1, 0
	s_waitcnt lgkmcnt(1)
	v_dot4c_i32_i8_e32 v1, v167, v2
	v_dot4c_i32_i8_e32 v1, v168, v3
	;; [unrolled: 1-line block ×4, first 2 shown]
	s_nop 2
	v_mul_lo_u32 v6, v1, v177
	v_mov_b32_e32 v1, 0
	s_waitcnt lgkmcnt(0)
	v_dot4c_i32_i8_e32 v1, v171, v84
	v_dot4c_i32_i8_e32 v1, v173, v85
	v_dot4c_i32_i8_e32 v1, v174, v86
	v_dot4c_i32_i8_e32 v1, v175, v87
	s_nop 2
	v_mad_u64_u32 v[212:213], s[22:23], v1, v179, v[6:7]
	v_cvt_f32_i32_e32 v6, v212
	v_mul_f32_e32 v1, v172, v7
	v_fmac_f32_e32 v51, v1, v6
	v_mov_b32_e32 v1, 0
	v_dot4c_i32_i8_e32 v1, v176, v2
	v_dot4c_i32_i8_e32 v1, v178, v3
	v_dot4c_i32_i8_e32 v1, v180, v4
	v_dot4c_i32_i8_e32 v1, v181, v5
	s_nop 2
	v_mul_lo_u32 v6, v1, v187
	v_mov_b32_e32 v1, 0
	v_dot4c_i32_i8_e32 v1, v182, v84
	v_dot4c_i32_i8_e32 v1, v184, v85
	v_dot4c_i32_i8_e32 v1, v185, v86
	v_dot4c_i32_i8_e32 v1, v186, v87
	s_nop 2
	v_mad_u64_u32 v[212:213], s[22:23], v1, v190, v[6:7]
	v_cvt_f32_i32_e32 v6, v212
	v_mul_f32_e32 v1, v183, v7
	v_fmac_f32_e32 v49, v1, v6
	v_mov_b32_e32 v1, 0
	v_dot4c_i32_i8_e32 v1, v188, v2
	v_dot4c_i32_i8_e32 v1, v189, v3
	v_dot4c_i32_i8_e32 v1, v191, v4
	v_dot4c_i32_i8_e32 v1, v192, v5
	s_nop 2
	v_mul_lo_u32 v6, v1, v198
	v_mov_b32_e32 v1, 0
	;; [unrolled: 17-line block ×3, first 2 shown]
	v_dot4c_i32_i8_e32 v1, v204, v84
	v_dot4c_i32_i8_e32 v1, v206, v85
	;; [unrolled: 1-line block ×4, first 2 shown]
	s_nop 2
	v_mad_u64_u32 v[2:3], s[22:23], v1, v210, v[2:3]
	v_cvt_f32_i32_e32 v2, v2
	v_mul_f32_e32 v1, v205, v7
	v_fmac_f32_e32 v45, v1, v2
	ds_read2_b32 v[6:7], v0 offset0:104 offset1:136
	ds_read_b128 v[2:5], v165 offset:29440
	ds_read_b128 v[84:87], v165 offset:29456
	v_mov_b32_e32 v1, 0
	s_waitcnt lgkmcnt(1)
	v_dot4c_i32_i8_e32 v1, v167, v2
	v_dot4c_i32_i8_e32 v1, v168, v3
	;; [unrolled: 1-line block ×4, first 2 shown]
	s_nop 2
	v_mul_lo_u32 v212, v1, v177
	v_mov_b32_e32 v1, 0
	s_waitcnt lgkmcnt(0)
	v_dot4c_i32_i8_e32 v1, v171, v84
	v_dot4c_i32_i8_e32 v1, v173, v85
	v_dot4c_i32_i8_e32 v1, v174, v86
	v_dot4c_i32_i8_e32 v1, v175, v87
	s_nop 2
	v_mad_u64_u32 v[212:213], s[22:23], v1, v179, v[212:213]
	v_cvt_f32_i32_e32 v211, v212
	v_mul_f32_e32 v1, v172, v6
	v_fmac_f32_e32 v41, v1, v211
	v_mov_b32_e32 v1, 0
	v_dot4c_i32_i8_e32 v1, v176, v2
	v_dot4c_i32_i8_e32 v1, v178, v3
	v_dot4c_i32_i8_e32 v1, v180, v4
	v_dot4c_i32_i8_e32 v1, v181, v5
	s_nop 2
	v_mul_lo_u32 v212, v1, v187
	v_mov_b32_e32 v1, 0
	v_dot4c_i32_i8_e32 v1, v182, v84
	v_dot4c_i32_i8_e32 v1, v184, v85
	v_dot4c_i32_i8_e32 v1, v185, v86
	v_dot4c_i32_i8_e32 v1, v186, v87
	s_nop 2
	v_mad_u64_u32 v[212:213], s[22:23], v1, v190, v[212:213]
	v_cvt_f32_i32_e32 v211, v212
	v_mul_f32_e32 v1, v183, v6
	v_fmac_f32_e32 v37, v1, v211
	v_mov_b32_e32 v1, 0
	v_dot4c_i32_i8_e32 v1, v188, v2
	v_dot4c_i32_i8_e32 v1, v189, v3
	v_dot4c_i32_i8_e32 v1, v191, v4
	v_dot4c_i32_i8_e32 v1, v192, v5
	s_nop 2
	v_mul_lo_u32 v212, v1, v198
	v_mov_b32_e32 v1, 0
	;; [unrolled: 17-line block ×3, first 2 shown]
	v_dot4c_i32_i8_e32 v1, v204, v84
	v_dot4c_i32_i8_e32 v1, v206, v85
	;; [unrolled: 1-line block ×4, first 2 shown]
	s_nop 2
	v_mad_u64_u32 v[2:3], s[22:23], v1, v210, v[2:3]
	v_cvt_f32_i32_e32 v2, v2
	v_mul_f32_e32 v1, v205, v6
	v_fmac_f32_e32 v33, v1, v2
	ds_read_b128 v[2:5], v165 offset:30464
	ds_read_b128 v[84:87], v165 offset:30480
	v_mov_b32_e32 v1, 0
	s_waitcnt lgkmcnt(1)
	v_dot4c_i32_i8_e32 v1, v167, v2
	v_dot4c_i32_i8_e32 v1, v168, v3
	;; [unrolled: 1-line block ×4, first 2 shown]
	s_nop 2
	v_mul_lo_u32 v6, v1, v177
	v_mov_b32_e32 v1, 0
	s_waitcnt lgkmcnt(0)
	v_dot4c_i32_i8_e32 v1, v171, v84
	v_dot4c_i32_i8_e32 v1, v173, v85
	v_dot4c_i32_i8_e32 v1, v174, v86
	v_dot4c_i32_i8_e32 v1, v175, v87
	s_nop 2
	v_mad_u64_u32 v[212:213], s[22:23], v1, v179, v[6:7]
	v_cvt_f32_i32_e32 v6, v212
	v_mul_f32_e32 v1, v172, v7
	v_fmac_f32_e32 v31, v1, v6
	v_mov_b32_e32 v1, 0
	v_dot4c_i32_i8_e32 v1, v176, v2
	v_dot4c_i32_i8_e32 v1, v178, v3
	v_dot4c_i32_i8_e32 v1, v180, v4
	v_dot4c_i32_i8_e32 v1, v181, v5
	s_nop 2
	v_mul_lo_u32 v6, v1, v187
	v_mov_b32_e32 v1, 0
	v_dot4c_i32_i8_e32 v1, v182, v84
	v_dot4c_i32_i8_e32 v1, v184, v85
	v_dot4c_i32_i8_e32 v1, v185, v86
	v_dot4c_i32_i8_e32 v1, v186, v87
	s_nop 2
	v_mad_u64_u32 v[212:213], s[22:23], v1, v190, v[6:7]
	v_cvt_f32_i32_e32 v6, v212
	v_mul_f32_e32 v1, v183, v7
	v_fmac_f32_e32 v29, v1, v6
	v_mov_b32_e32 v1, 0
	v_dot4c_i32_i8_e32 v1, v188, v2
	v_dot4c_i32_i8_e32 v1, v189, v3
	v_dot4c_i32_i8_e32 v1, v191, v4
	v_dot4c_i32_i8_e32 v1, v192, v5
	s_nop 2
	v_mul_lo_u32 v6, v1, v198
	v_mov_b32_e32 v1, 0
	;; [unrolled: 17-line block ×3, first 2 shown]
	v_dot4c_i32_i8_e32 v1, v204, v84
	v_dot4c_i32_i8_e32 v1, v206, v85
	;; [unrolled: 1-line block ×4, first 2 shown]
	v_mov_b32_e32 v86, 0
	v_mov_b32_e32 v87, 0
	s_nop 0
	v_mad_u64_u32 v[2:3], s[22:23], v1, v210, v[2:3]
	v_cvt_f32_i32_e32 v2, v2
	v_mul_f32_e32 v1, v205, v7
	v_fmac_f32_e32 v25, v1, v2
	ds_read2_b32 v[84:85], v0 offset0:168 offset1:200
	ds_read_b128 v[4:7], v165 offset:31488
	ds_read_b128 v[0:3], v165 offset:31504
	s_waitcnt lgkmcnt(1)
	v_dot4c_i32_i8_e32 v86, v167, v4
	v_dot4c_i32_i8_e32 v86, v168, v5
	s_waitcnt lgkmcnt(0)
	v_dot4c_i32_i8_e32 v87, v171, v0
	v_dot4c_i32_i8_e32 v86, v169, v6
	;; [unrolled: 1-line block ×6, first 2 shown]
	s_nop 0
	v_mul_lo_u32 v86, v86, v177
	s_nop 0
	v_mad_u64_u32 v[86:87], s[22:23], v87, v179, v[86:87]
	v_cvt_f32_i32_e32 v86, v86
	v_mul_f32_e32 v87, v172, v84
	v_fmac_f32_e32 v23, v87, v86
	v_mov_b32_e32 v86, 0
	v_dot4c_i32_i8_e32 v86, v176, v4
	v_mov_b32_e32 v87, 0
	v_dot4c_i32_i8_e32 v86, v178, v5
	v_dot4c_i32_i8_e32 v87, v182, v0
	;; [unrolled: 1-line block ×7, first 2 shown]
	s_nop 0
	v_mul_lo_u32 v86, v86, v187
	s_nop 0
	v_mad_u64_u32 v[86:87], s[22:23], v87, v190, v[86:87]
	v_cvt_f32_i32_e32 v86, v86
	v_mul_f32_e32 v87, v183, v84
	v_fmac_f32_e32 v21, v87, v86
	v_mov_b32_e32 v86, 0
	v_dot4c_i32_i8_e32 v86, v188, v4
	v_mov_b32_e32 v87, 0
	v_dot4c_i32_i8_e32 v86, v189, v5
	v_dot4c_i32_i8_e32 v87, v193, v0
	;; [unrolled: 1-line block ×7, first 2 shown]
	s_nop 0
	v_mul_lo_u32 v86, v86, v198
	s_nop 0
	v_mad_u64_u32 v[86:87], s[22:23], v87, v201, v[86:87]
	v_cvt_f32_i32_e32 v86, v86
	v_mul_f32_e32 v87, v194, v84
	v_fmac_f32_e32 v19, v87, v86
	v_mov_b32_e32 v86, 0
	v_dot4c_i32_i8_e32 v86, v199, v4
	v_dot4c_i32_i8_e32 v86, v200, v5
	v_mov_b32_e32 v5, 0
	v_dot4c_i32_i8_e32 v5, v204, v0
	v_dot4c_i32_i8_e32 v86, v202, v6
	;; [unrolled: 1-line block ×6, first 2 shown]
	s_nop 0
	v_mul_lo_u32 v4, v86, v209
	v_mov_b32_e32 v86, 0
	v_mad_u64_u32 v[0:1], s[22:23], v5, v210, v[4:5]
	v_cvt_f32_i32_e32 v0, v0
	v_mul_f32_e32 v1, v205, v84
	v_mov_b32_e32 v84, 0
	v_fmac_f32_e32 v17, v1, v0
	ds_read_b128 v[0:3], v165 offset:32512
	ds_read_b128 v[4:7], v165 offset:32528
	v_add_u32_e32 v165, 32, v165
	s_waitcnt lgkmcnt(1)
	v_dot4c_i32_i8_e32 v84, v167, v0
	v_dot4c_i32_i8_e32 v84, v168, v1
	s_waitcnt lgkmcnt(0)
	v_dot4c_i32_i8_e32 v86, v171, v4
	v_dot4c_i32_i8_e32 v84, v169, v2
	;; [unrolled: 1-line block ×6, first 2 shown]
	s_nop 0
	v_mul_lo_u32 v84, v84, v177
	s_nop 0
	v_mad_u64_u32 v[86:87], s[22:23], v86, v179, v[84:85]
	v_cvt_f32_i32_e32 v86, v86
	v_mul_f32_e32 v84, v172, v85
	v_fmac_f32_e32 v15, v84, v86
	v_mov_b32_e32 v84, 0
	v_dot4c_i32_i8_e32 v84, v176, v0
	v_mov_b32_e32 v86, 0
	v_dot4c_i32_i8_e32 v84, v178, v1
	v_dot4c_i32_i8_e32 v86, v182, v4
	;; [unrolled: 1-line block ×7, first 2 shown]
	s_nop 0
	v_mul_lo_u32 v84, v84, v187
	s_nop 0
	v_mad_u64_u32 v[86:87], s[22:23], v86, v190, v[84:85]
	v_cvt_f32_i32_e32 v86, v86
	v_mul_f32_e32 v84, v183, v85
	v_fmac_f32_e32 v13, v84, v86
	v_mov_b32_e32 v84, 0
	v_dot4c_i32_i8_e32 v84, v188, v0
	v_mov_b32_e32 v86, 0
	v_dot4c_i32_i8_e32 v84, v189, v1
	v_dot4c_i32_i8_e32 v86, v193, v4
	;; [unrolled: 1-line block ×7, first 2 shown]
	s_nop 0
	v_mul_lo_u32 v84, v84, v198
	s_nop 0
	v_mad_u64_u32 v[86:87], s[22:23], v86, v201, v[84:85]
	v_cvt_f32_i32_e32 v86, v86
	v_mul_f32_e32 v84, v194, v85
	v_fmac_f32_e32 v11, v84, v86
	v_mov_b32_e32 v84, 0
	v_dot4c_i32_i8_e32 v84, v199, v0
	v_dot4c_i32_i8_e32 v84, v200, v1
	v_mov_b32_e32 v1, 0
	v_dot4c_i32_i8_e32 v1, v204, v4
	v_dot4c_i32_i8_e32 v84, v202, v2
	;; [unrolled: 1-line block ×6, first 2 shown]
	s_nop 0
	v_mul_lo_u32 v0, v84, v209
	s_nop 0
	v_mad_u64_u32 v[0:1], s[22:23], v1, v210, v[0:1]
	v_cvt_f32_i32_e32 v0, v0
	v_mul_f32_e32 v1, v205, v85
	v_fmac_f32_e32 v9, v1, v0
	s_cbranch_scc1 .LBB129_7
; %bb.8:                                ;   in Loop: Header=BB129_6 Depth=1
	v_add_u32_e32 v165, s17, v138
	v_add_u32_e32 v0, v165, v106
	;; [unrolled: 1-line block ×9, first 2 shown]
	v_mad_i64_i32 v[168:169], s[18:19], v165, 36, v[80:81]
	v_add_u32_e32 v165, 4, v164
	v_mad_i64_i32 v[0:1], s[18:19], v0, 36, v[80:81]
	v_mad_i64_i32 v[2:3], s[18:19], v2, 36, v[80:81]
	;; [unrolled: 1-line block ×4, first 2 shown]
	v_mad_u64_u32 v[170:171], s[18:19], v165, 36, s[2:3]
	s_barrier
	v_mad_i64_i32 v[84:85], s[18:19], v84, 36, v[80:81]
	v_mad_i64_i32 v[86:87], s[18:19], v86, 36, v[80:81]
	;; [unrolled: 1-line block ×3, first 2 shown]
	global_load_dword v170, v[170:171], off
	s_nop 0
	global_load_dword v0, v[0:1], off offset:4
	s_nop 0
	global_load_dword v1, v[2:3], off offset:4
	;; [unrolled: 2-line block ×3, first 2 shown]
	global_load_dword v3, v[6:7], off offset:4
	s_nop 0
	global_load_dword v4, v[84:85], off offset:4
	global_load_dword v5, v[86:87], off offset:4
	;; [unrolled: 1-line block ×4, first 2 shown]
	s_mov_b32 s18, 4
	s_mov_b32 s19, 8
	;; [unrolled: 1-line block ×3, first 2 shown]
	v_mov_b32_e32 v165, v107
	v_mov_b32_e32 v166, v94
	s_waitcnt vmcnt(8)
	v_cvt_f32_f16_e32 v84, v170
	s_waitcnt vmcnt(7)
	ds_write_b32 v108, v0
	s_waitcnt vmcnt(6)
	ds_write_b32 v111, v1
	;; [unrolled: 2-line block ×8, first 2 shown]
	ds_write_b32 v105, v84
	s_waitcnt lgkmcnt(0)
	s_barrier
.LBB129_9:                              ;   Parent Loop BB129_6 Depth=1
                                        ; =>  This Inner Loop Header: Depth=2
	s_and_b32 s20, s19, -16
	v_add_u32_e32 v86, s20, v125
	s_add_i32 s20, s21, 2
	s_lshr_b32 s25, s20, 4
	s_and_b32 s24, s20, 0x3ffffff8
	s_lshl_b32 s23, s25, 3
	s_lshl_b32 s24, s24, 2
	v_add_lshl_u32 v176, v126, s23, 2
	v_add_u32_e32 v0, 0x9600, v166
	v_add_u32_e32 v87, s24, v127
	;; [unrolled: 1-line block ×3, first 2 shown]
	ds_read2_b32 v[84:85], v0 offset0:104 offset1:136
	ds_read_b128 v[4:7], v165 offset:25344
	ds_read_b128 v[0:3], v165 offset:25360
	ds_read2_b32 v[168:169], v87 offset1:1
	ds_read2_b32 v[170:171], v170 offset1:1
	s_add_i32 s22, s21, -6
	s_lshl_b32 s25, s25, 2
	v_add_lshl_u32 v198, v132, s23, 2
	s_waitcnt lgkmcnt(1)
	v_ashrrev_i32_e32 v167, s22, v168
	s_waitcnt lgkmcnt(0)
	v_ashrrev_i32_e32 v170, s18, v170
	v_lshlrev_b32_e32 v170, 2, v170
	v_and_b32_e32 v168, 0x3030303, v167
	v_bfe_u32 v167, v167, 24, 2
	v_and_b32_e32 v170, 0x4040404, v170
	v_sub_u16_e32 v172, v168, v170
	v_sub_u16_sdwa v173, v168, v170 dst_sel:BYTE_1 dst_unused:UNUSED_PAD src0_sel:BYTE_1 src1_sel:BYTE_1
	v_sub_u16_sdwa v167, v167, v170 dst_sel:BYTE_1 dst_unused:UNUSED_PAD src0_sel:DWORD src1_sel:BYTE_3
	v_sub_u16_sdwa v168, v168, v170 dst_sel:DWORD dst_unused:UNUSED_PAD src0_sel:WORD_1 src1_sel:WORD_1
	v_ashrrev_i32_e32 v170, s18, v171
	v_or_b32_sdwa v167, v168, v167 dst_sel:WORD_1 dst_unused:UNUSED_PAD src0_sel:BYTE_0 src1_sel:DWORD
	v_ashrrev_i32_e32 v168, s22, v169
	v_lshlrev_b32_e32 v170, 2, v170
	v_or_b32_sdwa v172, v172, v173 dst_sel:DWORD dst_unused:UNUSED_PAD src0_sel:BYTE_0 src1_sel:DWORD
	v_and_b32_e32 v169, 0x3030303, v168
	v_bfe_u32 v168, v168, 24, 2
	v_and_b32_e32 v170, 0x4040404, v170
	v_or_b32_sdwa v167, v172, v167 dst_sel:DWORD dst_unused:UNUSED_PAD src0_sel:WORD_0 src1_sel:DWORD
	v_sub_u16_e32 v171, v169, v170
	v_sub_u16_sdwa v172, v169, v170 dst_sel:BYTE_1 dst_unused:UNUSED_PAD src0_sel:BYTE_1 src1_sel:BYTE_1
	v_sub_u16_sdwa v168, v168, v170 dst_sel:BYTE_1 dst_unused:UNUSED_PAD src0_sel:DWORD src1_sel:BYTE_3
	v_sub_u16_sdwa v169, v169, v170 dst_sel:DWORD dst_unused:UNUSED_PAD src0_sel:WORD_1 src1_sel:WORD_1
	v_or_b32_sdwa v171, v171, v172 dst_sel:DWORD dst_unused:UNUSED_PAD src0_sel:BYTE_0 src1_sel:DWORD
	v_or_b32_sdwa v168, v169, v168 dst_sel:WORD_1 dst_unused:UNUSED_PAD src0_sel:BYTE_0 src1_sel:DWORD
	v_add_u32_e32 v172, 0x4208, v176
	v_or_b32_sdwa v168, v171, v168 dst_sel:DWORD dst_unused:UNUSED_PAD src0_sel:WORD_0 src1_sel:DWORD
	ds_read2_b32 v[170:171], v87 offset0:2 offset1:3
	ds_read2_b32 v[172:173], v172 offset1:1
	v_add_lshl_u32 v188, v129, s23, 2
	v_add_u32_e32 v192, 0x4200, v198
	v_add_lshl_u32 v210, v135, s23, 2
	s_waitcnt lgkmcnt(1)
	v_ashrrev_i32_e32 v169, s22, v170
	s_waitcnt lgkmcnt(0)
	v_ashrrev_i32_e32 v172, s18, v172
	v_lshlrev_b32_e32 v172, 2, v172
	v_and_b32_e32 v170, 0x3030303, v169
	v_bfe_u32 v169, v169, 24, 2
	v_and_b32_e32 v172, 0x4040404, v172
	v_sub_u16_e32 v174, v170, v172
	v_sub_u16_sdwa v175, v170, v172 dst_sel:BYTE_1 dst_unused:UNUSED_PAD src0_sel:BYTE_1 src1_sel:BYTE_1
	v_sub_u16_sdwa v169, v169, v172 dst_sel:BYTE_1 dst_unused:UNUSED_PAD src0_sel:DWORD src1_sel:BYTE_3
	v_sub_u16_sdwa v170, v170, v172 dst_sel:DWORD dst_unused:UNUSED_PAD src0_sel:WORD_1 src1_sel:WORD_1
	v_ashrrev_i32_e32 v172, s18, v173
	v_or_b32_sdwa v169, v170, v169 dst_sel:WORD_1 dst_unused:UNUSED_PAD src0_sel:BYTE_0 src1_sel:DWORD
	v_ashrrev_i32_e32 v170, s22, v171
	v_lshlrev_b32_e32 v172, 2, v172
	v_or_b32_sdwa v174, v174, v175 dst_sel:DWORD dst_unused:UNUSED_PAD src0_sel:BYTE_0 src1_sel:DWORD
	v_and_b32_e32 v171, 0x3030303, v170
	v_bfe_u32 v170, v170, 24, 2
	v_and_b32_e32 v172, 0x4040404, v172
	v_or_b32_sdwa v169, v174, v169 dst_sel:DWORD dst_unused:UNUSED_PAD src0_sel:WORD_0 src1_sel:DWORD
	v_sub_u16_e32 v173, v171, v172
	v_sub_u16_sdwa v174, v171, v172 dst_sel:BYTE_1 dst_unused:UNUSED_PAD src0_sel:BYTE_1 src1_sel:BYTE_1
	v_sub_u16_sdwa v170, v170, v172 dst_sel:BYTE_1 dst_unused:UNUSED_PAD src0_sel:DWORD src1_sel:BYTE_3
	v_sub_u16_sdwa v171, v171, v172 dst_sel:DWORD dst_unused:UNUSED_PAD src0_sel:WORD_1 src1_sel:WORD_1
	v_or_b32_sdwa v173, v173, v174 dst_sel:DWORD dst_unused:UNUSED_PAD src0_sel:BYTE_0 src1_sel:DWORD
	v_or_b32_sdwa v170, v171, v170 dst_sel:WORD_1 dst_unused:UNUSED_PAD src0_sel:BYTE_0 src1_sel:DWORD
	v_add_u32_e32 v174, 0x4210, v176
	v_or_b32_sdwa v170, v173, v170 dst_sel:DWORD dst_unused:UNUSED_PAD src0_sel:WORD_0 src1_sel:DWORD
	ds_read2_b32 v[172:173], v87 offset0:4 offset1:5
	ds_read2_b32 v[174:175], v174 offset1:1
	s_add_i32 s19, s19, 2
	ds_read2_b32 v[192:193], v192 offset1:1
	s_waitcnt lgkmcnt(2)
	v_ashrrev_i32_e32 v171, s22, v172
	s_waitcnt lgkmcnt(1)
	v_ashrrev_i32_e32 v174, s18, v174
	v_lshlrev_b32_e32 v174, 2, v174
	v_and_b32_e32 v172, 0x3030303, v171
	v_bfe_u32 v171, v171, 24, 2
	v_and_b32_e32 v174, 0x4040404, v174
	v_sub_u16_e32 v177, v172, v174
	v_sub_u16_sdwa v178, v172, v174 dst_sel:BYTE_1 dst_unused:UNUSED_PAD src0_sel:BYTE_1 src1_sel:BYTE_1
	v_sub_u16_sdwa v171, v171, v174 dst_sel:BYTE_1 dst_unused:UNUSED_PAD src0_sel:DWORD src1_sel:BYTE_3
	v_sub_u16_sdwa v172, v172, v174 dst_sel:DWORD dst_unused:UNUSED_PAD src0_sel:WORD_1 src1_sel:WORD_1
	v_or_b32_sdwa v177, v177, v178 dst_sel:DWORD dst_unused:UNUSED_PAD src0_sel:BYTE_0 src1_sel:DWORD
	v_or_b32_sdwa v171, v172, v171 dst_sel:WORD_1 dst_unused:UNUSED_PAD src0_sel:BYTE_0 src1_sel:DWORD
	v_ashrrev_i32_e32 v174, s18, v175
	v_or_b32_sdwa v172, v177, v171 dst_sel:DWORD dst_unused:UNUSED_PAD src0_sel:WORD_0 src1_sel:DWORD
	v_ashrrev_i32_e32 v171, s22, v173
	v_lshlrev_b32_e32 v174, 2, v174
	v_and_b32_e32 v173, 0x3030303, v171
	v_bfe_u32 v171, v171, 24, 2
	v_and_b32_e32 v174, 0x4040404, v174
	v_sub_u16_e32 v175, v173, v174
	v_sub_u16_sdwa v177, v173, v174 dst_sel:BYTE_1 dst_unused:UNUSED_PAD src0_sel:BYTE_1 src1_sel:BYTE_1
	v_sub_u16_sdwa v171, v171, v174 dst_sel:BYTE_1 dst_unused:UNUSED_PAD src0_sel:DWORD src1_sel:BYTE_3
	v_sub_u16_sdwa v173, v173, v174 dst_sel:DWORD dst_unused:UNUSED_PAD src0_sel:WORD_1 src1_sel:WORD_1
	v_or_b32_sdwa v175, v175, v177 dst_sel:DWORD dst_unused:UNUSED_PAD src0_sel:BYTE_0 src1_sel:DWORD
	v_or_b32_sdwa v171, v173, v171 dst_sel:WORD_1 dst_unused:UNUSED_PAD src0_sel:BYTE_0 src1_sel:DWORD
	v_or_b32_sdwa v173, v175, v171 dst_sel:DWORD dst_unused:UNUSED_PAD src0_sel:WORD_0 src1_sel:DWORD
	ds_read2_b32 v[174:175], v87 offset0:6 offset1:7
	s_waitcnt lgkmcnt(1)
	v_ashrrev_i32_e32 v192, s18, v192
	v_lshlrev_b32_e32 v192, 2, v192
	v_and_b32_e32 v192, 0x4040404, v192
	s_waitcnt lgkmcnt(0)
	v_ashrrev_i32_e32 v87, s22, v174
	v_add_u32_e32 v174, 0x4218, v176
	ds_read2_b32 v[176:177], v174 offset1:1
	v_and_b32_e32 v171, 0x3030303, v87
	v_bfe_u32 v87, v87, 24, 2
	s_waitcnt lgkmcnt(0)
	v_ashrrev_i32_e32 v174, s18, v176
	v_lshlrev_b32_e32 v174, 2, v174
	v_and_b32_e32 v174, 0x4040404, v174
	v_sub_u16_e32 v176, v171, v174
	v_sub_u16_sdwa v178, v171, v174 dst_sel:BYTE_1 dst_unused:UNUSED_PAD src0_sel:BYTE_1 src1_sel:BYTE_1
	v_sub_u16_sdwa v87, v87, v174 dst_sel:BYTE_1 dst_unused:UNUSED_PAD src0_sel:DWORD src1_sel:BYTE_3
	v_sub_u16_sdwa v171, v171, v174 dst_sel:DWORD dst_unused:UNUSED_PAD src0_sel:WORD_1 src1_sel:WORD_1
	v_or_b32_sdwa v176, v176, v178 dst_sel:DWORD dst_unused:UNUSED_PAD src0_sel:BYTE_0 src1_sel:DWORD
	v_or_b32_sdwa v87, v171, v87 dst_sel:WORD_1 dst_unused:UNUSED_PAD src0_sel:BYTE_0 src1_sel:DWORD
	v_or_b32_sdwa v174, v176, v87 dst_sel:DWORD dst_unused:UNUSED_PAD src0_sel:WORD_0 src1_sel:DWORD
	v_ashrrev_i32_e32 v87, s22, v175
	v_ashrrev_i32_e32 v175, s18, v177
	v_lshlrev_b32_e32 v175, 2, v175
	v_and_b32_e32 v171, 0x3030303, v87
	v_bfe_u32 v87, v87, 24, 2
	v_and_b32_e32 v175, 0x4040404, v175
	v_sub_u16_e32 v176, v171, v175
	v_sub_u16_sdwa v177, v171, v175 dst_sel:BYTE_1 dst_unused:UNUSED_PAD src0_sel:BYTE_1 src1_sel:BYTE_1
	v_sub_u16_sdwa v87, v87, v175 dst_sel:BYTE_1 dst_unused:UNUSED_PAD src0_sel:DWORD src1_sel:BYTE_3
	v_sub_u16_sdwa v171, v171, v175 dst_sel:DWORD dst_unused:UNUSED_PAD src0_sel:WORD_1 src1_sel:WORD_1
	v_or_b32_sdwa v176, v176, v177 dst_sel:DWORD dst_unused:UNUSED_PAD src0_sel:BYTE_0 src1_sel:DWORD
	v_or_b32_sdwa v87, v171, v87 dst_sel:WORD_1 dst_unused:UNUSED_PAD src0_sel:BYTE_0 src1_sel:DWORD
	v_or_b32_sdwa v175, v176, v87 dst_sel:DWORD dst_unused:UNUSED_PAD src0_sel:WORD_0 src1_sel:DWORD
	v_add3_u32 v87, v142, s21, v86
	v_add_u32_e32 v171, s25, v128
	ds_read_b32 v171, v171
	ds_read_u16 v87, v87 offset:8194
	v_mov_b32_e32 v177, 0
	v_dot4c_i32_i8_e32 v177, v167, v4
	v_dot4c_i32_i8_e32 v177, v168, v5
	;; [unrolled: 1-line block ×3, first 2 shown]
	s_waitcnt lgkmcnt(0)
	v_lshrrev_b16_e32 v178, 8, v87
	v_bfe_i32 v176, v87, 0, 8
	v_mov_b32_e32 v87, 0
	v_dot4c_i32_i8_e32 v87, v172, v0
	v_dot4c_i32_i8_e32 v87, v173, v1
	;; [unrolled: 1-line block ×5, first 2 shown]
	v_bfe_i32 v178, v178, 0, 8
	v_mul_lo_u32 v180, v177, v176
	s_nop 0
	v_mad_u64_u32 v[180:181], s[26:27], v87, v178, v[180:181]
	v_cvt_f32_i32_e32 v177, v180
	v_mul_f32_e32 v87, v84, v171
	v_fmac_f32_e32 v118, v87, v177
	v_add_u32_e32 v87, s24, v130
	ds_read2_b32 v[180:181], v87 offset1:1
	s_waitcnt lgkmcnt(0)
	v_ashrrev_i32_e32 v177, s22, v180
	v_add_u32_e32 v180, 0x4200, v188
	ds_read2_b32 v[182:183], v180 offset1:1
	v_and_b32_e32 v179, 0x3030303, v177
	v_bfe_u32 v177, v177, 24, 2
	s_waitcnt lgkmcnt(0)
	v_ashrrev_i32_e32 v180, s18, v182
	v_lshlrev_b32_e32 v180, 2, v180
	v_and_b32_e32 v180, 0x4040404, v180
	v_sub_u16_e32 v182, v179, v180
	v_sub_u16_sdwa v184, v179, v180 dst_sel:BYTE_1 dst_unused:UNUSED_PAD src0_sel:BYTE_1 src1_sel:BYTE_1
	v_sub_u16_sdwa v177, v177, v180 dst_sel:BYTE_1 dst_unused:UNUSED_PAD src0_sel:DWORD src1_sel:BYTE_3
	v_sub_u16_sdwa v179, v179, v180 dst_sel:DWORD dst_unused:UNUSED_PAD src0_sel:WORD_1 src1_sel:WORD_1
	v_or_b32_sdwa v177, v179, v177 dst_sel:WORD_1 dst_unused:UNUSED_PAD src0_sel:BYTE_0 src1_sel:DWORD
	v_ashrrev_i32_e32 v179, s22, v181
	v_ashrrev_i32_e32 v181, s18, v183
	v_lshlrev_b32_e32 v181, 2, v181
	v_or_b32_sdwa v182, v182, v184 dst_sel:DWORD dst_unused:UNUSED_PAD src0_sel:BYTE_0 src1_sel:DWORD
	v_and_b32_e32 v180, 0x3030303, v179
	v_bfe_u32 v179, v179, 24, 2
	v_and_b32_e32 v181, 0x4040404, v181
	v_or_b32_sdwa v177, v182, v177 dst_sel:DWORD dst_unused:UNUSED_PAD src0_sel:WORD_0 src1_sel:DWORD
	v_sub_u16_e32 v182, v180, v181
	v_sub_u16_sdwa v183, v180, v181 dst_sel:BYTE_1 dst_unused:UNUSED_PAD src0_sel:BYTE_1 src1_sel:BYTE_1
	v_sub_u16_sdwa v179, v179, v181 dst_sel:BYTE_1 dst_unused:UNUSED_PAD src0_sel:DWORD src1_sel:BYTE_3
	v_sub_u16_sdwa v180, v180, v181 dst_sel:DWORD dst_unused:UNUSED_PAD src0_sel:WORD_1 src1_sel:WORD_1
	v_or_b32_sdwa v182, v182, v183 dst_sel:DWORD dst_unused:UNUSED_PAD src0_sel:BYTE_0 src1_sel:DWORD
	v_or_b32_sdwa v179, v180, v179 dst_sel:WORD_1 dst_unused:UNUSED_PAD src0_sel:BYTE_0 src1_sel:DWORD
	v_or_b32_sdwa v179, v182, v179 dst_sel:DWORD dst_unused:UNUSED_PAD src0_sel:WORD_0 src1_sel:DWORD
	v_add_u32_e32 v182, 0x4208, v188
	ds_read2_b32 v[180:181], v87 offset0:2 offset1:3
	ds_read2_b32 v[182:183], v182 offset1:1
	s_waitcnt lgkmcnt(1)
	v_ashrrev_i32_e32 v180, s22, v180
	s_waitcnt lgkmcnt(0)
	v_ashrrev_i32_e32 v182, s18, v182
	v_lshlrev_b32_e32 v182, 2, v182
	v_and_b32_e32 v184, 0x3030303, v180
	v_bfe_u32 v180, v180, 24, 2
	v_and_b32_e32 v182, 0x4040404, v182
	v_ashrrev_i32_e32 v183, s18, v183
	v_sub_u16_e32 v185, v184, v182
	v_sub_u16_sdwa v186, v184, v182 dst_sel:BYTE_1 dst_unused:UNUSED_PAD src0_sel:BYTE_1 src1_sel:BYTE_1
	v_sub_u16_sdwa v180, v180, v182 dst_sel:BYTE_1 dst_unused:UNUSED_PAD src0_sel:DWORD src1_sel:BYTE_3
	v_sub_u16_sdwa v182, v184, v182 dst_sel:DWORD dst_unused:UNUSED_PAD src0_sel:WORD_1 src1_sel:WORD_1
	v_ashrrev_i32_e32 v181, s22, v181
	v_lshlrev_b32_e32 v183, 2, v183
	v_or_b32_sdwa v185, v185, v186 dst_sel:DWORD dst_unused:UNUSED_PAD src0_sel:BYTE_0 src1_sel:DWORD
	v_or_b32_sdwa v180, v182, v180 dst_sel:WORD_1 dst_unused:UNUSED_PAD src0_sel:BYTE_0 src1_sel:DWORD
	v_and_b32_e32 v182, 0x3030303, v181
	v_bfe_u32 v181, v181, 24, 2
	v_and_b32_e32 v183, 0x4040404, v183
	v_or_b32_sdwa v180, v185, v180 dst_sel:DWORD dst_unused:UNUSED_PAD src0_sel:WORD_0 src1_sel:DWORD
	v_sub_u16_e32 v184, v182, v183
	v_sub_u16_sdwa v185, v182, v183 dst_sel:BYTE_1 dst_unused:UNUSED_PAD src0_sel:BYTE_1 src1_sel:BYTE_1
	v_sub_u16_sdwa v181, v181, v183 dst_sel:BYTE_1 dst_unused:UNUSED_PAD src0_sel:DWORD src1_sel:BYTE_3
	v_sub_u16_sdwa v182, v182, v183 dst_sel:DWORD dst_unused:UNUSED_PAD src0_sel:WORD_1 src1_sel:WORD_1
	v_or_b32_sdwa v184, v184, v185 dst_sel:DWORD dst_unused:UNUSED_PAD src0_sel:BYTE_0 src1_sel:DWORD
	v_or_b32_sdwa v181, v182, v181 dst_sel:WORD_1 dst_unused:UNUSED_PAD src0_sel:BYTE_0 src1_sel:DWORD
	v_or_b32_sdwa v181, v184, v181 dst_sel:DWORD dst_unused:UNUSED_PAD src0_sel:WORD_0 src1_sel:DWORD
	v_add_u32_e32 v184, 0x4210, v188
	ds_read2_b32 v[182:183], v87 offset0:4 offset1:5
	ds_read2_b32 v[184:185], v184 offset1:1
	s_waitcnt lgkmcnt(1)
	v_ashrrev_i32_e32 v182, s22, v182
	s_waitcnt lgkmcnt(0)
	v_ashrrev_i32_e32 v184, s18, v184
	v_lshlrev_b32_e32 v184, 2, v184
	v_and_b32_e32 v186, 0x3030303, v182
	v_bfe_u32 v182, v182, 24, 2
	v_and_b32_e32 v184, 0x4040404, v184
	v_ashrrev_i32_e32 v185, s18, v185
	v_sub_u16_e32 v187, v186, v184
	v_sub_u16_sdwa v189, v186, v184 dst_sel:BYTE_1 dst_unused:UNUSED_PAD src0_sel:BYTE_1 src1_sel:BYTE_1
	v_sub_u16_sdwa v182, v182, v184 dst_sel:BYTE_1 dst_unused:UNUSED_PAD src0_sel:DWORD src1_sel:BYTE_3
	v_sub_u16_sdwa v184, v186, v184 dst_sel:DWORD dst_unused:UNUSED_PAD src0_sel:WORD_1 src1_sel:WORD_1
	v_ashrrev_i32_e32 v183, s22, v183
	v_lshlrev_b32_e32 v185, 2, v185
	v_or_b32_sdwa v187, v187, v189 dst_sel:DWORD dst_unused:UNUSED_PAD src0_sel:BYTE_0 src1_sel:DWORD
	v_or_b32_sdwa v182, v184, v182 dst_sel:WORD_1 dst_unused:UNUSED_PAD src0_sel:BYTE_0 src1_sel:DWORD
	v_and_b32_e32 v184, 0x3030303, v183
	v_bfe_u32 v183, v183, 24, 2
	v_and_b32_e32 v185, 0x4040404, v185
	v_or_b32_sdwa v182, v187, v182 dst_sel:DWORD dst_unused:UNUSED_PAD src0_sel:WORD_0 src1_sel:DWORD
	v_sub_u16_e32 v186, v184, v185
	v_sub_u16_sdwa v187, v184, v185 dst_sel:BYTE_1 dst_unused:UNUSED_PAD src0_sel:BYTE_1 src1_sel:BYTE_1
	v_sub_u16_sdwa v183, v183, v185 dst_sel:BYTE_1 dst_unused:UNUSED_PAD src0_sel:DWORD src1_sel:BYTE_3
	v_sub_u16_sdwa v184, v184, v185 dst_sel:DWORD dst_unused:UNUSED_PAD src0_sel:WORD_1 src1_sel:WORD_1
	v_or_b32_sdwa v186, v186, v187 dst_sel:DWORD dst_unused:UNUSED_PAD src0_sel:BYTE_0 src1_sel:DWORD
	v_or_b32_sdwa v183, v184, v183 dst_sel:WORD_1 dst_unused:UNUSED_PAD src0_sel:BYTE_0 src1_sel:DWORD
	v_add_u32_e32 v185, 0x4218, v188
	v_or_b32_sdwa v184, v186, v183 dst_sel:DWORD dst_unused:UNUSED_PAD src0_sel:WORD_0 src1_sel:DWORD
	ds_read2_b32 v[186:187], v87 offset0:6 offset1:7
	ds_read2_b32 v[188:189], v185 offset1:1
	s_waitcnt lgkmcnt(1)
	v_ashrrev_i32_e32 v87, s22, v186
	s_waitcnt lgkmcnt(0)
	v_ashrrev_i32_e32 v185, s18, v188
	v_lshlrev_b32_e32 v185, 2, v185
	v_and_b32_e32 v183, 0x3030303, v87
	v_bfe_u32 v87, v87, 24, 2
	v_and_b32_e32 v185, 0x4040404, v185
	v_sub_u16_e32 v186, v183, v185
	v_sub_u16_sdwa v188, v183, v185 dst_sel:BYTE_1 dst_unused:UNUSED_PAD src0_sel:BYTE_1 src1_sel:BYTE_1
	v_sub_u16_sdwa v87, v87, v185 dst_sel:BYTE_1 dst_unused:UNUSED_PAD src0_sel:DWORD src1_sel:BYTE_3
	v_sub_u16_sdwa v183, v183, v185 dst_sel:DWORD dst_unused:UNUSED_PAD src0_sel:WORD_1 src1_sel:WORD_1
	v_or_b32_sdwa v186, v186, v188 dst_sel:DWORD dst_unused:UNUSED_PAD src0_sel:BYTE_0 src1_sel:DWORD
	v_or_b32_sdwa v87, v183, v87 dst_sel:WORD_1 dst_unused:UNUSED_PAD src0_sel:BYTE_0 src1_sel:DWORD
	v_or_b32_sdwa v185, v186, v87 dst_sel:DWORD dst_unused:UNUSED_PAD src0_sel:WORD_0 src1_sel:DWORD
	v_ashrrev_i32_e32 v186, s18, v189
	v_ashrrev_i32_e32 v87, s22, v187
	v_lshlrev_b32_e32 v186, 2, v186
	v_and_b32_e32 v183, 0x3030303, v87
	v_bfe_u32 v87, v87, 24, 2
	v_and_b32_e32 v186, 0x4040404, v186
	v_sub_u16_e32 v187, v183, v186
	v_sub_u16_sdwa v188, v183, v186 dst_sel:BYTE_1 dst_unused:UNUSED_PAD src0_sel:BYTE_1 src1_sel:BYTE_1
	v_sub_u16_sdwa v87, v87, v186 dst_sel:BYTE_1 dst_unused:UNUSED_PAD src0_sel:DWORD src1_sel:BYTE_3
	v_sub_u16_sdwa v183, v183, v186 dst_sel:DWORD dst_unused:UNUSED_PAD src0_sel:WORD_1 src1_sel:WORD_1
	v_or_b32_sdwa v187, v187, v188 dst_sel:DWORD dst_unused:UNUSED_PAD src0_sel:BYTE_0 src1_sel:DWORD
	v_or_b32_sdwa v87, v183, v87 dst_sel:WORD_1 dst_unused:UNUSED_PAD src0_sel:BYTE_0 src1_sel:DWORD
	v_or_b32_sdwa v186, v187, v87 dst_sel:DWORD dst_unused:UNUSED_PAD src0_sel:WORD_0 src1_sel:DWORD
	v_add3_u32 v87, v144, s21, v86
	v_add_u32_e32 v183, s25, v131
	ds_read_b32 v183, v183
	ds_read_u16 v87, v87 offset:9218
	v_mov_b32_e32 v188, 0
	v_dot4c_i32_i8_e32 v188, v177, v4
	v_dot4c_i32_i8_e32 v188, v179, v5
	;; [unrolled: 1-line block ×3, first 2 shown]
	s_waitcnt lgkmcnt(0)
	v_lshrrev_b16_e32 v189, 8, v87
	v_bfe_i32 v187, v87, 0, 8
	v_mov_b32_e32 v87, 0
	v_dot4c_i32_i8_e32 v87, v182, v0
	v_dot4c_i32_i8_e32 v87, v184, v1
	;; [unrolled: 1-line block ×5, first 2 shown]
	v_bfe_i32 v189, v189, 0, 8
	v_mul_lo_u32 v188, v188, v187
	s_nop 0
	v_mad_u64_u32 v[190:191], s[26:27], v87, v189, v[188:189]
	v_cvt_f32_i32_e32 v188, v190
	v_mul_f32_e32 v87, v84, v183
	v_fmac_f32_e32 v110, v87, v188
	v_add_u32_e32 v87, s24, v133
	ds_read2_b32 v[190:191], v87 offset1:1
	s_waitcnt lgkmcnt(0)
	v_ashrrev_i32_e32 v188, s22, v190
	v_and_b32_e32 v190, 0x3030303, v188
	v_bfe_u32 v188, v188, 24, 2
	v_sub_u16_e32 v194, v190, v192
	v_sub_u16_sdwa v195, v190, v192 dst_sel:BYTE_1 dst_unused:UNUSED_PAD src0_sel:BYTE_1 src1_sel:BYTE_1
	v_sub_u16_sdwa v188, v188, v192 dst_sel:BYTE_1 dst_unused:UNUSED_PAD src0_sel:DWORD src1_sel:BYTE_3
	v_sub_u16_sdwa v190, v190, v192 dst_sel:DWORD dst_unused:UNUSED_PAD src0_sel:WORD_1 src1_sel:WORD_1
	v_ashrrev_i32_e32 v192, s18, v193
	v_or_b32_sdwa v188, v190, v188 dst_sel:WORD_1 dst_unused:UNUSED_PAD src0_sel:BYTE_0 src1_sel:DWORD
	v_ashrrev_i32_e32 v190, s22, v191
	v_lshlrev_b32_e32 v192, 2, v192
	v_or_b32_sdwa v194, v194, v195 dst_sel:DWORD dst_unused:UNUSED_PAD src0_sel:BYTE_0 src1_sel:DWORD
	v_and_b32_e32 v191, 0x3030303, v190
	v_bfe_u32 v190, v190, 24, 2
	v_and_b32_e32 v192, 0x4040404, v192
	v_or_b32_sdwa v188, v194, v188 dst_sel:DWORD dst_unused:UNUSED_PAD src0_sel:WORD_0 src1_sel:DWORD
	v_sub_u16_e32 v193, v191, v192
	v_sub_u16_sdwa v194, v191, v192 dst_sel:BYTE_1 dst_unused:UNUSED_PAD src0_sel:BYTE_1 src1_sel:BYTE_1
	v_sub_u16_sdwa v190, v190, v192 dst_sel:BYTE_1 dst_unused:UNUSED_PAD src0_sel:DWORD src1_sel:BYTE_3
	v_sub_u16_sdwa v191, v191, v192 dst_sel:DWORD dst_unused:UNUSED_PAD src0_sel:WORD_1 src1_sel:WORD_1
	v_or_b32_sdwa v193, v193, v194 dst_sel:DWORD dst_unused:UNUSED_PAD src0_sel:BYTE_0 src1_sel:DWORD
	v_or_b32_sdwa v190, v191, v190 dst_sel:WORD_1 dst_unused:UNUSED_PAD src0_sel:BYTE_0 src1_sel:DWORD
	v_add_u32_e32 v194, 0x4208, v198
	v_or_b32_sdwa v190, v193, v190 dst_sel:DWORD dst_unused:UNUSED_PAD src0_sel:WORD_0 src1_sel:DWORD
	ds_read2_b32 v[192:193], v87 offset0:2 offset1:3
	ds_read2_b32 v[194:195], v194 offset1:1
	s_waitcnt lgkmcnt(1)
	v_ashrrev_i32_e32 v191, s22, v192
	s_waitcnt lgkmcnt(0)
	v_ashrrev_i32_e32 v194, s18, v194
	v_lshlrev_b32_e32 v194, 2, v194
	v_and_b32_e32 v192, 0x3030303, v191
	v_bfe_u32 v191, v191, 24, 2
	v_and_b32_e32 v194, 0x4040404, v194
	v_sub_u16_e32 v196, v192, v194
	v_sub_u16_sdwa v197, v192, v194 dst_sel:BYTE_1 dst_unused:UNUSED_PAD src0_sel:BYTE_1 src1_sel:BYTE_1
	v_sub_u16_sdwa v191, v191, v194 dst_sel:BYTE_1 dst_unused:UNUSED_PAD src0_sel:DWORD src1_sel:BYTE_3
	v_sub_u16_sdwa v192, v192, v194 dst_sel:DWORD dst_unused:UNUSED_PAD src0_sel:WORD_1 src1_sel:WORD_1
	v_ashrrev_i32_e32 v194, s18, v195
	v_or_b32_sdwa v191, v192, v191 dst_sel:WORD_1 dst_unused:UNUSED_PAD src0_sel:BYTE_0 src1_sel:DWORD
	v_ashrrev_i32_e32 v192, s22, v193
	v_lshlrev_b32_e32 v194, 2, v194
	v_or_b32_sdwa v196, v196, v197 dst_sel:DWORD dst_unused:UNUSED_PAD src0_sel:BYTE_0 src1_sel:DWORD
	v_and_b32_e32 v193, 0x3030303, v192
	v_bfe_u32 v192, v192, 24, 2
	v_and_b32_e32 v194, 0x4040404, v194
	v_or_b32_sdwa v191, v196, v191 dst_sel:DWORD dst_unused:UNUSED_PAD src0_sel:WORD_0 src1_sel:DWORD
	v_sub_u16_e32 v195, v193, v194
	v_sub_u16_sdwa v196, v193, v194 dst_sel:BYTE_1 dst_unused:UNUSED_PAD src0_sel:BYTE_1 src1_sel:BYTE_1
	v_sub_u16_sdwa v192, v192, v194 dst_sel:BYTE_1 dst_unused:UNUSED_PAD src0_sel:DWORD src1_sel:BYTE_3
	v_sub_u16_sdwa v193, v193, v194 dst_sel:DWORD dst_unused:UNUSED_PAD src0_sel:WORD_1 src1_sel:WORD_1
	v_or_b32_sdwa v195, v195, v196 dst_sel:DWORD dst_unused:UNUSED_PAD src0_sel:BYTE_0 src1_sel:DWORD
	v_or_b32_sdwa v192, v193, v192 dst_sel:WORD_1 dst_unused:UNUSED_PAD src0_sel:BYTE_0 src1_sel:DWORD
	v_add_u32_e32 v196, 0x4210, v198
	v_or_b32_sdwa v192, v195, v192 dst_sel:DWORD dst_unused:UNUSED_PAD src0_sel:WORD_0 src1_sel:DWORD
	ds_read2_b32 v[194:195], v87 offset0:4 offset1:5
	ds_read2_b32 v[196:197], v196 offset1:1
	s_waitcnt lgkmcnt(1)
	v_ashrrev_i32_e32 v193, s22, v194
	s_waitcnt lgkmcnt(0)
	v_ashrrev_i32_e32 v196, s18, v196
	v_lshlrev_b32_e32 v196, 2, v196
	v_and_b32_e32 v194, 0x3030303, v193
	v_bfe_u32 v193, v193, 24, 2
	v_and_b32_e32 v196, 0x4040404, v196
	v_sub_u16_e32 v199, v194, v196
	v_sub_u16_sdwa v200, v194, v196 dst_sel:BYTE_1 dst_unused:UNUSED_PAD src0_sel:BYTE_1 src1_sel:BYTE_1
	v_sub_u16_sdwa v193, v193, v196 dst_sel:BYTE_1 dst_unused:UNUSED_PAD src0_sel:DWORD src1_sel:BYTE_3
	v_sub_u16_sdwa v194, v194, v196 dst_sel:DWORD dst_unused:UNUSED_PAD src0_sel:WORD_1 src1_sel:WORD_1
	v_ashrrev_i32_e32 v196, s18, v197
	v_or_b32_sdwa v193, v194, v193 dst_sel:WORD_1 dst_unused:UNUSED_PAD src0_sel:BYTE_0 src1_sel:DWORD
	v_ashrrev_i32_e32 v194, s22, v195
	v_lshlrev_b32_e32 v196, 2, v196
	v_or_b32_sdwa v199, v199, v200 dst_sel:DWORD dst_unused:UNUSED_PAD src0_sel:BYTE_0 src1_sel:DWORD
	v_and_b32_e32 v195, 0x3030303, v194
	v_bfe_u32 v194, v194, 24, 2
	v_and_b32_e32 v196, 0x4040404, v196
	v_or_b32_sdwa v193, v199, v193 dst_sel:DWORD dst_unused:UNUSED_PAD src0_sel:WORD_0 src1_sel:DWORD
	v_sub_u16_e32 v197, v195, v196
	v_sub_u16_sdwa v199, v195, v196 dst_sel:BYTE_1 dst_unused:UNUSED_PAD src0_sel:BYTE_1 src1_sel:BYTE_1
	v_sub_u16_sdwa v194, v194, v196 dst_sel:BYTE_1 dst_unused:UNUSED_PAD src0_sel:DWORD src1_sel:BYTE_3
	v_sub_u16_sdwa v195, v195, v196 dst_sel:DWORD dst_unused:UNUSED_PAD src0_sel:WORD_1 src1_sel:WORD_1
	v_or_b32_sdwa v197, v197, v199 dst_sel:DWORD dst_unused:UNUSED_PAD src0_sel:BYTE_0 src1_sel:DWORD
	v_or_b32_sdwa v194, v195, v194 dst_sel:WORD_1 dst_unused:UNUSED_PAD src0_sel:BYTE_0 src1_sel:DWORD
	v_or_b32_sdwa v195, v197, v194 dst_sel:DWORD dst_unused:UNUSED_PAD src0_sel:WORD_0 src1_sel:DWORD
	ds_read2_b32 v[196:197], v87 offset0:6 offset1:7
	s_waitcnt lgkmcnt(0)
	v_ashrrev_i32_e32 v87, s22, v196
	v_add_u32_e32 v196, 0x4218, v198
	ds_read2_b32 v[198:199], v196 offset1:1
	v_and_b32_e32 v194, 0x3030303, v87
	v_bfe_u32 v87, v87, 24, 2
	s_waitcnt lgkmcnt(0)
	v_ashrrev_i32_e32 v196, s18, v198
	v_lshlrev_b32_e32 v196, 2, v196
	v_and_b32_e32 v196, 0x4040404, v196
	v_sub_u16_e32 v198, v194, v196
	v_sub_u16_sdwa v200, v194, v196 dst_sel:BYTE_1 dst_unused:UNUSED_PAD src0_sel:BYTE_1 src1_sel:BYTE_1
	v_sub_u16_sdwa v87, v87, v196 dst_sel:BYTE_1 dst_unused:UNUSED_PAD src0_sel:DWORD src1_sel:BYTE_3
	v_sub_u16_sdwa v194, v194, v196 dst_sel:DWORD dst_unused:UNUSED_PAD src0_sel:WORD_1 src1_sel:WORD_1
	v_or_b32_sdwa v198, v198, v200 dst_sel:DWORD dst_unused:UNUSED_PAD src0_sel:BYTE_0 src1_sel:DWORD
	v_or_b32_sdwa v87, v194, v87 dst_sel:WORD_1 dst_unused:UNUSED_PAD src0_sel:BYTE_0 src1_sel:DWORD
	v_or_b32_sdwa v196, v198, v87 dst_sel:DWORD dst_unused:UNUSED_PAD src0_sel:WORD_0 src1_sel:DWORD
	v_ashrrev_i32_e32 v87, s22, v197
	v_ashrrev_i32_e32 v197, s18, v199
	v_lshlrev_b32_e32 v197, 2, v197
	v_and_b32_e32 v194, 0x3030303, v87
	v_bfe_u32 v87, v87, 24, 2
	v_and_b32_e32 v197, 0x4040404, v197
	v_sub_u16_e32 v198, v194, v197
	v_sub_u16_sdwa v199, v194, v197 dst_sel:BYTE_1 dst_unused:UNUSED_PAD src0_sel:BYTE_1 src1_sel:BYTE_1
	v_sub_u16_sdwa v87, v87, v197 dst_sel:BYTE_1 dst_unused:UNUSED_PAD src0_sel:DWORD src1_sel:BYTE_3
	v_sub_u16_sdwa v194, v194, v197 dst_sel:DWORD dst_unused:UNUSED_PAD src0_sel:WORD_1 src1_sel:WORD_1
	v_or_b32_sdwa v198, v198, v199 dst_sel:DWORD dst_unused:UNUSED_PAD src0_sel:BYTE_0 src1_sel:DWORD
	v_or_b32_sdwa v87, v194, v87 dst_sel:WORD_1 dst_unused:UNUSED_PAD src0_sel:BYTE_0 src1_sel:DWORD
	v_or_b32_sdwa v197, v198, v87 dst_sel:DWORD dst_unused:UNUSED_PAD src0_sel:WORD_0 src1_sel:DWORD
	v_add3_u32 v87, v146, s21, v86
	v_add_u32_e32 v194, s25, v134
	ds_read_b32 v194, v194
	ds_read_u16 v87, v87 offset:10242
	v_mov_b32_e32 v199, 0
	v_dot4c_i32_i8_e32 v199, v188, v4
	v_dot4c_i32_i8_e32 v199, v190, v5
	;; [unrolled: 1-line block ×3, first 2 shown]
	s_waitcnt lgkmcnt(0)
	v_lshrrev_b16_e32 v200, 8, v87
	v_bfe_i32 v198, v87, 0, 8
	v_mov_b32_e32 v87, 0
	v_dot4c_i32_i8_e32 v87, v193, v0
	v_dot4c_i32_i8_e32 v87, v195, v1
	;; [unrolled: 1-line block ×5, first 2 shown]
	v_bfe_i32 v200, v200, 0, 8
	v_mul_lo_u32 v202, v199, v198
	v_add3_u32 v86, v148, s21, v86
	v_mad_u64_u32 v[202:203], s[26:27], v87, v200, v[202:203]
	v_cvt_f32_i32_e32 v199, v202
	v_mul_f32_e32 v87, v84, v194
	s_mov_b32 s21, s20
	v_fmac_f32_e32 v104, v87, v199
	v_add_u32_e32 v87, s24, v136
	ds_read2_b32 v[202:203], v87 offset1:1
	s_waitcnt lgkmcnt(0)
	v_ashrrev_i32_e32 v199, s22, v202
	v_add_u32_e32 v202, 0x4200, v210
	ds_read2_b32 v[204:205], v202 offset1:1
	v_and_b32_e32 v201, 0x3030303, v199
	v_bfe_u32 v199, v199, 24, 2
	s_waitcnt lgkmcnt(0)
	v_ashrrev_i32_e32 v202, s18, v204
	v_lshlrev_b32_e32 v202, 2, v202
	v_and_b32_e32 v202, 0x4040404, v202
	v_sub_u16_e32 v204, v201, v202
	v_sub_u16_sdwa v206, v201, v202 dst_sel:BYTE_1 dst_unused:UNUSED_PAD src0_sel:BYTE_1 src1_sel:BYTE_1
	v_sub_u16_sdwa v199, v199, v202 dst_sel:BYTE_1 dst_unused:UNUSED_PAD src0_sel:DWORD src1_sel:BYTE_3
	v_sub_u16_sdwa v201, v201, v202 dst_sel:DWORD dst_unused:UNUSED_PAD src0_sel:WORD_1 src1_sel:WORD_1
	v_or_b32_sdwa v199, v201, v199 dst_sel:WORD_1 dst_unused:UNUSED_PAD src0_sel:BYTE_0 src1_sel:DWORD
	v_ashrrev_i32_e32 v201, s22, v203
	v_ashrrev_i32_e32 v203, s18, v205
	v_lshlrev_b32_e32 v203, 2, v203
	v_or_b32_sdwa v204, v204, v206 dst_sel:DWORD dst_unused:UNUSED_PAD src0_sel:BYTE_0 src1_sel:DWORD
	v_and_b32_e32 v202, 0x3030303, v201
	v_bfe_u32 v201, v201, 24, 2
	v_and_b32_e32 v203, 0x4040404, v203
	v_or_b32_sdwa v199, v204, v199 dst_sel:DWORD dst_unused:UNUSED_PAD src0_sel:WORD_0 src1_sel:DWORD
	v_sub_u16_e32 v204, v202, v203
	v_sub_u16_sdwa v205, v202, v203 dst_sel:BYTE_1 dst_unused:UNUSED_PAD src0_sel:BYTE_1 src1_sel:BYTE_1
	v_sub_u16_sdwa v201, v201, v203 dst_sel:BYTE_1 dst_unused:UNUSED_PAD src0_sel:DWORD src1_sel:BYTE_3
	v_sub_u16_sdwa v202, v202, v203 dst_sel:DWORD dst_unused:UNUSED_PAD src0_sel:WORD_1 src1_sel:WORD_1
	v_or_b32_sdwa v204, v204, v205 dst_sel:DWORD dst_unused:UNUSED_PAD src0_sel:BYTE_0 src1_sel:DWORD
	v_or_b32_sdwa v201, v202, v201 dst_sel:WORD_1 dst_unused:UNUSED_PAD src0_sel:BYTE_0 src1_sel:DWORD
	v_or_b32_sdwa v201, v204, v201 dst_sel:DWORD dst_unused:UNUSED_PAD src0_sel:WORD_0 src1_sel:DWORD
	v_add_u32_e32 v204, 0x4208, v210
	ds_read2_b32 v[202:203], v87 offset0:2 offset1:3
	ds_read2_b32 v[204:205], v204 offset1:1
	s_waitcnt lgkmcnt(1)
	v_ashrrev_i32_e32 v202, s22, v202
	s_waitcnt lgkmcnt(0)
	v_ashrrev_i32_e32 v204, s18, v204
	v_lshlrev_b32_e32 v204, 2, v204
	v_and_b32_e32 v206, 0x3030303, v202
	v_bfe_u32 v202, v202, 24, 2
	v_and_b32_e32 v204, 0x4040404, v204
	v_ashrrev_i32_e32 v205, s18, v205
	v_sub_u16_e32 v207, v206, v204
	v_sub_u16_sdwa v208, v206, v204 dst_sel:BYTE_1 dst_unused:UNUSED_PAD src0_sel:BYTE_1 src1_sel:BYTE_1
	v_sub_u16_sdwa v202, v202, v204 dst_sel:BYTE_1 dst_unused:UNUSED_PAD src0_sel:DWORD src1_sel:BYTE_3
	v_sub_u16_sdwa v204, v206, v204 dst_sel:DWORD dst_unused:UNUSED_PAD src0_sel:WORD_1 src1_sel:WORD_1
	v_ashrrev_i32_e32 v203, s22, v203
	v_lshlrev_b32_e32 v205, 2, v205
	v_or_b32_sdwa v207, v207, v208 dst_sel:DWORD dst_unused:UNUSED_PAD src0_sel:BYTE_0 src1_sel:DWORD
	v_or_b32_sdwa v202, v204, v202 dst_sel:WORD_1 dst_unused:UNUSED_PAD src0_sel:BYTE_0 src1_sel:DWORD
	v_and_b32_e32 v204, 0x3030303, v203
	v_bfe_u32 v203, v203, 24, 2
	v_and_b32_e32 v205, 0x4040404, v205
	v_or_b32_sdwa v202, v207, v202 dst_sel:DWORD dst_unused:UNUSED_PAD src0_sel:WORD_0 src1_sel:DWORD
	v_sub_u16_e32 v206, v204, v205
	v_sub_u16_sdwa v207, v204, v205 dst_sel:BYTE_1 dst_unused:UNUSED_PAD src0_sel:BYTE_1 src1_sel:BYTE_1
	v_sub_u16_sdwa v203, v203, v205 dst_sel:BYTE_1 dst_unused:UNUSED_PAD src0_sel:DWORD src1_sel:BYTE_3
	v_sub_u16_sdwa v204, v204, v205 dst_sel:DWORD dst_unused:UNUSED_PAD src0_sel:WORD_1 src1_sel:WORD_1
	v_or_b32_sdwa v206, v206, v207 dst_sel:DWORD dst_unused:UNUSED_PAD src0_sel:BYTE_0 src1_sel:DWORD
	v_or_b32_sdwa v203, v204, v203 dst_sel:WORD_1 dst_unused:UNUSED_PAD src0_sel:BYTE_0 src1_sel:DWORD
	v_or_b32_sdwa v203, v206, v203 dst_sel:DWORD dst_unused:UNUSED_PAD src0_sel:WORD_0 src1_sel:DWORD
	v_add_u32_e32 v206, 0x4210, v210
	ds_read2_b32 v[204:205], v87 offset0:4 offset1:5
	ds_read2_b32 v[206:207], v206 offset1:1
	s_waitcnt lgkmcnt(1)
	v_ashrrev_i32_e32 v204, s22, v204
	s_waitcnt lgkmcnt(0)
	v_ashrrev_i32_e32 v206, s18, v206
	v_lshlrev_b32_e32 v206, 2, v206
	v_and_b32_e32 v208, 0x3030303, v204
	v_bfe_u32 v204, v204, 24, 2
	v_and_b32_e32 v206, 0x4040404, v206
	v_ashrrev_i32_e32 v207, s18, v207
	v_sub_u16_e32 v209, v208, v206
	v_sub_u16_sdwa v211, v208, v206 dst_sel:BYTE_1 dst_unused:UNUSED_PAD src0_sel:BYTE_1 src1_sel:BYTE_1
	v_sub_u16_sdwa v204, v204, v206 dst_sel:BYTE_1 dst_unused:UNUSED_PAD src0_sel:DWORD src1_sel:BYTE_3
	v_sub_u16_sdwa v206, v208, v206 dst_sel:DWORD dst_unused:UNUSED_PAD src0_sel:WORD_1 src1_sel:WORD_1
	v_ashrrev_i32_e32 v205, s22, v205
	v_lshlrev_b32_e32 v207, 2, v207
	v_or_b32_sdwa v209, v209, v211 dst_sel:DWORD dst_unused:UNUSED_PAD src0_sel:BYTE_0 src1_sel:DWORD
	v_or_b32_sdwa v204, v206, v204 dst_sel:WORD_1 dst_unused:UNUSED_PAD src0_sel:BYTE_0 src1_sel:DWORD
	v_and_b32_e32 v206, 0x3030303, v205
	v_bfe_u32 v205, v205, 24, 2
	v_and_b32_e32 v207, 0x4040404, v207
	v_or_b32_sdwa v204, v209, v204 dst_sel:DWORD dst_unused:UNUSED_PAD src0_sel:WORD_0 src1_sel:DWORD
	v_sub_u16_e32 v208, v206, v207
	v_sub_u16_sdwa v209, v206, v207 dst_sel:BYTE_1 dst_unused:UNUSED_PAD src0_sel:BYTE_1 src1_sel:BYTE_1
	v_sub_u16_sdwa v205, v205, v207 dst_sel:BYTE_1 dst_unused:UNUSED_PAD src0_sel:DWORD src1_sel:BYTE_3
	v_sub_u16_sdwa v206, v206, v207 dst_sel:DWORD dst_unused:UNUSED_PAD src0_sel:WORD_1 src1_sel:WORD_1
	v_or_b32_sdwa v208, v208, v209 dst_sel:DWORD dst_unused:UNUSED_PAD src0_sel:BYTE_0 src1_sel:DWORD
	v_or_b32_sdwa v205, v206, v205 dst_sel:WORD_1 dst_unused:UNUSED_PAD src0_sel:BYTE_0 src1_sel:DWORD
	v_add_u32_e32 v207, 0x4218, v210
	v_or_b32_sdwa v206, v208, v205 dst_sel:DWORD dst_unused:UNUSED_PAD src0_sel:WORD_0 src1_sel:DWORD
	ds_read2_b32 v[208:209], v87 offset0:6 offset1:7
	ds_read2_b32 v[210:211], v207 offset1:1
	s_waitcnt lgkmcnt(1)
	v_ashrrev_i32_e32 v87, s22, v208
	s_waitcnt lgkmcnt(0)
	v_ashrrev_i32_e32 v207, s18, v210
	v_lshlrev_b32_e32 v207, 2, v207
	v_and_b32_e32 v205, 0x3030303, v87
	v_bfe_u32 v87, v87, 24, 2
	v_and_b32_e32 v207, 0x4040404, v207
	v_sub_u16_e32 v208, v205, v207
	v_sub_u16_sdwa v210, v205, v207 dst_sel:BYTE_1 dst_unused:UNUSED_PAD src0_sel:BYTE_1 src1_sel:BYTE_1
	v_sub_u16_sdwa v87, v87, v207 dst_sel:BYTE_1 dst_unused:UNUSED_PAD src0_sel:DWORD src1_sel:BYTE_3
	v_sub_u16_sdwa v205, v205, v207 dst_sel:DWORD dst_unused:UNUSED_PAD src0_sel:WORD_1 src1_sel:WORD_1
	v_or_b32_sdwa v208, v208, v210 dst_sel:DWORD dst_unused:UNUSED_PAD src0_sel:BYTE_0 src1_sel:DWORD
	v_or_b32_sdwa v87, v205, v87 dst_sel:WORD_1 dst_unused:UNUSED_PAD src0_sel:BYTE_0 src1_sel:DWORD
	v_or_b32_sdwa v207, v208, v87 dst_sel:DWORD dst_unused:UNUSED_PAD src0_sel:WORD_0 src1_sel:DWORD
	v_ashrrev_i32_e32 v208, s18, v211
	v_ashrrev_i32_e32 v87, s22, v209
	v_lshlrev_b32_e32 v208, 2, v208
	v_and_b32_e32 v205, 0x3030303, v87
	v_bfe_u32 v87, v87, 24, 2
	v_and_b32_e32 v208, 0x4040404, v208
	v_sub_u16_e32 v209, v205, v208
	v_sub_u16_sdwa v210, v205, v208 dst_sel:BYTE_1 dst_unused:UNUSED_PAD src0_sel:BYTE_1 src1_sel:BYTE_1
	v_sub_u16_sdwa v87, v87, v208 dst_sel:BYTE_1 dst_unused:UNUSED_PAD src0_sel:DWORD src1_sel:BYTE_3
	v_sub_u16_sdwa v205, v205, v208 dst_sel:DWORD dst_unused:UNUSED_PAD src0_sel:WORD_1 src1_sel:WORD_1
	v_or_b32_sdwa v209, v209, v210 dst_sel:DWORD dst_unused:UNUSED_PAD src0_sel:BYTE_0 src1_sel:DWORD
	v_or_b32_sdwa v87, v205, v87 dst_sel:WORD_1 dst_unused:UNUSED_PAD src0_sel:BYTE_0 src1_sel:DWORD
	v_or_b32_sdwa v208, v209, v87 dst_sel:DWORD dst_unused:UNUSED_PAD src0_sel:WORD_0 src1_sel:DWORD
	v_add_u32_e32 v87, s25, v137
	ds_read_b32 v205, v87
	v_mov_b32_e32 v87, 0
	v_dot4c_i32_i8_e32 v87, v199, v4
	ds_read_u16 v4, v86 offset:11266
	v_dot4c_i32_i8_e32 v87, v201, v5
	v_dot4c_i32_i8_e32 v87, v202, v6
	v_mov_b32_e32 v6, 0
	v_dot4c_i32_i8_e32 v6, v204, v0
	v_dot4c_i32_i8_e32 v6, v206, v1
	;; [unrolled: 1-line block ×3, first 2 shown]
	s_waitcnt lgkmcnt(0)
	v_lshrrev_b16_e32 v5, 8, v4
	v_bfe_i32 v209, v4, 0, 8
	v_dot4c_i32_i8_e32 v6, v207, v2
	v_mul_lo_u32 v4, v87, v209
	v_dot4c_i32_i8_e32 v6, v208, v3
	v_bfe_i32 v210, v5, 0, 8
	v_mov_b32_e32 v86, 0
	s_add_i32 s18, s18, 1
	v_mad_u64_u32 v[0:1], s[22:23], v6, v210, v[4:5]
	v_cvt_f32_i32_e32 v0, v0
	v_mul_f32_e32 v1, v84, v205
	v_mov_b32_e32 v84, 0
	s_cmp_lt_u32 s20, 14
	v_fmac_f32_e32 v103, v1, v0
	ds_read_b128 v[0:3], v165 offset:26368
	ds_read_b128 v[4:7], v165 offset:26384
	s_waitcnt lgkmcnt(1)
	v_dot4c_i32_i8_e32 v84, v167, v0
	v_dot4c_i32_i8_e32 v84, v168, v1
	s_waitcnt lgkmcnt(0)
	v_dot4c_i32_i8_e32 v86, v172, v4
	v_dot4c_i32_i8_e32 v84, v169, v2
	;; [unrolled: 1-line block ×6, first 2 shown]
	s_nop 0
	v_mul_lo_u32 v84, v84, v176
	s_nop 0
	v_mad_u64_u32 v[86:87], s[22:23], v86, v178, v[84:85]
	v_cvt_f32_i32_e32 v86, v86
	v_mul_f32_e32 v84, v171, v85
	v_fmac_f32_e32 v100, v84, v86
	v_mov_b32_e32 v84, 0
	v_dot4c_i32_i8_e32 v84, v177, v0
	v_mov_b32_e32 v86, 0
	v_dot4c_i32_i8_e32 v84, v179, v1
	v_dot4c_i32_i8_e32 v86, v182, v4
	;; [unrolled: 1-line block ×7, first 2 shown]
	s_nop 0
	v_mul_lo_u32 v84, v84, v187
	s_nop 0
	v_mad_u64_u32 v[86:87], s[22:23], v86, v189, v[84:85]
	v_cvt_f32_i32_e32 v86, v86
	v_mul_f32_e32 v84, v183, v85
	v_fmac_f32_e32 v98, v84, v86
	v_mov_b32_e32 v84, 0
	v_dot4c_i32_i8_e32 v84, v188, v0
	v_mov_b32_e32 v86, 0
	v_dot4c_i32_i8_e32 v84, v190, v1
	v_dot4c_i32_i8_e32 v86, v193, v4
	;; [unrolled: 1-line block ×7, first 2 shown]
	s_nop 0
	v_mul_lo_u32 v84, v84, v198
	s_nop 0
	v_mad_u64_u32 v[86:87], s[22:23], v86, v200, v[84:85]
	v_cvt_f32_i32_e32 v86, v86
	v_mul_f32_e32 v84, v194, v85
	v_fmac_f32_e32 v97, v84, v86
	v_mov_b32_e32 v84, 0
	v_dot4c_i32_i8_e32 v84, v199, v0
	v_dot4c_i32_i8_e32 v84, v201, v1
	v_mov_b32_e32 v1, 0
	v_dot4c_i32_i8_e32 v1, v204, v4
	v_dot4c_i32_i8_e32 v84, v202, v2
	;; [unrolled: 1-line block ×6, first 2 shown]
	s_nop 0
	v_mul_lo_u32 v0, v84, v209
	s_nop 0
	v_mad_u64_u32 v[0:1], s[22:23], v1, v210, v[0:1]
	v_cvt_f32_i32_e32 v0, v0
	v_mul_f32_e32 v1, v205, v85
	v_fmac_f32_e32 v96, v1, v0
	v_add_u32_e32 v0, 0x9800, v166
	ds_read2_b32 v[6:7], v0 offset0:40 offset1:72
	ds_read_b128 v[2:5], v165 offset:27392
	ds_read_b128 v[84:87], v165 offset:27408
	v_mov_b32_e32 v1, 0
	v_add_u32_e32 v166, 4, v166
	s_waitcnt lgkmcnt(1)
	v_dot4c_i32_i8_e32 v1, v167, v2
	v_dot4c_i32_i8_e32 v1, v168, v3
	;; [unrolled: 1-line block ×4, first 2 shown]
	s_nop 2
	v_mul_lo_u32 v212, v1, v176
	v_mov_b32_e32 v1, 0
	s_waitcnt lgkmcnt(0)
	v_dot4c_i32_i8_e32 v1, v172, v84
	v_dot4c_i32_i8_e32 v1, v173, v85
	;; [unrolled: 1-line block ×4, first 2 shown]
	s_nop 2
	v_mad_u64_u32 v[212:213], s[22:23], v1, v178, v[212:213]
	v_cvt_f32_i32_e32 v211, v212
	v_mul_f32_e32 v1, v171, v6
	v_fmac_f32_e32 v83, v1, v211
	v_mov_b32_e32 v1, 0
	v_dot4c_i32_i8_e32 v1, v177, v2
	v_dot4c_i32_i8_e32 v1, v179, v3
	;; [unrolled: 1-line block ×4, first 2 shown]
	s_nop 2
	v_mul_lo_u32 v212, v1, v187
	v_mov_b32_e32 v1, 0
	v_dot4c_i32_i8_e32 v1, v182, v84
	v_dot4c_i32_i8_e32 v1, v184, v85
	;; [unrolled: 1-line block ×4, first 2 shown]
	s_nop 2
	v_mad_u64_u32 v[212:213], s[22:23], v1, v189, v[212:213]
	v_cvt_f32_i32_e32 v211, v212
	v_mul_f32_e32 v1, v183, v6
	v_fmac_f32_e32 v71, v1, v211
	v_mov_b32_e32 v1, 0
	v_dot4c_i32_i8_e32 v1, v188, v2
	v_dot4c_i32_i8_e32 v1, v190, v3
	;; [unrolled: 1-line block ×4, first 2 shown]
	s_nop 2
	v_mul_lo_u32 v212, v1, v198
	v_mov_b32_e32 v1, 0
	v_dot4c_i32_i8_e32 v1, v193, v84
	v_dot4c_i32_i8_e32 v1, v195, v85
	;; [unrolled: 1-line block ×4, first 2 shown]
	s_nop 2
	v_mad_u64_u32 v[212:213], s[22:23], v1, v200, v[212:213]
	v_cvt_f32_i32_e32 v211, v212
	v_mul_f32_e32 v1, v194, v6
	v_fmac_f32_e32 v57, v1, v211
	v_mov_b32_e32 v1, 0
	v_dot4c_i32_i8_e32 v1, v199, v2
	v_dot4c_i32_i8_e32 v1, v201, v3
	;; [unrolled: 1-line block ×4, first 2 shown]
                                        ; kill: def $vgpr3 killed $sgpr0 killed $exec
	s_nop 2
	v_mul_lo_u32 v2, v1, v209
	v_mov_b32_e32 v1, 0
	v_dot4c_i32_i8_e32 v1, v204, v84
	v_dot4c_i32_i8_e32 v1, v206, v85
	;; [unrolled: 1-line block ×4, first 2 shown]
	s_nop 2
	v_mad_u64_u32 v[2:3], s[22:23], v1, v210, v[2:3]
	v_cvt_f32_i32_e32 v2, v2
	v_mul_f32_e32 v1, v205, v6
	v_fmac_f32_e32 v53, v1, v2
	ds_read_b128 v[2:5], v165 offset:28416
	ds_read_b128 v[84:87], v165 offset:28432
	v_mov_b32_e32 v1, 0
	s_waitcnt lgkmcnt(1)
	v_dot4c_i32_i8_e32 v1, v167, v2
	v_dot4c_i32_i8_e32 v1, v168, v3
	;; [unrolled: 1-line block ×4, first 2 shown]
	s_nop 2
	v_mul_lo_u32 v6, v1, v176
	v_mov_b32_e32 v1, 0
	s_waitcnt lgkmcnt(0)
	v_dot4c_i32_i8_e32 v1, v172, v84
	v_dot4c_i32_i8_e32 v1, v173, v85
	;; [unrolled: 1-line block ×4, first 2 shown]
	s_nop 2
	v_mad_u64_u32 v[212:213], s[22:23], v1, v178, v[6:7]
	v_cvt_f32_i32_e32 v6, v212
	v_mul_f32_e32 v1, v171, v7
	v_fmac_f32_e32 v51, v1, v6
	v_mov_b32_e32 v1, 0
	v_dot4c_i32_i8_e32 v1, v177, v2
	v_dot4c_i32_i8_e32 v1, v179, v3
	;; [unrolled: 1-line block ×4, first 2 shown]
	s_nop 2
	v_mul_lo_u32 v6, v1, v187
	v_mov_b32_e32 v1, 0
	v_dot4c_i32_i8_e32 v1, v182, v84
	v_dot4c_i32_i8_e32 v1, v184, v85
	;; [unrolled: 1-line block ×4, first 2 shown]
	s_nop 2
	v_mad_u64_u32 v[212:213], s[22:23], v1, v189, v[6:7]
	v_cvt_f32_i32_e32 v6, v212
	v_mul_f32_e32 v1, v183, v7
	v_fmac_f32_e32 v49, v1, v6
	v_mov_b32_e32 v1, 0
	v_dot4c_i32_i8_e32 v1, v188, v2
	v_dot4c_i32_i8_e32 v1, v190, v3
	;; [unrolled: 1-line block ×4, first 2 shown]
	s_nop 2
	v_mul_lo_u32 v6, v1, v198
	v_mov_b32_e32 v1, 0
	v_dot4c_i32_i8_e32 v1, v193, v84
	v_dot4c_i32_i8_e32 v1, v195, v85
	v_dot4c_i32_i8_e32 v1, v196, v86
	v_dot4c_i32_i8_e32 v1, v197, v87
	s_nop 2
	v_mad_u64_u32 v[212:213], s[22:23], v1, v200, v[6:7]
	v_cvt_f32_i32_e32 v6, v212
	v_mul_f32_e32 v1, v194, v7
	v_fmac_f32_e32 v47, v1, v6
	v_mov_b32_e32 v1, 0
	v_dot4c_i32_i8_e32 v1, v199, v2
	v_dot4c_i32_i8_e32 v1, v201, v3
	v_dot4c_i32_i8_e32 v1, v202, v4
	v_dot4c_i32_i8_e32 v1, v203, v5
                                        ; kill: def $vgpr3 killed $sgpr0 killed $exec
	s_nop 2
	v_mul_lo_u32 v2, v1, v209
	v_mov_b32_e32 v1, 0
	v_dot4c_i32_i8_e32 v1, v204, v84
	v_dot4c_i32_i8_e32 v1, v206, v85
	;; [unrolled: 1-line block ×4, first 2 shown]
	s_nop 2
	v_mad_u64_u32 v[2:3], s[22:23], v1, v210, v[2:3]
	v_cvt_f32_i32_e32 v2, v2
	v_mul_f32_e32 v1, v205, v7
	v_fmac_f32_e32 v45, v1, v2
	ds_read2_b32 v[6:7], v0 offset0:104 offset1:136
	ds_read_b128 v[2:5], v165 offset:29440
	ds_read_b128 v[84:87], v165 offset:29456
	v_mov_b32_e32 v1, 0
	s_waitcnt lgkmcnt(1)
	v_dot4c_i32_i8_e32 v1, v167, v2
	v_dot4c_i32_i8_e32 v1, v168, v3
	;; [unrolled: 1-line block ×4, first 2 shown]
	s_nop 2
	v_mul_lo_u32 v212, v1, v176
	v_mov_b32_e32 v1, 0
	s_waitcnt lgkmcnt(0)
	v_dot4c_i32_i8_e32 v1, v172, v84
	v_dot4c_i32_i8_e32 v1, v173, v85
	;; [unrolled: 1-line block ×4, first 2 shown]
	s_nop 2
	v_mad_u64_u32 v[212:213], s[22:23], v1, v178, v[212:213]
	v_cvt_f32_i32_e32 v211, v212
	v_mul_f32_e32 v1, v171, v6
	v_fmac_f32_e32 v41, v1, v211
	v_mov_b32_e32 v1, 0
	v_dot4c_i32_i8_e32 v1, v177, v2
	v_dot4c_i32_i8_e32 v1, v179, v3
	;; [unrolled: 1-line block ×4, first 2 shown]
	s_nop 2
	v_mul_lo_u32 v212, v1, v187
	v_mov_b32_e32 v1, 0
	v_dot4c_i32_i8_e32 v1, v182, v84
	v_dot4c_i32_i8_e32 v1, v184, v85
	;; [unrolled: 1-line block ×4, first 2 shown]
	s_nop 2
	v_mad_u64_u32 v[212:213], s[22:23], v1, v189, v[212:213]
	v_cvt_f32_i32_e32 v211, v212
	v_mul_f32_e32 v1, v183, v6
	v_fmac_f32_e32 v37, v1, v211
	v_mov_b32_e32 v1, 0
	v_dot4c_i32_i8_e32 v1, v188, v2
	v_dot4c_i32_i8_e32 v1, v190, v3
	;; [unrolled: 1-line block ×4, first 2 shown]
	s_nop 2
	v_mul_lo_u32 v212, v1, v198
	v_mov_b32_e32 v1, 0
	v_dot4c_i32_i8_e32 v1, v193, v84
	v_dot4c_i32_i8_e32 v1, v195, v85
	;; [unrolled: 1-line block ×4, first 2 shown]
	s_nop 2
	v_mad_u64_u32 v[212:213], s[22:23], v1, v200, v[212:213]
	v_cvt_f32_i32_e32 v211, v212
	v_mul_f32_e32 v1, v194, v6
	v_fmac_f32_e32 v35, v1, v211
	v_mov_b32_e32 v1, 0
	v_dot4c_i32_i8_e32 v1, v199, v2
	v_dot4c_i32_i8_e32 v1, v201, v3
	;; [unrolled: 1-line block ×4, first 2 shown]
                                        ; kill: def $vgpr3 killed $sgpr0 killed $exec
	s_nop 2
	v_mul_lo_u32 v2, v1, v209
	v_mov_b32_e32 v1, 0
	v_dot4c_i32_i8_e32 v1, v204, v84
	v_dot4c_i32_i8_e32 v1, v206, v85
	;; [unrolled: 1-line block ×4, first 2 shown]
	s_nop 2
	v_mad_u64_u32 v[2:3], s[22:23], v1, v210, v[2:3]
	v_cvt_f32_i32_e32 v2, v2
	v_mul_f32_e32 v1, v205, v6
	v_fmac_f32_e32 v33, v1, v2
	ds_read_b128 v[2:5], v165 offset:30464
	ds_read_b128 v[84:87], v165 offset:30480
	v_mov_b32_e32 v1, 0
	s_waitcnt lgkmcnt(1)
	v_dot4c_i32_i8_e32 v1, v167, v2
	v_dot4c_i32_i8_e32 v1, v168, v3
	;; [unrolled: 1-line block ×4, first 2 shown]
	s_nop 2
	v_mul_lo_u32 v6, v1, v176
	v_mov_b32_e32 v1, 0
	s_waitcnt lgkmcnt(0)
	v_dot4c_i32_i8_e32 v1, v172, v84
	v_dot4c_i32_i8_e32 v1, v173, v85
	;; [unrolled: 1-line block ×4, first 2 shown]
	s_nop 2
	v_mad_u64_u32 v[212:213], s[22:23], v1, v178, v[6:7]
	v_cvt_f32_i32_e32 v6, v212
	v_mul_f32_e32 v1, v171, v7
	v_fmac_f32_e32 v31, v1, v6
	v_mov_b32_e32 v1, 0
	v_dot4c_i32_i8_e32 v1, v177, v2
	v_dot4c_i32_i8_e32 v1, v179, v3
	;; [unrolled: 1-line block ×4, first 2 shown]
	s_nop 2
	v_mul_lo_u32 v6, v1, v187
	v_mov_b32_e32 v1, 0
	v_dot4c_i32_i8_e32 v1, v182, v84
	v_dot4c_i32_i8_e32 v1, v184, v85
	;; [unrolled: 1-line block ×4, first 2 shown]
	s_nop 2
	v_mad_u64_u32 v[212:213], s[22:23], v1, v189, v[6:7]
	v_cvt_f32_i32_e32 v6, v212
	v_mul_f32_e32 v1, v183, v7
	v_fmac_f32_e32 v29, v1, v6
	v_mov_b32_e32 v1, 0
	v_dot4c_i32_i8_e32 v1, v188, v2
	v_dot4c_i32_i8_e32 v1, v190, v3
	v_dot4c_i32_i8_e32 v1, v191, v4
	v_dot4c_i32_i8_e32 v1, v192, v5
	s_nop 2
	v_mul_lo_u32 v6, v1, v198
	v_mov_b32_e32 v1, 0
	v_dot4c_i32_i8_e32 v1, v193, v84
	v_dot4c_i32_i8_e32 v1, v195, v85
	v_dot4c_i32_i8_e32 v1, v196, v86
	v_dot4c_i32_i8_e32 v1, v197, v87
	s_nop 2
	v_mad_u64_u32 v[212:213], s[22:23], v1, v200, v[6:7]
	v_cvt_f32_i32_e32 v6, v212
	v_mul_f32_e32 v1, v194, v7
	v_fmac_f32_e32 v27, v1, v6
	v_mov_b32_e32 v1, 0
	v_dot4c_i32_i8_e32 v1, v199, v2
	v_dot4c_i32_i8_e32 v1, v201, v3
	;; [unrolled: 1-line block ×4, first 2 shown]
                                        ; kill: def $vgpr3 killed $sgpr0 killed $exec
	s_nop 2
	v_mul_lo_u32 v2, v1, v209
	v_mov_b32_e32 v1, 0
	v_dot4c_i32_i8_e32 v1, v204, v84
	v_dot4c_i32_i8_e32 v1, v206, v85
	;; [unrolled: 1-line block ×4, first 2 shown]
	v_mov_b32_e32 v86, 0
	v_mov_b32_e32 v87, 0
	s_nop 0
	v_mad_u64_u32 v[2:3], s[22:23], v1, v210, v[2:3]
	v_cvt_f32_i32_e32 v2, v2
	v_mul_f32_e32 v1, v205, v7
	v_fmac_f32_e32 v25, v1, v2
	ds_read2_b32 v[84:85], v0 offset0:168 offset1:200
	ds_read_b128 v[4:7], v165 offset:31488
	ds_read_b128 v[0:3], v165 offset:31504
	s_waitcnt lgkmcnt(1)
	v_dot4c_i32_i8_e32 v86, v167, v4
	v_dot4c_i32_i8_e32 v86, v168, v5
	s_waitcnt lgkmcnt(0)
	v_dot4c_i32_i8_e32 v87, v172, v0
	v_dot4c_i32_i8_e32 v86, v169, v6
	;; [unrolled: 1-line block ×6, first 2 shown]
	s_nop 0
	v_mul_lo_u32 v86, v86, v176
	s_nop 0
	v_mad_u64_u32 v[86:87], s[22:23], v87, v178, v[86:87]
	v_cvt_f32_i32_e32 v86, v86
	v_mul_f32_e32 v87, v171, v84
	v_fmac_f32_e32 v23, v87, v86
	v_mov_b32_e32 v86, 0
	v_dot4c_i32_i8_e32 v86, v177, v4
	v_mov_b32_e32 v87, 0
	v_dot4c_i32_i8_e32 v86, v179, v5
	v_dot4c_i32_i8_e32 v87, v182, v0
	v_dot4c_i32_i8_e32 v86, v180, v6
	v_dot4c_i32_i8_e32 v87, v184, v1
	v_dot4c_i32_i8_e32 v86, v181, v7
	v_dot4c_i32_i8_e32 v87, v185, v2
	v_dot4c_i32_i8_e32 v87, v186, v3
	s_nop 0
	v_mul_lo_u32 v86, v86, v187
	s_nop 0
	v_mad_u64_u32 v[86:87], s[22:23], v87, v189, v[86:87]
	v_cvt_f32_i32_e32 v86, v86
	v_mul_f32_e32 v87, v183, v84
	v_fmac_f32_e32 v21, v87, v86
	v_mov_b32_e32 v86, 0
	v_dot4c_i32_i8_e32 v86, v188, v4
	v_mov_b32_e32 v87, 0
	v_dot4c_i32_i8_e32 v86, v190, v5
	v_dot4c_i32_i8_e32 v87, v193, v0
	;; [unrolled: 1-line block ×7, first 2 shown]
	s_nop 0
	v_mul_lo_u32 v86, v86, v198
	s_nop 0
	v_mad_u64_u32 v[86:87], s[22:23], v87, v200, v[86:87]
	v_cvt_f32_i32_e32 v86, v86
	v_mul_f32_e32 v87, v194, v84
	v_fmac_f32_e32 v19, v87, v86
	v_mov_b32_e32 v86, 0
	v_dot4c_i32_i8_e32 v86, v199, v4
	v_dot4c_i32_i8_e32 v86, v201, v5
	v_mov_b32_e32 v5, 0
	v_dot4c_i32_i8_e32 v5, v204, v0
	v_dot4c_i32_i8_e32 v86, v202, v6
	;; [unrolled: 1-line block ×6, first 2 shown]
	s_nop 0
	v_mul_lo_u32 v4, v86, v209
	v_mov_b32_e32 v86, 0
	v_mad_u64_u32 v[0:1], s[22:23], v5, v210, v[4:5]
	v_cvt_f32_i32_e32 v0, v0
	v_mul_f32_e32 v1, v205, v84
	v_mov_b32_e32 v84, 0
	v_fmac_f32_e32 v17, v1, v0
	ds_read_b128 v[0:3], v165 offset:32512
	ds_read_b128 v[4:7], v165 offset:32528
	v_add_u32_e32 v165, 32, v165
	s_waitcnt lgkmcnt(1)
	v_dot4c_i32_i8_e32 v84, v167, v0
	v_dot4c_i32_i8_e32 v84, v168, v1
	s_waitcnt lgkmcnt(0)
	v_dot4c_i32_i8_e32 v86, v172, v4
	v_dot4c_i32_i8_e32 v84, v169, v2
	;; [unrolled: 1-line block ×6, first 2 shown]
	s_nop 0
	v_mul_lo_u32 v84, v84, v176
	s_nop 0
	v_mad_u64_u32 v[86:87], s[22:23], v86, v178, v[84:85]
	v_cvt_f32_i32_e32 v86, v86
	v_mul_f32_e32 v84, v171, v85
	v_fmac_f32_e32 v15, v84, v86
	v_mov_b32_e32 v84, 0
	v_dot4c_i32_i8_e32 v84, v177, v0
	v_mov_b32_e32 v86, 0
	v_dot4c_i32_i8_e32 v84, v179, v1
	v_dot4c_i32_i8_e32 v86, v182, v4
	;; [unrolled: 1-line block ×7, first 2 shown]
	s_nop 0
	v_mul_lo_u32 v84, v84, v187
	s_nop 0
	v_mad_u64_u32 v[86:87], s[22:23], v86, v189, v[84:85]
	v_cvt_f32_i32_e32 v86, v86
	v_mul_f32_e32 v84, v183, v85
	v_fmac_f32_e32 v13, v84, v86
	v_mov_b32_e32 v84, 0
	v_dot4c_i32_i8_e32 v84, v188, v0
	v_mov_b32_e32 v86, 0
	v_dot4c_i32_i8_e32 v84, v190, v1
	v_dot4c_i32_i8_e32 v86, v193, v4
	;; [unrolled: 1-line block ×7, first 2 shown]
	s_nop 0
	v_mul_lo_u32 v84, v84, v198
	s_nop 0
	v_mad_u64_u32 v[86:87], s[22:23], v86, v200, v[84:85]
	v_cvt_f32_i32_e32 v86, v86
	v_mul_f32_e32 v84, v194, v85
	v_fmac_f32_e32 v11, v84, v86
	v_mov_b32_e32 v84, 0
	v_dot4c_i32_i8_e32 v84, v199, v0
	v_dot4c_i32_i8_e32 v84, v201, v1
	v_mov_b32_e32 v1, 0
	v_dot4c_i32_i8_e32 v1, v204, v4
	v_dot4c_i32_i8_e32 v84, v202, v2
	;; [unrolled: 1-line block ×6, first 2 shown]
	s_nop 0
	v_mul_lo_u32 v0, v84, v209
	s_nop 0
	v_mad_u64_u32 v[0:1], s[22:23], v1, v210, v[0:1]
	v_cvt_f32_i32_e32 v0, v0
	v_mul_f32_e32 v1, v205, v85
	v_fmac_f32_e32 v9, v1, v0
	s_cbranch_scc1 .LBB129_9
; %bb.10:                               ;   in Loop: Header=BB129_6 Depth=1
	s_or_b32 s18, s7, 1
	s_cmp_ge_i32 s18, s4
	s_barrier
	s_cbranch_scc1 .LBB129_5
; %bb.11:                               ;   in Loop: Header=BB129_6 Depth=1
	v_add_u32_e32 v165, s17, v139
	v_add_u32_e32 v0, v165, v106
	;; [unrolled: 1-line block ×9, first 2 shown]
	v_mad_i64_i32 v[168:169], s[18:19], v165, 36, v[80:81]
	v_add_u32_e32 v165, 8, v164
	v_mad_i64_i32 v[0:1], s[18:19], v0, 36, v[80:81]
	v_mad_i64_i32 v[2:3], s[18:19], v2, 36, v[80:81]
	;; [unrolled: 1-line block ×4, first 2 shown]
	v_mad_u64_u32 v[170:171], s[18:19], v165, 36, s[2:3]
	v_mad_i64_i32 v[84:85], s[18:19], v84, 36, v[80:81]
	v_mad_i64_i32 v[86:87], s[18:19], v86, 36, v[80:81]
	;; [unrolled: 1-line block ×3, first 2 shown]
	global_load_dword v170, v[170:171], off
	s_nop 0
	global_load_dword v0, v[0:1], off offset:4
	s_nop 0
	global_load_dword v1, v[2:3], off offset:4
	;; [unrolled: 2-line block ×3, first 2 shown]
	global_load_dword v3, v[6:7], off offset:4
	s_nop 0
	global_load_dword v4, v[84:85], off offset:4
	global_load_dword v5, v[86:87], off offset:4
	;; [unrolled: 1-line block ×4, first 2 shown]
	s_mov_b32 s18, 16
	s_mov_b32 s21, 14
	s_mov_b32 s19, 0
	v_mov_b32_e32 v165, v150
	v_mov_b32_e32 v166, v149
	s_waitcnt vmcnt(8)
	v_cvt_f32_f16_e32 v84, v170
	s_waitcnt vmcnt(7)
	ds_write_b32 v108, v0
	s_waitcnt vmcnt(6)
	ds_write_b32 v111, v1
	;; [unrolled: 2-line block ×8, first 2 shown]
	ds_write_b32 v105, v84
	s_waitcnt lgkmcnt(0)
	s_barrier
.LBB129_12:                             ;   Parent Loop BB129_6 Depth=1
                                        ; =>  This Inner Loop Header: Depth=2
	s_add_i32 s20, s21, 2
	s_lshr_b32 s25, s20, 4
	s_and_b32 s24, s20, 0x3ffffff8
	s_lshl_b32 s23, s25, 3
	s_lshl_b32 s24, s24, 2
	v_add_lshl_u32 v176, v126, s23, 2
	v_add_u32_e32 v87, s24, v127
	v_add_u32_e32 v170, 0x4200, v176
	ds_read2_b32 v[84:85], v166 offset1:32
	ds_read_b128 v[4:7], v165
	ds_read_b128 v[0:3], v165 offset:16
	ds_read2_b32 v[168:169], v87 offset1:1
	ds_read2_b32 v[170:171], v170 offset1:1
	s_and_b32 s22, s18, -16
	v_add_u32_e32 v86, s22, v125
	s_add_i32 s22, s21, -14
	s_waitcnt lgkmcnt(1)
	v_ashrrev_i32_e32 v167, s22, v168
	s_waitcnt lgkmcnt(0)
	v_ashrrev_i32_e32 v170, s19, v170
	v_lshlrev_b32_e32 v170, 2, v170
	v_and_b32_e32 v168, 0x3030303, v167
	v_bfe_u32 v167, v167, 24, 2
	v_and_b32_e32 v170, 0x4040404, v170
	v_sub_u16_e32 v172, v168, v170
	v_sub_u16_sdwa v173, v168, v170 dst_sel:BYTE_1 dst_unused:UNUSED_PAD src0_sel:BYTE_1 src1_sel:BYTE_1
	v_sub_u16_sdwa v167, v167, v170 dst_sel:BYTE_1 dst_unused:UNUSED_PAD src0_sel:DWORD src1_sel:BYTE_3
	v_sub_u16_sdwa v168, v168, v170 dst_sel:DWORD dst_unused:UNUSED_PAD src0_sel:WORD_1 src1_sel:WORD_1
	v_ashrrev_i32_e32 v170, s19, v171
	v_or_b32_sdwa v167, v168, v167 dst_sel:WORD_1 dst_unused:UNUSED_PAD src0_sel:BYTE_0 src1_sel:DWORD
	v_ashrrev_i32_e32 v168, s22, v169
	v_lshlrev_b32_e32 v170, 2, v170
	v_or_b32_sdwa v172, v172, v173 dst_sel:DWORD dst_unused:UNUSED_PAD src0_sel:BYTE_0 src1_sel:DWORD
	v_and_b32_e32 v169, 0x3030303, v168
	v_bfe_u32 v168, v168, 24, 2
	v_and_b32_e32 v170, 0x4040404, v170
	v_or_b32_sdwa v167, v172, v167 dst_sel:DWORD dst_unused:UNUSED_PAD src0_sel:WORD_0 src1_sel:DWORD
	v_sub_u16_e32 v171, v169, v170
	v_sub_u16_sdwa v172, v169, v170 dst_sel:BYTE_1 dst_unused:UNUSED_PAD src0_sel:BYTE_1 src1_sel:BYTE_1
	v_sub_u16_sdwa v168, v168, v170 dst_sel:BYTE_1 dst_unused:UNUSED_PAD src0_sel:DWORD src1_sel:BYTE_3
	v_sub_u16_sdwa v169, v169, v170 dst_sel:DWORD dst_unused:UNUSED_PAD src0_sel:WORD_1 src1_sel:WORD_1
	v_or_b32_sdwa v171, v171, v172 dst_sel:DWORD dst_unused:UNUSED_PAD src0_sel:BYTE_0 src1_sel:DWORD
	v_or_b32_sdwa v168, v169, v168 dst_sel:WORD_1 dst_unused:UNUSED_PAD src0_sel:BYTE_0 src1_sel:DWORD
	v_add_u32_e32 v172, 0x4208, v176
	v_or_b32_sdwa v168, v171, v168 dst_sel:DWORD dst_unused:UNUSED_PAD src0_sel:WORD_0 src1_sel:DWORD
	ds_read2_b32 v[170:171], v87 offset0:2 offset1:3
	ds_read2_b32 v[172:173], v172 offset1:1
	s_lshl_b32 s25, s25, 2
	v_add_lshl_u32 v198, v132, s23, 2
	v_add_lshl_u32 v188, v129, s23, 2
	s_waitcnt lgkmcnt(1)
	v_ashrrev_i32_e32 v169, s22, v170
	s_waitcnt lgkmcnt(0)
	v_ashrrev_i32_e32 v172, s19, v172
	v_lshlrev_b32_e32 v172, 2, v172
	v_and_b32_e32 v170, 0x3030303, v169
	v_bfe_u32 v169, v169, 24, 2
	v_and_b32_e32 v172, 0x4040404, v172
	v_sub_u16_e32 v174, v170, v172
	v_sub_u16_sdwa v175, v170, v172 dst_sel:BYTE_1 dst_unused:UNUSED_PAD src0_sel:BYTE_1 src1_sel:BYTE_1
	v_sub_u16_sdwa v169, v169, v172 dst_sel:BYTE_1 dst_unused:UNUSED_PAD src0_sel:DWORD src1_sel:BYTE_3
	v_sub_u16_sdwa v170, v170, v172 dst_sel:DWORD dst_unused:UNUSED_PAD src0_sel:WORD_1 src1_sel:WORD_1
	v_ashrrev_i32_e32 v172, s19, v173
	v_or_b32_sdwa v169, v170, v169 dst_sel:WORD_1 dst_unused:UNUSED_PAD src0_sel:BYTE_0 src1_sel:DWORD
	v_ashrrev_i32_e32 v170, s22, v171
	v_lshlrev_b32_e32 v172, 2, v172
	v_or_b32_sdwa v174, v174, v175 dst_sel:DWORD dst_unused:UNUSED_PAD src0_sel:BYTE_0 src1_sel:DWORD
	v_and_b32_e32 v171, 0x3030303, v170
	v_bfe_u32 v170, v170, 24, 2
	v_and_b32_e32 v172, 0x4040404, v172
	v_or_b32_sdwa v169, v174, v169 dst_sel:DWORD dst_unused:UNUSED_PAD src0_sel:WORD_0 src1_sel:DWORD
	v_sub_u16_e32 v173, v171, v172
	v_sub_u16_sdwa v174, v171, v172 dst_sel:BYTE_1 dst_unused:UNUSED_PAD src0_sel:BYTE_1 src1_sel:BYTE_1
	v_sub_u16_sdwa v170, v170, v172 dst_sel:BYTE_1 dst_unused:UNUSED_PAD src0_sel:DWORD src1_sel:BYTE_3
	v_sub_u16_sdwa v171, v171, v172 dst_sel:DWORD dst_unused:UNUSED_PAD src0_sel:WORD_1 src1_sel:WORD_1
	v_or_b32_sdwa v173, v173, v174 dst_sel:DWORD dst_unused:UNUSED_PAD src0_sel:BYTE_0 src1_sel:DWORD
	v_or_b32_sdwa v170, v171, v170 dst_sel:WORD_1 dst_unused:UNUSED_PAD src0_sel:BYTE_0 src1_sel:DWORD
	v_add_u32_e32 v174, 0x4210, v176
	v_or_b32_sdwa v170, v173, v170 dst_sel:DWORD dst_unused:UNUSED_PAD src0_sel:WORD_0 src1_sel:DWORD
	ds_read2_b32 v[172:173], v87 offset0:4 offset1:5
	ds_read2_b32 v[174:175], v174 offset1:1
	v_add_u32_e32 v192, 0x4200, v198
	v_add_lshl_u32 v210, v135, s23, 2
	s_add_i32 s18, s18, 2
	s_waitcnt lgkmcnt(1)
	v_ashrrev_i32_e32 v171, s22, v172
	s_waitcnt lgkmcnt(0)
	v_ashrrev_i32_e32 v174, s19, v174
	v_lshlrev_b32_e32 v174, 2, v174
	v_and_b32_e32 v172, 0x3030303, v171
	v_bfe_u32 v171, v171, 24, 2
	v_and_b32_e32 v174, 0x4040404, v174
	v_sub_u16_e32 v177, v172, v174
	v_sub_u16_sdwa v178, v172, v174 dst_sel:BYTE_1 dst_unused:UNUSED_PAD src0_sel:BYTE_1 src1_sel:BYTE_1
	v_sub_u16_sdwa v171, v171, v174 dst_sel:BYTE_1 dst_unused:UNUSED_PAD src0_sel:DWORD src1_sel:BYTE_3
	v_sub_u16_sdwa v172, v172, v174 dst_sel:DWORD dst_unused:UNUSED_PAD src0_sel:WORD_1 src1_sel:WORD_1
	v_or_b32_sdwa v177, v177, v178 dst_sel:DWORD dst_unused:UNUSED_PAD src0_sel:BYTE_0 src1_sel:DWORD
	v_or_b32_sdwa v171, v172, v171 dst_sel:WORD_1 dst_unused:UNUSED_PAD src0_sel:BYTE_0 src1_sel:DWORD
	v_ashrrev_i32_e32 v174, s19, v175
	v_or_b32_sdwa v172, v177, v171 dst_sel:DWORD dst_unused:UNUSED_PAD src0_sel:WORD_0 src1_sel:DWORD
	v_ashrrev_i32_e32 v171, s22, v173
	v_lshlrev_b32_e32 v174, 2, v174
	v_and_b32_e32 v173, 0x3030303, v171
	v_bfe_u32 v171, v171, 24, 2
	v_and_b32_e32 v174, 0x4040404, v174
	v_sub_u16_e32 v175, v173, v174
	v_sub_u16_sdwa v177, v173, v174 dst_sel:BYTE_1 dst_unused:UNUSED_PAD src0_sel:BYTE_1 src1_sel:BYTE_1
	v_sub_u16_sdwa v171, v171, v174 dst_sel:BYTE_1 dst_unused:UNUSED_PAD src0_sel:DWORD src1_sel:BYTE_3
	v_sub_u16_sdwa v173, v173, v174 dst_sel:DWORD dst_unused:UNUSED_PAD src0_sel:WORD_1 src1_sel:WORD_1
	v_or_b32_sdwa v175, v175, v177 dst_sel:DWORD dst_unused:UNUSED_PAD src0_sel:BYTE_0 src1_sel:DWORD
	v_or_b32_sdwa v171, v173, v171 dst_sel:WORD_1 dst_unused:UNUSED_PAD src0_sel:BYTE_0 src1_sel:DWORD
	v_or_b32_sdwa v173, v175, v171 dst_sel:DWORD dst_unused:UNUSED_PAD src0_sel:WORD_0 src1_sel:DWORD
	ds_read2_b32 v[174:175], v87 offset0:6 offset1:7
	ds_read2_b32 v[192:193], v192 offset1:1
	s_waitcnt lgkmcnt(1)
	v_ashrrev_i32_e32 v87, s22, v174
	v_add_u32_e32 v174, 0x4218, v176
	ds_read2_b32 v[176:177], v174 offset1:1
	v_and_b32_e32 v171, 0x3030303, v87
	v_bfe_u32 v87, v87, 24, 2
	s_waitcnt lgkmcnt(1)
	v_ashrrev_i32_e32 v192, s19, v192
	v_lshlrev_b32_e32 v192, 2, v192
	s_waitcnt lgkmcnt(0)
	v_ashrrev_i32_e32 v174, s19, v176
	v_lshlrev_b32_e32 v174, 2, v174
	v_and_b32_e32 v174, 0x4040404, v174
	v_sub_u16_e32 v176, v171, v174
	v_sub_u16_sdwa v178, v171, v174 dst_sel:BYTE_1 dst_unused:UNUSED_PAD src0_sel:BYTE_1 src1_sel:BYTE_1
	v_sub_u16_sdwa v87, v87, v174 dst_sel:BYTE_1 dst_unused:UNUSED_PAD src0_sel:DWORD src1_sel:BYTE_3
	v_sub_u16_sdwa v171, v171, v174 dst_sel:DWORD dst_unused:UNUSED_PAD src0_sel:WORD_1 src1_sel:WORD_1
	v_or_b32_sdwa v176, v176, v178 dst_sel:DWORD dst_unused:UNUSED_PAD src0_sel:BYTE_0 src1_sel:DWORD
	v_or_b32_sdwa v87, v171, v87 dst_sel:WORD_1 dst_unused:UNUSED_PAD src0_sel:BYTE_0 src1_sel:DWORD
	v_or_b32_sdwa v174, v176, v87 dst_sel:DWORD dst_unused:UNUSED_PAD src0_sel:WORD_0 src1_sel:DWORD
	v_ashrrev_i32_e32 v87, s22, v175
	v_ashrrev_i32_e32 v175, s19, v177
	v_lshlrev_b32_e32 v175, 2, v175
	v_and_b32_e32 v171, 0x3030303, v87
	v_bfe_u32 v87, v87, 24, 2
	v_and_b32_e32 v175, 0x4040404, v175
	v_sub_u16_e32 v176, v171, v175
	v_sub_u16_sdwa v177, v171, v175 dst_sel:BYTE_1 dst_unused:UNUSED_PAD src0_sel:BYTE_1 src1_sel:BYTE_1
	v_sub_u16_sdwa v87, v87, v175 dst_sel:BYTE_1 dst_unused:UNUSED_PAD src0_sel:DWORD src1_sel:BYTE_3
	v_sub_u16_sdwa v171, v171, v175 dst_sel:DWORD dst_unused:UNUSED_PAD src0_sel:WORD_1 src1_sel:WORD_1
	v_or_b32_sdwa v176, v176, v177 dst_sel:DWORD dst_unused:UNUSED_PAD src0_sel:BYTE_0 src1_sel:DWORD
	v_or_b32_sdwa v87, v171, v87 dst_sel:WORD_1 dst_unused:UNUSED_PAD src0_sel:BYTE_0 src1_sel:DWORD
	v_or_b32_sdwa v175, v176, v87 dst_sel:DWORD dst_unused:UNUSED_PAD src0_sel:WORD_0 src1_sel:DWORD
	v_add3_u32 v87, v141, s21, v86
	v_add_u32_e32 v171, s25, v128
	ds_read_b32 v171, v171
	ds_read_u16 v87, v87 offset:33522
	v_mov_b32_e32 v177, 0
	v_dot4c_i32_i8_e32 v177, v167, v4
	v_dot4c_i32_i8_e32 v177, v168, v5
	;; [unrolled: 1-line block ×3, first 2 shown]
	s_waitcnt lgkmcnt(0)
	v_lshrrev_b16_e32 v178, 8, v87
	v_bfe_i32 v176, v87, 0, 8
	v_mov_b32_e32 v87, 0
	v_dot4c_i32_i8_e32 v87, v172, v0
	v_dot4c_i32_i8_e32 v87, v173, v1
	;; [unrolled: 1-line block ×5, first 2 shown]
	v_bfe_i32 v178, v178, 0, 8
	v_mul_lo_u32 v180, v177, v176
	v_and_b32_e32 v192, 0x4040404, v192
	v_mad_u64_u32 v[180:181], s[26:27], v87, v178, v[180:181]
	v_cvt_f32_i32_e32 v177, v180
	v_mul_f32_e32 v87, v84, v171
	v_fmac_f32_e32 v118, v87, v177
	v_add_u32_e32 v87, s24, v130
	ds_read2_b32 v[180:181], v87 offset1:1
	s_waitcnt lgkmcnt(0)
	v_ashrrev_i32_e32 v177, s22, v180
	v_add_u32_e32 v180, 0x4200, v188
	ds_read2_b32 v[182:183], v180 offset1:1
	v_and_b32_e32 v179, 0x3030303, v177
	v_bfe_u32 v177, v177, 24, 2
	s_waitcnt lgkmcnt(0)
	v_ashrrev_i32_e32 v180, s19, v182
	v_lshlrev_b32_e32 v180, 2, v180
	v_and_b32_e32 v180, 0x4040404, v180
	v_sub_u16_e32 v182, v179, v180
	v_sub_u16_sdwa v184, v179, v180 dst_sel:BYTE_1 dst_unused:UNUSED_PAD src0_sel:BYTE_1 src1_sel:BYTE_1
	v_sub_u16_sdwa v177, v177, v180 dst_sel:BYTE_1 dst_unused:UNUSED_PAD src0_sel:DWORD src1_sel:BYTE_3
	v_sub_u16_sdwa v179, v179, v180 dst_sel:DWORD dst_unused:UNUSED_PAD src0_sel:WORD_1 src1_sel:WORD_1
	v_or_b32_sdwa v177, v179, v177 dst_sel:WORD_1 dst_unused:UNUSED_PAD src0_sel:BYTE_0 src1_sel:DWORD
	v_ashrrev_i32_e32 v179, s22, v181
	v_ashrrev_i32_e32 v181, s19, v183
	v_lshlrev_b32_e32 v181, 2, v181
	v_or_b32_sdwa v182, v182, v184 dst_sel:DWORD dst_unused:UNUSED_PAD src0_sel:BYTE_0 src1_sel:DWORD
	v_and_b32_e32 v180, 0x3030303, v179
	v_bfe_u32 v179, v179, 24, 2
	v_and_b32_e32 v181, 0x4040404, v181
	v_or_b32_sdwa v177, v182, v177 dst_sel:DWORD dst_unused:UNUSED_PAD src0_sel:WORD_0 src1_sel:DWORD
	v_sub_u16_e32 v182, v180, v181
	v_sub_u16_sdwa v183, v180, v181 dst_sel:BYTE_1 dst_unused:UNUSED_PAD src0_sel:BYTE_1 src1_sel:BYTE_1
	v_sub_u16_sdwa v179, v179, v181 dst_sel:BYTE_1 dst_unused:UNUSED_PAD src0_sel:DWORD src1_sel:BYTE_3
	v_sub_u16_sdwa v180, v180, v181 dst_sel:DWORD dst_unused:UNUSED_PAD src0_sel:WORD_1 src1_sel:WORD_1
	v_or_b32_sdwa v182, v182, v183 dst_sel:DWORD dst_unused:UNUSED_PAD src0_sel:BYTE_0 src1_sel:DWORD
	v_or_b32_sdwa v179, v180, v179 dst_sel:WORD_1 dst_unused:UNUSED_PAD src0_sel:BYTE_0 src1_sel:DWORD
	v_or_b32_sdwa v179, v182, v179 dst_sel:DWORD dst_unused:UNUSED_PAD src0_sel:WORD_0 src1_sel:DWORD
	v_add_u32_e32 v182, 0x4208, v188
	ds_read2_b32 v[180:181], v87 offset0:2 offset1:3
	ds_read2_b32 v[182:183], v182 offset1:1
	s_waitcnt lgkmcnt(1)
	v_ashrrev_i32_e32 v180, s22, v180
	s_waitcnt lgkmcnt(0)
	v_ashrrev_i32_e32 v182, s19, v182
	v_lshlrev_b32_e32 v182, 2, v182
	v_and_b32_e32 v184, 0x3030303, v180
	v_bfe_u32 v180, v180, 24, 2
	v_and_b32_e32 v182, 0x4040404, v182
	v_ashrrev_i32_e32 v183, s19, v183
	v_sub_u16_e32 v185, v184, v182
	v_sub_u16_sdwa v186, v184, v182 dst_sel:BYTE_1 dst_unused:UNUSED_PAD src0_sel:BYTE_1 src1_sel:BYTE_1
	v_sub_u16_sdwa v180, v180, v182 dst_sel:BYTE_1 dst_unused:UNUSED_PAD src0_sel:DWORD src1_sel:BYTE_3
	v_sub_u16_sdwa v182, v184, v182 dst_sel:DWORD dst_unused:UNUSED_PAD src0_sel:WORD_1 src1_sel:WORD_1
	v_ashrrev_i32_e32 v181, s22, v181
	v_lshlrev_b32_e32 v183, 2, v183
	v_or_b32_sdwa v185, v185, v186 dst_sel:DWORD dst_unused:UNUSED_PAD src0_sel:BYTE_0 src1_sel:DWORD
	v_or_b32_sdwa v180, v182, v180 dst_sel:WORD_1 dst_unused:UNUSED_PAD src0_sel:BYTE_0 src1_sel:DWORD
	v_and_b32_e32 v182, 0x3030303, v181
	v_bfe_u32 v181, v181, 24, 2
	v_and_b32_e32 v183, 0x4040404, v183
	v_or_b32_sdwa v180, v185, v180 dst_sel:DWORD dst_unused:UNUSED_PAD src0_sel:WORD_0 src1_sel:DWORD
	v_sub_u16_e32 v184, v182, v183
	v_sub_u16_sdwa v185, v182, v183 dst_sel:BYTE_1 dst_unused:UNUSED_PAD src0_sel:BYTE_1 src1_sel:BYTE_1
	v_sub_u16_sdwa v181, v181, v183 dst_sel:BYTE_1 dst_unused:UNUSED_PAD src0_sel:DWORD src1_sel:BYTE_3
	v_sub_u16_sdwa v182, v182, v183 dst_sel:DWORD dst_unused:UNUSED_PAD src0_sel:WORD_1 src1_sel:WORD_1
	v_or_b32_sdwa v184, v184, v185 dst_sel:DWORD dst_unused:UNUSED_PAD src0_sel:BYTE_0 src1_sel:DWORD
	v_or_b32_sdwa v181, v182, v181 dst_sel:WORD_1 dst_unused:UNUSED_PAD src0_sel:BYTE_0 src1_sel:DWORD
	v_or_b32_sdwa v181, v184, v181 dst_sel:DWORD dst_unused:UNUSED_PAD src0_sel:WORD_0 src1_sel:DWORD
	v_add_u32_e32 v184, 0x4210, v188
	ds_read2_b32 v[182:183], v87 offset0:4 offset1:5
	ds_read2_b32 v[184:185], v184 offset1:1
	s_waitcnt lgkmcnt(1)
	v_ashrrev_i32_e32 v182, s22, v182
	s_waitcnt lgkmcnt(0)
	v_ashrrev_i32_e32 v184, s19, v184
	v_lshlrev_b32_e32 v184, 2, v184
	v_and_b32_e32 v186, 0x3030303, v182
	v_bfe_u32 v182, v182, 24, 2
	v_and_b32_e32 v184, 0x4040404, v184
	v_ashrrev_i32_e32 v185, s19, v185
	v_sub_u16_e32 v187, v186, v184
	v_sub_u16_sdwa v189, v186, v184 dst_sel:BYTE_1 dst_unused:UNUSED_PAD src0_sel:BYTE_1 src1_sel:BYTE_1
	v_sub_u16_sdwa v182, v182, v184 dst_sel:BYTE_1 dst_unused:UNUSED_PAD src0_sel:DWORD src1_sel:BYTE_3
	v_sub_u16_sdwa v184, v186, v184 dst_sel:DWORD dst_unused:UNUSED_PAD src0_sel:WORD_1 src1_sel:WORD_1
	v_ashrrev_i32_e32 v183, s22, v183
	v_lshlrev_b32_e32 v185, 2, v185
	v_or_b32_sdwa v187, v187, v189 dst_sel:DWORD dst_unused:UNUSED_PAD src0_sel:BYTE_0 src1_sel:DWORD
	v_or_b32_sdwa v182, v184, v182 dst_sel:WORD_1 dst_unused:UNUSED_PAD src0_sel:BYTE_0 src1_sel:DWORD
	v_and_b32_e32 v184, 0x3030303, v183
	v_bfe_u32 v183, v183, 24, 2
	v_and_b32_e32 v185, 0x4040404, v185
	v_or_b32_sdwa v182, v187, v182 dst_sel:DWORD dst_unused:UNUSED_PAD src0_sel:WORD_0 src1_sel:DWORD
	v_sub_u16_e32 v186, v184, v185
	v_sub_u16_sdwa v187, v184, v185 dst_sel:BYTE_1 dst_unused:UNUSED_PAD src0_sel:BYTE_1 src1_sel:BYTE_1
	v_sub_u16_sdwa v183, v183, v185 dst_sel:BYTE_1 dst_unused:UNUSED_PAD src0_sel:DWORD src1_sel:BYTE_3
	v_sub_u16_sdwa v184, v184, v185 dst_sel:DWORD dst_unused:UNUSED_PAD src0_sel:WORD_1 src1_sel:WORD_1
	v_or_b32_sdwa v186, v186, v187 dst_sel:DWORD dst_unused:UNUSED_PAD src0_sel:BYTE_0 src1_sel:DWORD
	v_or_b32_sdwa v183, v184, v183 dst_sel:WORD_1 dst_unused:UNUSED_PAD src0_sel:BYTE_0 src1_sel:DWORD
	v_add_u32_e32 v185, 0x4218, v188
	v_or_b32_sdwa v184, v186, v183 dst_sel:DWORD dst_unused:UNUSED_PAD src0_sel:WORD_0 src1_sel:DWORD
	ds_read2_b32 v[186:187], v87 offset0:6 offset1:7
	ds_read2_b32 v[188:189], v185 offset1:1
	s_waitcnt lgkmcnt(1)
	v_ashrrev_i32_e32 v87, s22, v186
	s_waitcnt lgkmcnt(0)
	v_ashrrev_i32_e32 v185, s19, v188
	v_lshlrev_b32_e32 v185, 2, v185
	v_and_b32_e32 v183, 0x3030303, v87
	v_bfe_u32 v87, v87, 24, 2
	v_and_b32_e32 v185, 0x4040404, v185
	v_sub_u16_e32 v186, v183, v185
	v_sub_u16_sdwa v188, v183, v185 dst_sel:BYTE_1 dst_unused:UNUSED_PAD src0_sel:BYTE_1 src1_sel:BYTE_1
	v_sub_u16_sdwa v87, v87, v185 dst_sel:BYTE_1 dst_unused:UNUSED_PAD src0_sel:DWORD src1_sel:BYTE_3
	v_sub_u16_sdwa v183, v183, v185 dst_sel:DWORD dst_unused:UNUSED_PAD src0_sel:WORD_1 src1_sel:WORD_1
	v_or_b32_sdwa v186, v186, v188 dst_sel:DWORD dst_unused:UNUSED_PAD src0_sel:BYTE_0 src1_sel:DWORD
	v_or_b32_sdwa v87, v183, v87 dst_sel:WORD_1 dst_unused:UNUSED_PAD src0_sel:BYTE_0 src1_sel:DWORD
	v_or_b32_sdwa v185, v186, v87 dst_sel:DWORD dst_unused:UNUSED_PAD src0_sel:WORD_0 src1_sel:DWORD
	v_ashrrev_i32_e32 v186, s19, v189
	v_ashrrev_i32_e32 v87, s22, v187
	v_lshlrev_b32_e32 v186, 2, v186
	v_and_b32_e32 v183, 0x3030303, v87
	v_bfe_u32 v87, v87, 24, 2
	v_and_b32_e32 v186, 0x4040404, v186
	v_sub_u16_e32 v187, v183, v186
	v_sub_u16_sdwa v188, v183, v186 dst_sel:BYTE_1 dst_unused:UNUSED_PAD src0_sel:BYTE_1 src1_sel:BYTE_1
	v_sub_u16_sdwa v87, v87, v186 dst_sel:BYTE_1 dst_unused:UNUSED_PAD src0_sel:DWORD src1_sel:BYTE_3
	v_sub_u16_sdwa v183, v183, v186 dst_sel:DWORD dst_unused:UNUSED_PAD src0_sel:WORD_1 src1_sel:WORD_1
	v_or_b32_sdwa v187, v187, v188 dst_sel:DWORD dst_unused:UNUSED_PAD src0_sel:BYTE_0 src1_sel:DWORD
	v_or_b32_sdwa v87, v183, v87 dst_sel:WORD_1 dst_unused:UNUSED_PAD src0_sel:BYTE_0 src1_sel:DWORD
	v_or_b32_sdwa v186, v187, v87 dst_sel:DWORD dst_unused:UNUSED_PAD src0_sel:WORD_0 src1_sel:DWORD
	v_add3_u32 v87, v143, s21, v86
	v_add_u32_e32 v183, s25, v131
	ds_read_b32 v183, v183
	ds_read_u16 v87, v87 offset:34546
	v_mov_b32_e32 v188, 0
	v_dot4c_i32_i8_e32 v188, v177, v4
	v_dot4c_i32_i8_e32 v188, v179, v5
	;; [unrolled: 1-line block ×3, first 2 shown]
	s_waitcnt lgkmcnt(0)
	v_lshrrev_b16_e32 v189, 8, v87
	v_bfe_i32 v187, v87, 0, 8
	v_mov_b32_e32 v87, 0
	v_dot4c_i32_i8_e32 v87, v182, v0
	v_dot4c_i32_i8_e32 v87, v184, v1
	;; [unrolled: 1-line block ×5, first 2 shown]
	v_bfe_i32 v189, v189, 0, 8
	v_mul_lo_u32 v188, v188, v187
	s_nop 0
	v_mad_u64_u32 v[190:191], s[26:27], v87, v189, v[188:189]
	v_cvt_f32_i32_e32 v188, v190
	v_mul_f32_e32 v87, v84, v183
	v_fmac_f32_e32 v110, v87, v188
	v_add_u32_e32 v87, s24, v133
	ds_read2_b32 v[190:191], v87 offset1:1
	s_waitcnt lgkmcnt(0)
	v_ashrrev_i32_e32 v188, s22, v190
	v_and_b32_e32 v190, 0x3030303, v188
	v_bfe_u32 v188, v188, 24, 2
	v_sub_u16_e32 v194, v190, v192
	v_sub_u16_sdwa v195, v190, v192 dst_sel:BYTE_1 dst_unused:UNUSED_PAD src0_sel:BYTE_1 src1_sel:BYTE_1
	v_sub_u16_sdwa v188, v188, v192 dst_sel:BYTE_1 dst_unused:UNUSED_PAD src0_sel:DWORD src1_sel:BYTE_3
	v_sub_u16_sdwa v190, v190, v192 dst_sel:DWORD dst_unused:UNUSED_PAD src0_sel:WORD_1 src1_sel:WORD_1
	v_ashrrev_i32_e32 v192, s19, v193
	v_or_b32_sdwa v188, v190, v188 dst_sel:WORD_1 dst_unused:UNUSED_PAD src0_sel:BYTE_0 src1_sel:DWORD
	v_ashrrev_i32_e32 v190, s22, v191
	v_lshlrev_b32_e32 v192, 2, v192
	v_or_b32_sdwa v194, v194, v195 dst_sel:DWORD dst_unused:UNUSED_PAD src0_sel:BYTE_0 src1_sel:DWORD
	v_and_b32_e32 v191, 0x3030303, v190
	v_bfe_u32 v190, v190, 24, 2
	v_and_b32_e32 v192, 0x4040404, v192
	v_or_b32_sdwa v188, v194, v188 dst_sel:DWORD dst_unused:UNUSED_PAD src0_sel:WORD_0 src1_sel:DWORD
	v_sub_u16_e32 v193, v191, v192
	v_sub_u16_sdwa v194, v191, v192 dst_sel:BYTE_1 dst_unused:UNUSED_PAD src0_sel:BYTE_1 src1_sel:BYTE_1
	v_sub_u16_sdwa v190, v190, v192 dst_sel:BYTE_1 dst_unused:UNUSED_PAD src0_sel:DWORD src1_sel:BYTE_3
	v_sub_u16_sdwa v191, v191, v192 dst_sel:DWORD dst_unused:UNUSED_PAD src0_sel:WORD_1 src1_sel:WORD_1
	v_or_b32_sdwa v193, v193, v194 dst_sel:DWORD dst_unused:UNUSED_PAD src0_sel:BYTE_0 src1_sel:DWORD
	v_or_b32_sdwa v190, v191, v190 dst_sel:WORD_1 dst_unused:UNUSED_PAD src0_sel:BYTE_0 src1_sel:DWORD
	v_add_u32_e32 v194, 0x4208, v198
	v_or_b32_sdwa v190, v193, v190 dst_sel:DWORD dst_unused:UNUSED_PAD src0_sel:WORD_0 src1_sel:DWORD
	ds_read2_b32 v[192:193], v87 offset0:2 offset1:3
	ds_read2_b32 v[194:195], v194 offset1:1
	s_waitcnt lgkmcnt(1)
	v_ashrrev_i32_e32 v191, s22, v192
	s_waitcnt lgkmcnt(0)
	v_ashrrev_i32_e32 v194, s19, v194
	v_lshlrev_b32_e32 v194, 2, v194
	v_and_b32_e32 v192, 0x3030303, v191
	v_bfe_u32 v191, v191, 24, 2
	v_and_b32_e32 v194, 0x4040404, v194
	v_sub_u16_e32 v196, v192, v194
	v_sub_u16_sdwa v197, v192, v194 dst_sel:BYTE_1 dst_unused:UNUSED_PAD src0_sel:BYTE_1 src1_sel:BYTE_1
	v_sub_u16_sdwa v191, v191, v194 dst_sel:BYTE_1 dst_unused:UNUSED_PAD src0_sel:DWORD src1_sel:BYTE_3
	v_sub_u16_sdwa v192, v192, v194 dst_sel:DWORD dst_unused:UNUSED_PAD src0_sel:WORD_1 src1_sel:WORD_1
	v_ashrrev_i32_e32 v194, s19, v195
	v_or_b32_sdwa v191, v192, v191 dst_sel:WORD_1 dst_unused:UNUSED_PAD src0_sel:BYTE_0 src1_sel:DWORD
	v_ashrrev_i32_e32 v192, s22, v193
	v_lshlrev_b32_e32 v194, 2, v194
	v_or_b32_sdwa v196, v196, v197 dst_sel:DWORD dst_unused:UNUSED_PAD src0_sel:BYTE_0 src1_sel:DWORD
	v_and_b32_e32 v193, 0x3030303, v192
	v_bfe_u32 v192, v192, 24, 2
	v_and_b32_e32 v194, 0x4040404, v194
	v_or_b32_sdwa v191, v196, v191 dst_sel:DWORD dst_unused:UNUSED_PAD src0_sel:WORD_0 src1_sel:DWORD
	v_sub_u16_e32 v195, v193, v194
	v_sub_u16_sdwa v196, v193, v194 dst_sel:BYTE_1 dst_unused:UNUSED_PAD src0_sel:BYTE_1 src1_sel:BYTE_1
	v_sub_u16_sdwa v192, v192, v194 dst_sel:BYTE_1 dst_unused:UNUSED_PAD src0_sel:DWORD src1_sel:BYTE_3
	v_sub_u16_sdwa v193, v193, v194 dst_sel:DWORD dst_unused:UNUSED_PAD src0_sel:WORD_1 src1_sel:WORD_1
	v_or_b32_sdwa v195, v195, v196 dst_sel:DWORD dst_unused:UNUSED_PAD src0_sel:BYTE_0 src1_sel:DWORD
	v_or_b32_sdwa v192, v193, v192 dst_sel:WORD_1 dst_unused:UNUSED_PAD src0_sel:BYTE_0 src1_sel:DWORD
	v_add_u32_e32 v196, 0x4210, v198
	v_or_b32_sdwa v192, v195, v192 dst_sel:DWORD dst_unused:UNUSED_PAD src0_sel:WORD_0 src1_sel:DWORD
	ds_read2_b32 v[194:195], v87 offset0:4 offset1:5
	ds_read2_b32 v[196:197], v196 offset1:1
	s_waitcnt lgkmcnt(1)
	v_ashrrev_i32_e32 v193, s22, v194
	s_waitcnt lgkmcnt(0)
	v_ashrrev_i32_e32 v196, s19, v196
	v_lshlrev_b32_e32 v196, 2, v196
	v_and_b32_e32 v194, 0x3030303, v193
	v_bfe_u32 v193, v193, 24, 2
	v_and_b32_e32 v196, 0x4040404, v196
	v_sub_u16_e32 v199, v194, v196
	v_sub_u16_sdwa v200, v194, v196 dst_sel:BYTE_1 dst_unused:UNUSED_PAD src0_sel:BYTE_1 src1_sel:BYTE_1
	v_sub_u16_sdwa v193, v193, v196 dst_sel:BYTE_1 dst_unused:UNUSED_PAD src0_sel:DWORD src1_sel:BYTE_3
	v_sub_u16_sdwa v194, v194, v196 dst_sel:DWORD dst_unused:UNUSED_PAD src0_sel:WORD_1 src1_sel:WORD_1
	v_ashrrev_i32_e32 v196, s19, v197
	v_or_b32_sdwa v193, v194, v193 dst_sel:WORD_1 dst_unused:UNUSED_PAD src0_sel:BYTE_0 src1_sel:DWORD
	v_ashrrev_i32_e32 v194, s22, v195
	v_lshlrev_b32_e32 v196, 2, v196
	v_or_b32_sdwa v199, v199, v200 dst_sel:DWORD dst_unused:UNUSED_PAD src0_sel:BYTE_0 src1_sel:DWORD
	v_and_b32_e32 v195, 0x3030303, v194
	v_bfe_u32 v194, v194, 24, 2
	v_and_b32_e32 v196, 0x4040404, v196
	v_or_b32_sdwa v193, v199, v193 dst_sel:DWORD dst_unused:UNUSED_PAD src0_sel:WORD_0 src1_sel:DWORD
	v_sub_u16_e32 v197, v195, v196
	v_sub_u16_sdwa v199, v195, v196 dst_sel:BYTE_1 dst_unused:UNUSED_PAD src0_sel:BYTE_1 src1_sel:BYTE_1
	v_sub_u16_sdwa v194, v194, v196 dst_sel:BYTE_1 dst_unused:UNUSED_PAD src0_sel:DWORD src1_sel:BYTE_3
	v_sub_u16_sdwa v195, v195, v196 dst_sel:DWORD dst_unused:UNUSED_PAD src0_sel:WORD_1 src1_sel:WORD_1
	v_or_b32_sdwa v197, v197, v199 dst_sel:DWORD dst_unused:UNUSED_PAD src0_sel:BYTE_0 src1_sel:DWORD
	v_or_b32_sdwa v194, v195, v194 dst_sel:WORD_1 dst_unused:UNUSED_PAD src0_sel:BYTE_0 src1_sel:DWORD
	v_or_b32_sdwa v195, v197, v194 dst_sel:DWORD dst_unused:UNUSED_PAD src0_sel:WORD_0 src1_sel:DWORD
	ds_read2_b32 v[196:197], v87 offset0:6 offset1:7
	s_waitcnt lgkmcnt(0)
	v_ashrrev_i32_e32 v87, s22, v196
	v_add_u32_e32 v196, 0x4218, v198
	ds_read2_b32 v[198:199], v196 offset1:1
	v_and_b32_e32 v194, 0x3030303, v87
	v_bfe_u32 v87, v87, 24, 2
	s_waitcnt lgkmcnt(0)
	v_ashrrev_i32_e32 v196, s19, v198
	v_lshlrev_b32_e32 v196, 2, v196
	v_and_b32_e32 v196, 0x4040404, v196
	v_sub_u16_e32 v198, v194, v196
	v_sub_u16_sdwa v200, v194, v196 dst_sel:BYTE_1 dst_unused:UNUSED_PAD src0_sel:BYTE_1 src1_sel:BYTE_1
	v_sub_u16_sdwa v87, v87, v196 dst_sel:BYTE_1 dst_unused:UNUSED_PAD src0_sel:DWORD src1_sel:BYTE_3
	v_sub_u16_sdwa v194, v194, v196 dst_sel:DWORD dst_unused:UNUSED_PAD src0_sel:WORD_1 src1_sel:WORD_1
	v_or_b32_sdwa v198, v198, v200 dst_sel:DWORD dst_unused:UNUSED_PAD src0_sel:BYTE_0 src1_sel:DWORD
	v_or_b32_sdwa v87, v194, v87 dst_sel:WORD_1 dst_unused:UNUSED_PAD src0_sel:BYTE_0 src1_sel:DWORD
	v_or_b32_sdwa v196, v198, v87 dst_sel:DWORD dst_unused:UNUSED_PAD src0_sel:WORD_0 src1_sel:DWORD
	v_ashrrev_i32_e32 v87, s22, v197
	v_ashrrev_i32_e32 v197, s19, v199
	v_lshlrev_b32_e32 v197, 2, v197
	v_and_b32_e32 v194, 0x3030303, v87
	v_bfe_u32 v87, v87, 24, 2
	v_and_b32_e32 v197, 0x4040404, v197
	v_sub_u16_e32 v198, v194, v197
	v_sub_u16_sdwa v199, v194, v197 dst_sel:BYTE_1 dst_unused:UNUSED_PAD src0_sel:BYTE_1 src1_sel:BYTE_1
	v_sub_u16_sdwa v87, v87, v197 dst_sel:BYTE_1 dst_unused:UNUSED_PAD src0_sel:DWORD src1_sel:BYTE_3
	v_sub_u16_sdwa v194, v194, v197 dst_sel:DWORD dst_unused:UNUSED_PAD src0_sel:WORD_1 src1_sel:WORD_1
	v_or_b32_sdwa v198, v198, v199 dst_sel:DWORD dst_unused:UNUSED_PAD src0_sel:BYTE_0 src1_sel:DWORD
	v_or_b32_sdwa v87, v194, v87 dst_sel:WORD_1 dst_unused:UNUSED_PAD src0_sel:BYTE_0 src1_sel:DWORD
	v_or_b32_sdwa v197, v198, v87 dst_sel:DWORD dst_unused:UNUSED_PAD src0_sel:WORD_0 src1_sel:DWORD
	v_add3_u32 v87, v145, s21, v86
	v_add_u32_e32 v194, s25, v134
	ds_read_b32 v194, v194
	ds_read_u16 v87, v87 offset:35570
	v_mov_b32_e32 v199, 0
	v_dot4c_i32_i8_e32 v199, v188, v4
	v_dot4c_i32_i8_e32 v199, v190, v5
	;; [unrolled: 1-line block ×3, first 2 shown]
	s_waitcnt lgkmcnt(0)
	v_lshrrev_b16_e32 v200, 8, v87
	v_bfe_i32 v198, v87, 0, 8
	v_mov_b32_e32 v87, 0
	v_dot4c_i32_i8_e32 v87, v193, v0
	v_dot4c_i32_i8_e32 v87, v195, v1
	;; [unrolled: 1-line block ×5, first 2 shown]
	v_bfe_i32 v200, v200, 0, 8
	v_mul_lo_u32 v202, v199, v198
	v_add3_u32 v86, v147, s21, v86
	v_mad_u64_u32 v[202:203], s[26:27], v87, v200, v[202:203]
	v_cvt_f32_i32_e32 v199, v202
	v_mul_f32_e32 v87, v84, v194
	s_mov_b32 s21, s20
	v_fmac_f32_e32 v104, v87, v199
	v_add_u32_e32 v87, s24, v136
	ds_read2_b32 v[202:203], v87 offset1:1
	s_waitcnt lgkmcnt(0)
	v_ashrrev_i32_e32 v199, s22, v202
	v_add_u32_e32 v202, 0x4200, v210
	ds_read2_b32 v[204:205], v202 offset1:1
	v_and_b32_e32 v201, 0x3030303, v199
	v_bfe_u32 v199, v199, 24, 2
	s_waitcnt lgkmcnt(0)
	v_ashrrev_i32_e32 v202, s19, v204
	v_lshlrev_b32_e32 v202, 2, v202
	v_and_b32_e32 v202, 0x4040404, v202
	v_sub_u16_e32 v204, v201, v202
	v_sub_u16_sdwa v206, v201, v202 dst_sel:BYTE_1 dst_unused:UNUSED_PAD src0_sel:BYTE_1 src1_sel:BYTE_1
	v_sub_u16_sdwa v199, v199, v202 dst_sel:BYTE_1 dst_unused:UNUSED_PAD src0_sel:DWORD src1_sel:BYTE_3
	v_sub_u16_sdwa v201, v201, v202 dst_sel:DWORD dst_unused:UNUSED_PAD src0_sel:WORD_1 src1_sel:WORD_1
	v_or_b32_sdwa v199, v201, v199 dst_sel:WORD_1 dst_unused:UNUSED_PAD src0_sel:BYTE_0 src1_sel:DWORD
	v_ashrrev_i32_e32 v201, s22, v203
	v_ashrrev_i32_e32 v203, s19, v205
	v_lshlrev_b32_e32 v203, 2, v203
	v_or_b32_sdwa v204, v204, v206 dst_sel:DWORD dst_unused:UNUSED_PAD src0_sel:BYTE_0 src1_sel:DWORD
	v_and_b32_e32 v202, 0x3030303, v201
	v_bfe_u32 v201, v201, 24, 2
	v_and_b32_e32 v203, 0x4040404, v203
	v_or_b32_sdwa v199, v204, v199 dst_sel:DWORD dst_unused:UNUSED_PAD src0_sel:WORD_0 src1_sel:DWORD
	v_sub_u16_e32 v204, v202, v203
	v_sub_u16_sdwa v205, v202, v203 dst_sel:BYTE_1 dst_unused:UNUSED_PAD src0_sel:BYTE_1 src1_sel:BYTE_1
	v_sub_u16_sdwa v201, v201, v203 dst_sel:BYTE_1 dst_unused:UNUSED_PAD src0_sel:DWORD src1_sel:BYTE_3
	v_sub_u16_sdwa v202, v202, v203 dst_sel:DWORD dst_unused:UNUSED_PAD src0_sel:WORD_1 src1_sel:WORD_1
	v_or_b32_sdwa v204, v204, v205 dst_sel:DWORD dst_unused:UNUSED_PAD src0_sel:BYTE_0 src1_sel:DWORD
	v_or_b32_sdwa v201, v202, v201 dst_sel:WORD_1 dst_unused:UNUSED_PAD src0_sel:BYTE_0 src1_sel:DWORD
	v_or_b32_sdwa v201, v204, v201 dst_sel:DWORD dst_unused:UNUSED_PAD src0_sel:WORD_0 src1_sel:DWORD
	v_add_u32_e32 v204, 0x4208, v210
	ds_read2_b32 v[202:203], v87 offset0:2 offset1:3
	ds_read2_b32 v[204:205], v204 offset1:1
	s_waitcnt lgkmcnt(1)
	v_ashrrev_i32_e32 v202, s22, v202
	s_waitcnt lgkmcnt(0)
	v_ashrrev_i32_e32 v204, s19, v204
	v_lshlrev_b32_e32 v204, 2, v204
	v_and_b32_e32 v206, 0x3030303, v202
	v_bfe_u32 v202, v202, 24, 2
	v_and_b32_e32 v204, 0x4040404, v204
	v_ashrrev_i32_e32 v205, s19, v205
	v_sub_u16_e32 v207, v206, v204
	v_sub_u16_sdwa v208, v206, v204 dst_sel:BYTE_1 dst_unused:UNUSED_PAD src0_sel:BYTE_1 src1_sel:BYTE_1
	v_sub_u16_sdwa v202, v202, v204 dst_sel:BYTE_1 dst_unused:UNUSED_PAD src0_sel:DWORD src1_sel:BYTE_3
	v_sub_u16_sdwa v204, v206, v204 dst_sel:DWORD dst_unused:UNUSED_PAD src0_sel:WORD_1 src1_sel:WORD_1
	v_ashrrev_i32_e32 v203, s22, v203
	v_lshlrev_b32_e32 v205, 2, v205
	v_or_b32_sdwa v207, v207, v208 dst_sel:DWORD dst_unused:UNUSED_PAD src0_sel:BYTE_0 src1_sel:DWORD
	v_or_b32_sdwa v202, v204, v202 dst_sel:WORD_1 dst_unused:UNUSED_PAD src0_sel:BYTE_0 src1_sel:DWORD
	v_and_b32_e32 v204, 0x3030303, v203
	v_bfe_u32 v203, v203, 24, 2
	v_and_b32_e32 v205, 0x4040404, v205
	v_or_b32_sdwa v202, v207, v202 dst_sel:DWORD dst_unused:UNUSED_PAD src0_sel:WORD_0 src1_sel:DWORD
	v_sub_u16_e32 v206, v204, v205
	v_sub_u16_sdwa v207, v204, v205 dst_sel:BYTE_1 dst_unused:UNUSED_PAD src0_sel:BYTE_1 src1_sel:BYTE_1
	v_sub_u16_sdwa v203, v203, v205 dst_sel:BYTE_1 dst_unused:UNUSED_PAD src0_sel:DWORD src1_sel:BYTE_3
	v_sub_u16_sdwa v204, v204, v205 dst_sel:DWORD dst_unused:UNUSED_PAD src0_sel:WORD_1 src1_sel:WORD_1
	v_or_b32_sdwa v206, v206, v207 dst_sel:DWORD dst_unused:UNUSED_PAD src0_sel:BYTE_0 src1_sel:DWORD
	v_or_b32_sdwa v203, v204, v203 dst_sel:WORD_1 dst_unused:UNUSED_PAD src0_sel:BYTE_0 src1_sel:DWORD
	v_or_b32_sdwa v203, v206, v203 dst_sel:DWORD dst_unused:UNUSED_PAD src0_sel:WORD_0 src1_sel:DWORD
	v_add_u32_e32 v206, 0x4210, v210
	ds_read2_b32 v[204:205], v87 offset0:4 offset1:5
	ds_read2_b32 v[206:207], v206 offset1:1
	s_waitcnt lgkmcnt(1)
	v_ashrrev_i32_e32 v204, s22, v204
	s_waitcnt lgkmcnt(0)
	v_ashrrev_i32_e32 v206, s19, v206
	v_lshlrev_b32_e32 v206, 2, v206
	v_and_b32_e32 v208, 0x3030303, v204
	v_bfe_u32 v204, v204, 24, 2
	v_and_b32_e32 v206, 0x4040404, v206
	v_ashrrev_i32_e32 v207, s19, v207
	v_sub_u16_e32 v209, v208, v206
	v_sub_u16_sdwa v211, v208, v206 dst_sel:BYTE_1 dst_unused:UNUSED_PAD src0_sel:BYTE_1 src1_sel:BYTE_1
	v_sub_u16_sdwa v204, v204, v206 dst_sel:BYTE_1 dst_unused:UNUSED_PAD src0_sel:DWORD src1_sel:BYTE_3
	v_sub_u16_sdwa v206, v208, v206 dst_sel:DWORD dst_unused:UNUSED_PAD src0_sel:WORD_1 src1_sel:WORD_1
	v_ashrrev_i32_e32 v205, s22, v205
	v_lshlrev_b32_e32 v207, 2, v207
	v_or_b32_sdwa v209, v209, v211 dst_sel:DWORD dst_unused:UNUSED_PAD src0_sel:BYTE_0 src1_sel:DWORD
	v_or_b32_sdwa v204, v206, v204 dst_sel:WORD_1 dst_unused:UNUSED_PAD src0_sel:BYTE_0 src1_sel:DWORD
	v_and_b32_e32 v206, 0x3030303, v205
	v_bfe_u32 v205, v205, 24, 2
	v_and_b32_e32 v207, 0x4040404, v207
	v_or_b32_sdwa v204, v209, v204 dst_sel:DWORD dst_unused:UNUSED_PAD src0_sel:WORD_0 src1_sel:DWORD
	v_sub_u16_e32 v208, v206, v207
	v_sub_u16_sdwa v209, v206, v207 dst_sel:BYTE_1 dst_unused:UNUSED_PAD src0_sel:BYTE_1 src1_sel:BYTE_1
	v_sub_u16_sdwa v205, v205, v207 dst_sel:BYTE_1 dst_unused:UNUSED_PAD src0_sel:DWORD src1_sel:BYTE_3
	v_sub_u16_sdwa v206, v206, v207 dst_sel:DWORD dst_unused:UNUSED_PAD src0_sel:WORD_1 src1_sel:WORD_1
	v_or_b32_sdwa v208, v208, v209 dst_sel:DWORD dst_unused:UNUSED_PAD src0_sel:BYTE_0 src1_sel:DWORD
	v_or_b32_sdwa v205, v206, v205 dst_sel:WORD_1 dst_unused:UNUSED_PAD src0_sel:BYTE_0 src1_sel:DWORD
	v_add_u32_e32 v207, 0x4218, v210
	v_or_b32_sdwa v206, v208, v205 dst_sel:DWORD dst_unused:UNUSED_PAD src0_sel:WORD_0 src1_sel:DWORD
	ds_read2_b32 v[208:209], v87 offset0:6 offset1:7
	ds_read2_b32 v[210:211], v207 offset1:1
	s_waitcnt lgkmcnt(1)
	v_ashrrev_i32_e32 v87, s22, v208
	s_waitcnt lgkmcnt(0)
	v_ashrrev_i32_e32 v207, s19, v210
	v_lshlrev_b32_e32 v207, 2, v207
	v_and_b32_e32 v205, 0x3030303, v87
	v_bfe_u32 v87, v87, 24, 2
	v_and_b32_e32 v207, 0x4040404, v207
	v_sub_u16_e32 v208, v205, v207
	v_sub_u16_sdwa v210, v205, v207 dst_sel:BYTE_1 dst_unused:UNUSED_PAD src0_sel:BYTE_1 src1_sel:BYTE_1
	v_sub_u16_sdwa v87, v87, v207 dst_sel:BYTE_1 dst_unused:UNUSED_PAD src0_sel:DWORD src1_sel:BYTE_3
	v_sub_u16_sdwa v205, v205, v207 dst_sel:DWORD dst_unused:UNUSED_PAD src0_sel:WORD_1 src1_sel:WORD_1
	v_or_b32_sdwa v208, v208, v210 dst_sel:DWORD dst_unused:UNUSED_PAD src0_sel:BYTE_0 src1_sel:DWORD
	v_or_b32_sdwa v87, v205, v87 dst_sel:WORD_1 dst_unused:UNUSED_PAD src0_sel:BYTE_0 src1_sel:DWORD
	v_or_b32_sdwa v207, v208, v87 dst_sel:DWORD dst_unused:UNUSED_PAD src0_sel:WORD_0 src1_sel:DWORD
	v_ashrrev_i32_e32 v208, s19, v211
	v_ashrrev_i32_e32 v87, s22, v209
	v_lshlrev_b32_e32 v208, 2, v208
	v_and_b32_e32 v205, 0x3030303, v87
	v_bfe_u32 v87, v87, 24, 2
	v_and_b32_e32 v208, 0x4040404, v208
	v_sub_u16_e32 v209, v205, v208
	v_sub_u16_sdwa v210, v205, v208 dst_sel:BYTE_1 dst_unused:UNUSED_PAD src0_sel:BYTE_1 src1_sel:BYTE_1
	v_sub_u16_sdwa v87, v87, v208 dst_sel:BYTE_1 dst_unused:UNUSED_PAD src0_sel:DWORD src1_sel:BYTE_3
	v_sub_u16_sdwa v205, v205, v208 dst_sel:DWORD dst_unused:UNUSED_PAD src0_sel:WORD_1 src1_sel:WORD_1
	v_or_b32_sdwa v209, v209, v210 dst_sel:DWORD dst_unused:UNUSED_PAD src0_sel:BYTE_0 src1_sel:DWORD
	v_or_b32_sdwa v87, v205, v87 dst_sel:WORD_1 dst_unused:UNUSED_PAD src0_sel:BYTE_0 src1_sel:DWORD
	v_or_b32_sdwa v208, v209, v87 dst_sel:DWORD dst_unused:UNUSED_PAD src0_sel:WORD_0 src1_sel:DWORD
	v_add_u32_e32 v87, s25, v137
	ds_read_b32 v205, v87
	v_mov_b32_e32 v87, 0
	v_dot4c_i32_i8_e32 v87, v199, v4
	ds_read_u16 v4, v86 offset:36594
	v_dot4c_i32_i8_e32 v87, v201, v5
	v_dot4c_i32_i8_e32 v87, v202, v6
	v_mov_b32_e32 v6, 0
	v_dot4c_i32_i8_e32 v6, v204, v0
	v_dot4c_i32_i8_e32 v6, v206, v1
	;; [unrolled: 1-line block ×3, first 2 shown]
	s_waitcnt lgkmcnt(0)
	v_lshrrev_b16_e32 v5, 8, v4
	v_bfe_i32 v209, v4, 0, 8
	v_dot4c_i32_i8_e32 v6, v207, v2
	v_mul_lo_u32 v4, v87, v209
	v_dot4c_i32_i8_e32 v6, v208, v3
	v_bfe_i32 v210, v5, 0, 8
	v_mov_b32_e32 v86, 0
	s_add_i32 s19, s19, 1
	v_mad_u64_u32 v[0:1], s[22:23], v6, v210, v[4:5]
	v_cvt_f32_i32_e32 v0, v0
	v_mul_f32_e32 v1, v84, v205
	v_mov_b32_e32 v84, 0
	s_cmp_lt_u32 s20, 22
	v_fmac_f32_e32 v103, v1, v0
	ds_read_b128 v[0:3], v165 offset:1024
	ds_read_b128 v[4:7], v165 offset:1040
	s_waitcnt lgkmcnt(1)
	v_dot4c_i32_i8_e32 v84, v167, v0
	v_dot4c_i32_i8_e32 v84, v168, v1
	s_waitcnt lgkmcnt(0)
	v_dot4c_i32_i8_e32 v86, v172, v4
	v_dot4c_i32_i8_e32 v84, v169, v2
	;; [unrolled: 1-line block ×6, first 2 shown]
	s_nop 0
	v_mul_lo_u32 v84, v84, v176
	s_nop 0
	v_mad_u64_u32 v[86:87], s[22:23], v86, v178, v[84:85]
	v_cvt_f32_i32_e32 v86, v86
	v_mul_f32_e32 v84, v171, v85
	v_fmac_f32_e32 v100, v84, v86
	v_mov_b32_e32 v84, 0
	v_dot4c_i32_i8_e32 v84, v177, v0
	v_mov_b32_e32 v86, 0
	v_dot4c_i32_i8_e32 v84, v179, v1
	v_dot4c_i32_i8_e32 v86, v182, v4
	;; [unrolled: 1-line block ×7, first 2 shown]
	s_nop 0
	v_mul_lo_u32 v84, v84, v187
	s_nop 0
	v_mad_u64_u32 v[86:87], s[22:23], v86, v189, v[84:85]
	v_cvt_f32_i32_e32 v86, v86
	v_mul_f32_e32 v84, v183, v85
	v_fmac_f32_e32 v98, v84, v86
	v_mov_b32_e32 v84, 0
	v_dot4c_i32_i8_e32 v84, v188, v0
	v_mov_b32_e32 v86, 0
	v_dot4c_i32_i8_e32 v84, v190, v1
	v_dot4c_i32_i8_e32 v86, v193, v4
	;; [unrolled: 1-line block ×7, first 2 shown]
	s_nop 0
	v_mul_lo_u32 v84, v84, v198
	s_nop 0
	v_mad_u64_u32 v[86:87], s[22:23], v86, v200, v[84:85]
	v_cvt_f32_i32_e32 v86, v86
	v_mul_f32_e32 v84, v194, v85
	v_mov_b32_e32 v87, 0
	v_fmac_f32_e32 v97, v84, v86
	v_mov_b32_e32 v84, 0
	v_dot4c_i32_i8_e32 v84, v199, v0
	v_dot4c_i32_i8_e32 v84, v201, v1
	v_mov_b32_e32 v1, 0
	v_dot4c_i32_i8_e32 v1, v204, v4
	v_dot4c_i32_i8_e32 v84, v202, v2
	;; [unrolled: 1-line block ×6, first 2 shown]
	v_mov_b32_e32 v86, 0
	v_mul_lo_u32 v0, v84, v209
	s_nop 0
	v_mad_u64_u32 v[0:1], s[22:23], v1, v210, v[0:1]
	v_cvt_f32_i32_e32 v0, v0
	v_mul_f32_e32 v1, v205, v85
	v_fmac_f32_e32 v96, v1, v0
	ds_read2_b32 v[84:85], v166 offset0:64 offset1:96
	ds_read_b128 v[0:3], v165 offset:2048
	ds_read_b128 v[4:7], v165 offset:2064
	s_waitcnt lgkmcnt(1)
	v_dot4c_i32_i8_e32 v86, v167, v0
	v_dot4c_i32_i8_e32 v86, v168, v1
	s_waitcnt lgkmcnt(0)
	v_dot4c_i32_i8_e32 v87, v172, v4
	v_dot4c_i32_i8_e32 v86, v169, v2
	;; [unrolled: 1-line block ×6, first 2 shown]
	s_nop 0
	v_mul_lo_u32 v86, v86, v176
	s_nop 0
	v_mad_u64_u32 v[86:87], s[22:23], v87, v178, v[86:87]
	v_cvt_f32_i32_e32 v86, v86
	v_mul_f32_e32 v87, v171, v84
	v_fmac_f32_e32 v83, v87, v86
	v_mov_b32_e32 v86, 0
	v_dot4c_i32_i8_e32 v86, v177, v0
	v_mov_b32_e32 v87, 0
	v_dot4c_i32_i8_e32 v86, v179, v1
	v_dot4c_i32_i8_e32 v87, v182, v4
	;; [unrolled: 1-line block ×7, first 2 shown]
	s_nop 0
	v_mul_lo_u32 v86, v86, v187
	s_nop 0
	v_mad_u64_u32 v[86:87], s[22:23], v87, v189, v[86:87]
	v_cvt_f32_i32_e32 v86, v86
	v_mul_f32_e32 v87, v183, v84
	v_fmac_f32_e32 v71, v87, v86
	v_mov_b32_e32 v86, 0
	v_dot4c_i32_i8_e32 v86, v188, v0
	v_mov_b32_e32 v87, 0
	v_dot4c_i32_i8_e32 v86, v190, v1
	v_dot4c_i32_i8_e32 v87, v193, v4
	;; [unrolled: 1-line block ×7, first 2 shown]
	s_nop 0
	v_mul_lo_u32 v86, v86, v198
	s_nop 0
	v_mad_u64_u32 v[86:87], s[22:23], v87, v200, v[86:87]
	v_cvt_f32_i32_e32 v86, v86
	v_mul_f32_e32 v87, v194, v84
	v_fmac_f32_e32 v57, v87, v86
	v_mov_b32_e32 v86, 0
	v_dot4c_i32_i8_e32 v86, v199, v0
	v_dot4c_i32_i8_e32 v86, v201, v1
	v_mov_b32_e32 v1, 0
	v_dot4c_i32_i8_e32 v1, v204, v4
	v_dot4c_i32_i8_e32 v86, v202, v2
	;; [unrolled: 1-line block ×6, first 2 shown]
	s_nop 0
	v_mul_lo_u32 v0, v86, v209
	v_mov_b32_e32 v86, 0
	v_mad_u64_u32 v[0:1], s[22:23], v1, v210, v[0:1]
	v_cvt_f32_i32_e32 v0, v0
	v_mul_f32_e32 v1, v205, v84
	v_mov_b32_e32 v84, 0
	v_fmac_f32_e32 v53, v1, v0
	ds_read_b128 v[0:3], v165 offset:3072
	ds_read_b128 v[4:7], v165 offset:3088
	s_waitcnt lgkmcnt(1)
	v_dot4c_i32_i8_e32 v84, v167, v0
	v_dot4c_i32_i8_e32 v84, v168, v1
	s_waitcnt lgkmcnt(0)
	v_dot4c_i32_i8_e32 v86, v172, v4
	v_dot4c_i32_i8_e32 v84, v169, v2
	;; [unrolled: 1-line block ×6, first 2 shown]
	s_nop 0
	v_mul_lo_u32 v84, v84, v176
	s_nop 0
	v_mad_u64_u32 v[86:87], s[22:23], v86, v178, v[84:85]
	v_cvt_f32_i32_e32 v86, v86
	v_mul_f32_e32 v84, v171, v85
	v_fmac_f32_e32 v51, v84, v86
	v_mov_b32_e32 v84, 0
	v_dot4c_i32_i8_e32 v84, v177, v0
	v_mov_b32_e32 v86, 0
	v_dot4c_i32_i8_e32 v84, v179, v1
	v_dot4c_i32_i8_e32 v86, v182, v4
	v_dot4c_i32_i8_e32 v84, v180, v2
	v_dot4c_i32_i8_e32 v86, v184, v5
	v_dot4c_i32_i8_e32 v84, v181, v3
	v_dot4c_i32_i8_e32 v86, v185, v6
	v_dot4c_i32_i8_e32 v86, v186, v7
	s_nop 0
	v_mul_lo_u32 v84, v84, v187
	s_nop 0
	v_mad_u64_u32 v[86:87], s[22:23], v86, v189, v[84:85]
	v_cvt_f32_i32_e32 v86, v86
	v_mul_f32_e32 v84, v183, v85
	v_fmac_f32_e32 v49, v84, v86
	v_mov_b32_e32 v84, 0
	v_dot4c_i32_i8_e32 v84, v188, v0
	v_mov_b32_e32 v86, 0
	v_dot4c_i32_i8_e32 v84, v190, v1
	v_dot4c_i32_i8_e32 v86, v193, v4
	;; [unrolled: 1-line block ×7, first 2 shown]
	s_nop 0
	v_mul_lo_u32 v84, v84, v198
	s_nop 0
	v_mad_u64_u32 v[86:87], s[22:23], v86, v200, v[84:85]
	v_cvt_f32_i32_e32 v86, v86
	v_mul_f32_e32 v84, v194, v85
	v_mov_b32_e32 v87, 0
	v_fmac_f32_e32 v47, v84, v86
	v_mov_b32_e32 v84, 0
	v_dot4c_i32_i8_e32 v84, v199, v0
	v_dot4c_i32_i8_e32 v84, v201, v1
	v_mov_b32_e32 v1, 0
	v_dot4c_i32_i8_e32 v1, v204, v4
	v_dot4c_i32_i8_e32 v84, v202, v2
	;; [unrolled: 1-line block ×6, first 2 shown]
	v_mov_b32_e32 v86, 0
	v_mul_lo_u32 v0, v84, v209
	s_nop 0
	v_mad_u64_u32 v[0:1], s[22:23], v1, v210, v[0:1]
	v_cvt_f32_i32_e32 v0, v0
	v_mul_f32_e32 v1, v205, v85
	v_fmac_f32_e32 v45, v1, v0
	ds_read2_b32 v[84:85], v166 offset0:128 offset1:160
	ds_read_b128 v[0:3], v165 offset:4096
	ds_read_b128 v[4:7], v165 offset:4112
	s_waitcnt lgkmcnt(1)
	v_dot4c_i32_i8_e32 v86, v167, v0
	v_dot4c_i32_i8_e32 v86, v168, v1
	s_waitcnt lgkmcnt(0)
	v_dot4c_i32_i8_e32 v87, v172, v4
	v_dot4c_i32_i8_e32 v86, v169, v2
	;; [unrolled: 1-line block ×6, first 2 shown]
	s_nop 0
	v_mul_lo_u32 v86, v86, v176
	s_nop 0
	v_mad_u64_u32 v[86:87], s[22:23], v87, v178, v[86:87]
	v_cvt_f32_i32_e32 v86, v86
	v_mul_f32_e32 v87, v171, v84
	v_fmac_f32_e32 v41, v87, v86
	v_mov_b32_e32 v86, 0
	v_dot4c_i32_i8_e32 v86, v177, v0
	v_mov_b32_e32 v87, 0
	v_dot4c_i32_i8_e32 v86, v179, v1
	v_dot4c_i32_i8_e32 v87, v182, v4
	;; [unrolled: 1-line block ×7, first 2 shown]
	s_nop 0
	v_mul_lo_u32 v86, v86, v187
	s_nop 0
	v_mad_u64_u32 v[86:87], s[22:23], v87, v189, v[86:87]
	v_cvt_f32_i32_e32 v86, v86
	v_mul_f32_e32 v87, v183, v84
	v_fmac_f32_e32 v37, v87, v86
	v_mov_b32_e32 v86, 0
	v_dot4c_i32_i8_e32 v86, v188, v0
	v_mov_b32_e32 v87, 0
	v_dot4c_i32_i8_e32 v86, v190, v1
	v_dot4c_i32_i8_e32 v87, v193, v4
	v_dot4c_i32_i8_e32 v86, v191, v2
	v_dot4c_i32_i8_e32 v87, v195, v5
	v_dot4c_i32_i8_e32 v86, v192, v3
	v_dot4c_i32_i8_e32 v87, v196, v6
	v_dot4c_i32_i8_e32 v87, v197, v7
	s_nop 0
	v_mul_lo_u32 v86, v86, v198
	s_nop 0
	v_mad_u64_u32 v[86:87], s[22:23], v87, v200, v[86:87]
	v_cvt_f32_i32_e32 v86, v86
	v_mul_f32_e32 v87, v194, v84
	v_fmac_f32_e32 v35, v87, v86
	v_mov_b32_e32 v86, 0
	v_dot4c_i32_i8_e32 v86, v199, v0
	v_dot4c_i32_i8_e32 v86, v201, v1
	v_mov_b32_e32 v1, 0
	v_dot4c_i32_i8_e32 v1, v204, v4
	v_dot4c_i32_i8_e32 v86, v202, v2
	;; [unrolled: 1-line block ×6, first 2 shown]
	s_nop 0
	v_mul_lo_u32 v0, v86, v209
	v_mov_b32_e32 v86, 0
	v_mad_u64_u32 v[0:1], s[22:23], v1, v210, v[0:1]
	v_cvt_f32_i32_e32 v0, v0
	v_mul_f32_e32 v1, v205, v84
	v_mov_b32_e32 v84, 0
	v_fmac_f32_e32 v33, v1, v0
	ds_read_b128 v[0:3], v165 offset:5120
	ds_read_b128 v[4:7], v165 offset:5136
	s_waitcnt lgkmcnt(1)
	v_dot4c_i32_i8_e32 v84, v167, v0
	v_dot4c_i32_i8_e32 v84, v168, v1
	s_waitcnt lgkmcnt(0)
	v_dot4c_i32_i8_e32 v86, v172, v4
	v_dot4c_i32_i8_e32 v84, v169, v2
	;; [unrolled: 1-line block ×6, first 2 shown]
	s_nop 0
	v_mul_lo_u32 v84, v84, v176
	s_nop 0
	v_mad_u64_u32 v[86:87], s[22:23], v86, v178, v[84:85]
	v_cvt_f32_i32_e32 v86, v86
	v_mul_f32_e32 v84, v171, v85
	v_fmac_f32_e32 v31, v84, v86
	v_mov_b32_e32 v84, 0
	v_dot4c_i32_i8_e32 v84, v177, v0
	v_mov_b32_e32 v86, 0
	v_dot4c_i32_i8_e32 v84, v179, v1
	v_dot4c_i32_i8_e32 v86, v182, v4
	;; [unrolled: 1-line block ×7, first 2 shown]
	s_nop 0
	v_mul_lo_u32 v84, v84, v187
	s_nop 0
	v_mad_u64_u32 v[86:87], s[22:23], v86, v189, v[84:85]
	v_cvt_f32_i32_e32 v86, v86
	v_mul_f32_e32 v84, v183, v85
	v_fmac_f32_e32 v29, v84, v86
	v_mov_b32_e32 v84, 0
	v_dot4c_i32_i8_e32 v84, v188, v0
	v_mov_b32_e32 v86, 0
	v_dot4c_i32_i8_e32 v84, v190, v1
	v_dot4c_i32_i8_e32 v86, v193, v4
	;; [unrolled: 1-line block ×7, first 2 shown]
	s_nop 0
	v_mul_lo_u32 v84, v84, v198
	s_nop 0
	v_mad_u64_u32 v[86:87], s[22:23], v86, v200, v[84:85]
	v_cvt_f32_i32_e32 v86, v86
	v_mul_f32_e32 v84, v194, v85
	v_mov_b32_e32 v87, 0
	v_fmac_f32_e32 v27, v84, v86
	v_mov_b32_e32 v84, 0
	v_dot4c_i32_i8_e32 v84, v199, v0
	v_dot4c_i32_i8_e32 v84, v201, v1
	v_mov_b32_e32 v1, 0
	v_dot4c_i32_i8_e32 v1, v204, v4
	v_dot4c_i32_i8_e32 v84, v202, v2
	;; [unrolled: 1-line block ×6, first 2 shown]
	v_mov_b32_e32 v86, 0
	v_mul_lo_u32 v0, v84, v209
	s_nop 0
	v_mad_u64_u32 v[0:1], s[22:23], v1, v210, v[0:1]
	v_cvt_f32_i32_e32 v0, v0
	v_mul_f32_e32 v1, v205, v85
	v_fmac_f32_e32 v25, v1, v0
	ds_read2_b32 v[84:85], v166 offset0:192 offset1:224
	ds_read_b128 v[4:7], v165 offset:6144
	ds_read_b128 v[0:3], v165 offset:6160
	v_add_u32_e32 v166, 4, v166
	s_waitcnt lgkmcnt(1)
	v_dot4c_i32_i8_e32 v86, v167, v4
	v_dot4c_i32_i8_e32 v86, v168, v5
	s_waitcnt lgkmcnt(0)
	v_dot4c_i32_i8_e32 v87, v172, v0
	v_dot4c_i32_i8_e32 v86, v169, v6
	;; [unrolled: 1-line block ×6, first 2 shown]
	s_nop 0
	v_mul_lo_u32 v86, v86, v176
	s_nop 0
	v_mad_u64_u32 v[86:87], s[22:23], v87, v178, v[86:87]
	v_cvt_f32_i32_e32 v86, v86
	v_mul_f32_e32 v87, v171, v84
	v_fmac_f32_e32 v23, v87, v86
	v_mov_b32_e32 v86, 0
	v_dot4c_i32_i8_e32 v86, v177, v4
	v_mov_b32_e32 v87, 0
	v_dot4c_i32_i8_e32 v86, v179, v5
	v_dot4c_i32_i8_e32 v87, v182, v0
	;; [unrolled: 1-line block ×7, first 2 shown]
	s_nop 0
	v_mul_lo_u32 v86, v86, v187
	s_nop 0
	v_mad_u64_u32 v[86:87], s[22:23], v87, v189, v[86:87]
	v_cvt_f32_i32_e32 v86, v86
	v_mul_f32_e32 v87, v183, v84
	v_fmac_f32_e32 v21, v87, v86
	v_mov_b32_e32 v86, 0
	v_dot4c_i32_i8_e32 v86, v188, v4
	v_mov_b32_e32 v87, 0
	v_dot4c_i32_i8_e32 v86, v190, v5
	v_dot4c_i32_i8_e32 v87, v193, v0
	;; [unrolled: 1-line block ×7, first 2 shown]
	s_nop 0
	v_mul_lo_u32 v86, v86, v198
	s_nop 0
	v_mad_u64_u32 v[86:87], s[22:23], v87, v200, v[86:87]
	v_cvt_f32_i32_e32 v86, v86
	v_mul_f32_e32 v87, v194, v84
	v_fmac_f32_e32 v19, v87, v86
	v_mov_b32_e32 v86, 0
	v_dot4c_i32_i8_e32 v86, v199, v4
	v_dot4c_i32_i8_e32 v86, v201, v5
	v_mov_b32_e32 v5, 0
	v_dot4c_i32_i8_e32 v5, v204, v0
	v_dot4c_i32_i8_e32 v86, v202, v6
	;; [unrolled: 1-line block ×6, first 2 shown]
	s_nop 0
	v_mul_lo_u32 v4, v86, v209
	v_mov_b32_e32 v86, 0
	v_mad_u64_u32 v[0:1], s[22:23], v5, v210, v[4:5]
	v_cvt_f32_i32_e32 v0, v0
	v_mul_f32_e32 v1, v205, v84
	v_mov_b32_e32 v84, 0
	v_fmac_f32_e32 v17, v1, v0
	ds_read_b128 v[0:3], v165 offset:7168
	ds_read_b128 v[4:7], v165 offset:7184
	v_add_u32_e32 v165, 32, v165
	s_waitcnt lgkmcnt(1)
	v_dot4c_i32_i8_e32 v84, v167, v0
	v_dot4c_i32_i8_e32 v84, v168, v1
	s_waitcnt lgkmcnt(0)
	v_dot4c_i32_i8_e32 v86, v172, v4
	v_dot4c_i32_i8_e32 v84, v169, v2
	;; [unrolled: 1-line block ×6, first 2 shown]
	s_nop 0
	v_mul_lo_u32 v84, v84, v176
	s_nop 0
	v_mad_u64_u32 v[86:87], s[22:23], v86, v178, v[84:85]
	v_cvt_f32_i32_e32 v86, v86
	v_mul_f32_e32 v84, v171, v85
	v_fmac_f32_e32 v15, v84, v86
	v_mov_b32_e32 v84, 0
	v_dot4c_i32_i8_e32 v84, v177, v0
	v_mov_b32_e32 v86, 0
	v_dot4c_i32_i8_e32 v84, v179, v1
	v_dot4c_i32_i8_e32 v86, v182, v4
	;; [unrolled: 1-line block ×7, first 2 shown]
	s_nop 0
	v_mul_lo_u32 v84, v84, v187
	s_nop 0
	v_mad_u64_u32 v[86:87], s[22:23], v86, v189, v[84:85]
	v_cvt_f32_i32_e32 v86, v86
	v_mul_f32_e32 v84, v183, v85
	v_fmac_f32_e32 v13, v84, v86
	v_mov_b32_e32 v84, 0
	v_dot4c_i32_i8_e32 v84, v188, v0
	v_mov_b32_e32 v86, 0
	v_dot4c_i32_i8_e32 v84, v190, v1
	v_dot4c_i32_i8_e32 v86, v193, v4
	;; [unrolled: 1-line block ×7, first 2 shown]
	s_nop 0
	v_mul_lo_u32 v84, v84, v198
	s_nop 0
	v_mad_u64_u32 v[86:87], s[22:23], v86, v200, v[84:85]
	v_cvt_f32_i32_e32 v86, v86
	v_mul_f32_e32 v84, v194, v85
	v_fmac_f32_e32 v11, v84, v86
	v_mov_b32_e32 v84, 0
	v_dot4c_i32_i8_e32 v84, v199, v0
	v_dot4c_i32_i8_e32 v84, v201, v1
	v_mov_b32_e32 v1, 0
	v_dot4c_i32_i8_e32 v1, v204, v4
	v_dot4c_i32_i8_e32 v84, v202, v2
	;; [unrolled: 1-line block ×6, first 2 shown]
	s_nop 0
	v_mul_lo_u32 v0, v84, v209
	s_nop 0
	v_mad_u64_u32 v[0:1], s[22:23], v1, v210, v[0:1]
	v_cvt_f32_i32_e32 v0, v0
	v_mul_f32_e32 v1, v205, v85
	v_fmac_f32_e32 v9, v1, v0
	s_cbranch_scc1 .LBB129_12
; %bb.13:                               ;   in Loop: Header=BB129_6 Depth=1
	v_add_u32_e32 v165, s17, v140
	v_add_u32_e32 v0, v165, v106
	;; [unrolled: 1-line block ×10, first 2 shown]
	v_mad_i64_i32 v[0:1], s[18:19], v0, 36, v[80:81]
	v_mad_i64_i32 v[2:3], s[18:19], v2, 36, v[80:81]
	;; [unrolled: 1-line block ×5, first 2 shown]
	v_mad_u64_u32 v[164:165], s[18:19], v164, 36, s[2:3]
	s_barrier
	v_mad_i64_i32 v[84:85], s[18:19], v84, 36, v[80:81]
	v_mad_i64_i32 v[86:87], s[18:19], v86, 36, v[80:81]
	;; [unrolled: 1-line block ×3, first 2 shown]
	global_load_dword v165, v[164:165], off
	s_nop 0
	global_load_dword v0, v[0:1], off offset:4
	s_nop 0
	global_load_dword v1, v[2:3], off offset:4
	;; [unrolled: 2-line block ×3, first 2 shown]
	global_load_dword v3, v[6:7], off offset:4
	s_nop 0
	global_load_dword v4, v[84:85], off offset:4
	global_load_dword v5, v[86:87], off offset:4
	;; [unrolled: 1-line block ×4, first 2 shown]
	s_mov_b32 s17, 24
	s_mov_b32 s20, 22
	;; [unrolled: 1-line block ×3, first 2 shown]
	v_mov_b32_e32 v164, v150
	s_waitcnt vmcnt(8)
	v_cvt_f32_f16_e32 v84, v165
	v_mov_b32_e32 v165, v149
	s_waitcnt vmcnt(7)
	ds_write_b32 v108, v0
	s_waitcnt vmcnt(6)
	ds_write_b32 v111, v1
	;; [unrolled: 2-line block ×8, first 2 shown]
	ds_write_b32 v105, v84
	s_waitcnt lgkmcnt(0)
	s_barrier
.LBB129_14:                             ;   Parent Loop BB129_6 Depth=1
                                        ; =>  This Inner Loop Header: Depth=2
	s_add_i32 s19, s20, 2
	s_lshr_b32 s24, s19, 4
	s_and_b32 s23, s19, 0x3ffffff8
	s_lshl_b32 s22, s24, 3
	s_lshl_b32 s23, s23, 2
	v_add_lshl_u32 v176, v126, s22, 2
	v_add_u32_e32 v87, s23, v127
	v_add_u32_e32 v168, 0x4200, v176
	ds_read2_b32 v[84:85], v165 offset1:32
	ds_read_b128 v[4:7], v164
	ds_read_b128 v[0:3], v164 offset:16
	ds_read2_b32 v[166:167], v87 offset1:1
	ds_read2_b32 v[168:169], v168 offset1:1
	s_and_b32 s21, s17, -16
	v_add_u32_e32 v86, s21, v125
	s_sub_i32 s21, s20, 22
	s_waitcnt lgkmcnt(1)
	v_ashrrev_i32_e32 v166, s21, v166
	s_waitcnt lgkmcnt(0)
	v_ashrrev_i32_e32 v168, s18, v168
	v_lshlrev_b32_e32 v168, 2, v168
	v_and_b32_e32 v170, 0x3030303, v166
	v_bfe_u32 v166, v166, 24, 2
	v_and_b32_e32 v168, 0x4040404, v168
	v_ashrrev_i32_e32 v169, s18, v169
	v_sub_u16_e32 v171, v170, v168
	v_sub_u16_sdwa v172, v170, v168 dst_sel:BYTE_1 dst_unused:UNUSED_PAD src0_sel:BYTE_1 src1_sel:BYTE_1
	v_sub_u16_sdwa v166, v166, v168 dst_sel:BYTE_1 dst_unused:UNUSED_PAD src0_sel:DWORD src1_sel:BYTE_3
	v_sub_u16_sdwa v168, v170, v168 dst_sel:DWORD dst_unused:UNUSED_PAD src0_sel:WORD_1 src1_sel:WORD_1
	v_ashrrev_i32_e32 v167, s21, v167
	v_lshlrev_b32_e32 v169, 2, v169
	v_or_b32_sdwa v171, v171, v172 dst_sel:DWORD dst_unused:UNUSED_PAD src0_sel:BYTE_0 src1_sel:DWORD
	v_or_b32_sdwa v166, v168, v166 dst_sel:WORD_1 dst_unused:UNUSED_PAD src0_sel:BYTE_0 src1_sel:DWORD
	v_and_b32_e32 v168, 0x3030303, v167
	v_bfe_u32 v167, v167, 24, 2
	v_and_b32_e32 v169, 0x4040404, v169
	v_or_b32_sdwa v166, v171, v166 dst_sel:DWORD dst_unused:UNUSED_PAD src0_sel:WORD_0 src1_sel:DWORD
	v_sub_u16_e32 v170, v168, v169
	v_sub_u16_sdwa v171, v168, v169 dst_sel:BYTE_1 dst_unused:UNUSED_PAD src0_sel:BYTE_1 src1_sel:BYTE_1
	v_sub_u16_sdwa v167, v167, v169 dst_sel:BYTE_1 dst_unused:UNUSED_PAD src0_sel:DWORD src1_sel:BYTE_3
	v_sub_u16_sdwa v168, v168, v169 dst_sel:DWORD dst_unused:UNUSED_PAD src0_sel:WORD_1 src1_sel:WORD_1
	v_or_b32_sdwa v170, v170, v171 dst_sel:DWORD dst_unused:UNUSED_PAD src0_sel:BYTE_0 src1_sel:DWORD
	v_or_b32_sdwa v167, v168, v167 dst_sel:WORD_1 dst_unused:UNUSED_PAD src0_sel:BYTE_0 src1_sel:DWORD
	v_or_b32_sdwa v167, v170, v167 dst_sel:DWORD dst_unused:UNUSED_PAD src0_sel:WORD_0 src1_sel:DWORD
	v_add_u32_e32 v170, 0x4208, v176
	ds_read2_b32 v[168:169], v87 offset0:2 offset1:3
	ds_read2_b32 v[170:171], v170 offset1:1
	s_lshl_b32 s24, s24, 2
	v_add_lshl_u32 v186, v129, s22, 2
	v_add_u32_e32 v180, 0x4200, v186
	s_waitcnt lgkmcnt(1)
	v_ashrrev_i32_e32 v168, s21, v168
	s_waitcnt lgkmcnt(0)
	v_ashrrev_i32_e32 v170, s18, v170
	v_lshlrev_b32_e32 v170, 2, v170
	v_and_b32_e32 v172, 0x3030303, v168
	v_bfe_u32 v168, v168, 24, 2
	v_and_b32_e32 v170, 0x4040404, v170
	v_ashrrev_i32_e32 v171, s18, v171
	v_sub_u16_e32 v173, v172, v170
	v_sub_u16_sdwa v174, v172, v170 dst_sel:BYTE_1 dst_unused:UNUSED_PAD src0_sel:BYTE_1 src1_sel:BYTE_1
	v_sub_u16_sdwa v168, v168, v170 dst_sel:BYTE_1 dst_unused:UNUSED_PAD src0_sel:DWORD src1_sel:BYTE_3
	v_sub_u16_sdwa v170, v172, v170 dst_sel:DWORD dst_unused:UNUSED_PAD src0_sel:WORD_1 src1_sel:WORD_1
	v_ashrrev_i32_e32 v169, s21, v169
	v_lshlrev_b32_e32 v171, 2, v171
	v_or_b32_sdwa v173, v173, v174 dst_sel:DWORD dst_unused:UNUSED_PAD src0_sel:BYTE_0 src1_sel:DWORD
	v_or_b32_sdwa v168, v170, v168 dst_sel:WORD_1 dst_unused:UNUSED_PAD src0_sel:BYTE_0 src1_sel:DWORD
	v_and_b32_e32 v170, 0x3030303, v169
	v_bfe_u32 v169, v169, 24, 2
	v_and_b32_e32 v171, 0x4040404, v171
	v_or_b32_sdwa v168, v173, v168 dst_sel:DWORD dst_unused:UNUSED_PAD src0_sel:WORD_0 src1_sel:DWORD
	v_sub_u16_e32 v172, v170, v171
	v_sub_u16_sdwa v173, v170, v171 dst_sel:BYTE_1 dst_unused:UNUSED_PAD src0_sel:BYTE_1 src1_sel:BYTE_1
	v_sub_u16_sdwa v169, v169, v171 dst_sel:BYTE_1 dst_unused:UNUSED_PAD src0_sel:DWORD src1_sel:BYTE_3
	v_sub_u16_sdwa v170, v170, v171 dst_sel:DWORD dst_unused:UNUSED_PAD src0_sel:WORD_1 src1_sel:WORD_1
	v_or_b32_sdwa v172, v172, v173 dst_sel:DWORD dst_unused:UNUSED_PAD src0_sel:BYTE_0 src1_sel:DWORD
	v_or_b32_sdwa v169, v170, v169 dst_sel:WORD_1 dst_unused:UNUSED_PAD src0_sel:BYTE_0 src1_sel:DWORD
	v_or_b32_sdwa v169, v172, v169 dst_sel:DWORD dst_unused:UNUSED_PAD src0_sel:WORD_0 src1_sel:DWORD
	ds_read2_b32 v[172:173], v87 offset0:4 offset1:5
	v_add_lshl_u32 v208, v135, s22, 2
	v_add_lshl_u32 v198, v132, s22, 2
	v_add_u32_e32 v202, 0x4200, v208
	s_add_i32 s17, s17, 2
	s_waitcnt lgkmcnt(0)
	v_ashrrev_i32_e32 v170, s21, v172
	v_add_u32_e32 v172, 0x4210, v176
	ds_read2_b32 v[174:175], v172 offset1:1
	v_and_b32_e32 v171, 0x3030303, v170
	v_bfe_u32 v170, v170, 24, 2
	ds_read2_b32 v[180:181], v180 offset1:1
	ds_read2_b32 v[202:203], v202 offset1:1
	s_waitcnt lgkmcnt(2)
	v_ashrrev_i32_e32 v172, s18, v174
	v_lshlrev_b32_e32 v172, 2, v172
	v_and_b32_e32 v172, 0x4040404, v172
	v_sub_u16_e32 v174, v171, v172
	v_sub_u16_sdwa v177, v171, v172 dst_sel:BYTE_1 dst_unused:UNUSED_PAD src0_sel:BYTE_1 src1_sel:BYTE_1
	v_sub_u16_sdwa v170, v170, v172 dst_sel:BYTE_1 dst_unused:UNUSED_PAD src0_sel:DWORD src1_sel:BYTE_3
	v_sub_u16_sdwa v171, v171, v172 dst_sel:DWORD dst_unused:UNUSED_PAD src0_sel:WORD_1 src1_sel:WORD_1
	v_or_b32_sdwa v174, v174, v177 dst_sel:DWORD dst_unused:UNUSED_PAD src0_sel:BYTE_0 src1_sel:DWORD
	v_or_b32_sdwa v170, v171, v170 dst_sel:WORD_1 dst_unused:UNUSED_PAD src0_sel:BYTE_0 src1_sel:DWORD
	v_or_b32_sdwa v171, v174, v170 dst_sel:DWORD dst_unused:UNUSED_PAD src0_sel:WORD_0 src1_sel:DWORD
	v_ashrrev_i32_e32 v170, s21, v173
	v_ashrrev_i32_e32 v173, s18, v175
	v_lshlrev_b32_e32 v173, 2, v173
	v_and_b32_e32 v172, 0x3030303, v170
	v_bfe_u32 v170, v170, 24, 2
	v_and_b32_e32 v173, 0x4040404, v173
	v_sub_u16_e32 v174, v172, v173
	v_sub_u16_sdwa v175, v172, v173 dst_sel:BYTE_1 dst_unused:UNUSED_PAD src0_sel:BYTE_1 src1_sel:BYTE_1
	v_sub_u16_sdwa v170, v170, v173 dst_sel:BYTE_1 dst_unused:UNUSED_PAD src0_sel:DWORD src1_sel:BYTE_3
	v_sub_u16_sdwa v172, v172, v173 dst_sel:DWORD dst_unused:UNUSED_PAD src0_sel:WORD_1 src1_sel:WORD_1
	v_or_b32_sdwa v174, v174, v175 dst_sel:DWORD dst_unused:UNUSED_PAD src0_sel:BYTE_0 src1_sel:DWORD
	v_or_b32_sdwa v170, v172, v170 dst_sel:WORD_1 dst_unused:UNUSED_PAD src0_sel:BYTE_0 src1_sel:DWORD
	v_add_u32_e32 v173, 0x4218, v176
	v_or_b32_sdwa v172, v174, v170 dst_sel:DWORD dst_unused:UNUSED_PAD src0_sel:WORD_0 src1_sel:DWORD
	ds_read2_b32 v[174:175], v87 offset0:6 offset1:7
	ds_read2_b32 v[176:177], v173 offset1:1
	s_waitcnt lgkmcnt(3)
	v_ashrrev_i32_e32 v180, s18, v180
	v_lshlrev_b32_e32 v180, 2, v180
	v_and_b32_e32 v180, 0x4040404, v180
	s_waitcnt lgkmcnt(1)
	v_ashrrev_i32_e32 v87, s21, v174
	s_waitcnt lgkmcnt(0)
	v_ashrrev_i32_e32 v173, s18, v176
	v_lshlrev_b32_e32 v173, 2, v173
	v_and_b32_e32 v170, 0x3030303, v87
	v_bfe_u32 v87, v87, 24, 2
	v_and_b32_e32 v173, 0x4040404, v173
	v_sub_u16_e32 v174, v170, v173
	v_sub_u16_sdwa v176, v170, v173 dst_sel:BYTE_1 dst_unused:UNUSED_PAD src0_sel:BYTE_1 src1_sel:BYTE_1
	v_sub_u16_sdwa v87, v87, v173 dst_sel:BYTE_1 dst_unused:UNUSED_PAD src0_sel:DWORD src1_sel:BYTE_3
	v_sub_u16_sdwa v170, v170, v173 dst_sel:DWORD dst_unused:UNUSED_PAD src0_sel:WORD_1 src1_sel:WORD_1
	v_or_b32_sdwa v174, v174, v176 dst_sel:DWORD dst_unused:UNUSED_PAD src0_sel:BYTE_0 src1_sel:DWORD
	v_or_b32_sdwa v87, v170, v87 dst_sel:WORD_1 dst_unused:UNUSED_PAD src0_sel:BYTE_0 src1_sel:DWORD
	v_or_b32_sdwa v173, v174, v87 dst_sel:DWORD dst_unused:UNUSED_PAD src0_sel:WORD_0 src1_sel:DWORD
	v_ashrrev_i32_e32 v174, s18, v177
	v_ashrrev_i32_e32 v87, s21, v175
	v_lshlrev_b32_e32 v174, 2, v174
	v_and_b32_e32 v170, 0x3030303, v87
	v_bfe_u32 v87, v87, 24, 2
	v_and_b32_e32 v174, 0x4040404, v174
	v_sub_u16_e32 v175, v170, v174
	v_sub_u16_sdwa v176, v170, v174 dst_sel:BYTE_1 dst_unused:UNUSED_PAD src0_sel:BYTE_1 src1_sel:BYTE_1
	v_sub_u16_sdwa v87, v87, v174 dst_sel:BYTE_1 dst_unused:UNUSED_PAD src0_sel:DWORD src1_sel:BYTE_3
	v_sub_u16_sdwa v170, v170, v174 dst_sel:DWORD dst_unused:UNUSED_PAD src0_sel:WORD_1 src1_sel:WORD_1
	v_or_b32_sdwa v175, v175, v176 dst_sel:DWORD dst_unused:UNUSED_PAD src0_sel:BYTE_0 src1_sel:DWORD
	v_or_b32_sdwa v87, v170, v87 dst_sel:WORD_1 dst_unused:UNUSED_PAD src0_sel:BYTE_0 src1_sel:DWORD
	v_or_b32_sdwa v174, v175, v87 dst_sel:DWORD dst_unused:UNUSED_PAD src0_sel:WORD_0 src1_sel:DWORD
	v_add3_u32 v87, v141, s20, v86
	v_add_u32_e32 v170, s24, v128
	ds_read_b32 v170, v170
	ds_read_u16 v87, v87 offset:33522
	v_mov_b32_e32 v176, 0
	v_dot4c_i32_i8_e32 v176, v166, v4
	v_dot4c_i32_i8_e32 v176, v167, v5
	;; [unrolled: 1-line block ×3, first 2 shown]
	s_waitcnt lgkmcnt(0)
	v_lshrrev_b16_e32 v177, 8, v87
	v_bfe_i32 v175, v87, 0, 8
	v_mov_b32_e32 v87, 0
	v_dot4c_i32_i8_e32 v87, v171, v0
	v_dot4c_i32_i8_e32 v87, v172, v1
	;; [unrolled: 1-line block ×5, first 2 shown]
	v_bfe_i32 v177, v177, 0, 8
	v_mul_lo_u32 v176, v176, v175
	v_ashrrev_i32_e32 v202, s18, v202
	v_mad_u64_u32 v[178:179], s[26:27], v87, v177, v[176:177]
	v_cvt_f32_i32_e32 v176, v178
	v_mul_f32_e32 v87, v84, v170
	v_lshlrev_b32_e32 v202, 2, v202
	v_and_b32_e32 v202, 0x4040404, v202
	v_fmac_f32_e32 v118, v87, v176
	v_add_u32_e32 v87, s23, v130
	ds_read2_b32 v[178:179], v87 offset1:1
	s_waitcnt lgkmcnt(0)
	v_ashrrev_i32_e32 v176, s21, v178
	v_and_b32_e32 v178, 0x3030303, v176
	v_bfe_u32 v176, v176, 24, 2
	v_sub_u16_e32 v182, v178, v180
	v_sub_u16_sdwa v183, v178, v180 dst_sel:BYTE_1 dst_unused:UNUSED_PAD src0_sel:BYTE_1 src1_sel:BYTE_1
	v_sub_u16_sdwa v176, v176, v180 dst_sel:BYTE_1 dst_unused:UNUSED_PAD src0_sel:DWORD src1_sel:BYTE_3
	v_sub_u16_sdwa v178, v178, v180 dst_sel:DWORD dst_unused:UNUSED_PAD src0_sel:WORD_1 src1_sel:WORD_1
	v_ashrrev_i32_e32 v180, s18, v181
	v_or_b32_sdwa v176, v178, v176 dst_sel:WORD_1 dst_unused:UNUSED_PAD src0_sel:BYTE_0 src1_sel:DWORD
	v_ashrrev_i32_e32 v178, s21, v179
	v_lshlrev_b32_e32 v180, 2, v180
	v_or_b32_sdwa v182, v182, v183 dst_sel:DWORD dst_unused:UNUSED_PAD src0_sel:BYTE_0 src1_sel:DWORD
	v_and_b32_e32 v179, 0x3030303, v178
	v_bfe_u32 v178, v178, 24, 2
	v_and_b32_e32 v180, 0x4040404, v180
	v_or_b32_sdwa v176, v182, v176 dst_sel:DWORD dst_unused:UNUSED_PAD src0_sel:WORD_0 src1_sel:DWORD
	v_sub_u16_e32 v181, v179, v180
	v_sub_u16_sdwa v182, v179, v180 dst_sel:BYTE_1 dst_unused:UNUSED_PAD src0_sel:BYTE_1 src1_sel:BYTE_1
	v_sub_u16_sdwa v178, v178, v180 dst_sel:BYTE_1 dst_unused:UNUSED_PAD src0_sel:DWORD src1_sel:BYTE_3
	v_sub_u16_sdwa v179, v179, v180 dst_sel:DWORD dst_unused:UNUSED_PAD src0_sel:WORD_1 src1_sel:WORD_1
	v_or_b32_sdwa v181, v181, v182 dst_sel:DWORD dst_unused:UNUSED_PAD src0_sel:BYTE_0 src1_sel:DWORD
	v_or_b32_sdwa v178, v179, v178 dst_sel:WORD_1 dst_unused:UNUSED_PAD src0_sel:BYTE_0 src1_sel:DWORD
	v_add_u32_e32 v182, 0x4208, v186
	v_or_b32_sdwa v178, v181, v178 dst_sel:DWORD dst_unused:UNUSED_PAD src0_sel:WORD_0 src1_sel:DWORD
	ds_read2_b32 v[180:181], v87 offset0:2 offset1:3
	ds_read2_b32 v[182:183], v182 offset1:1
	s_waitcnt lgkmcnt(1)
	v_ashrrev_i32_e32 v179, s21, v180
	s_waitcnt lgkmcnt(0)
	v_ashrrev_i32_e32 v182, s18, v182
	v_lshlrev_b32_e32 v182, 2, v182
	v_and_b32_e32 v180, 0x3030303, v179
	v_bfe_u32 v179, v179, 24, 2
	v_and_b32_e32 v182, 0x4040404, v182
	v_sub_u16_e32 v184, v180, v182
	v_sub_u16_sdwa v185, v180, v182 dst_sel:BYTE_1 dst_unused:UNUSED_PAD src0_sel:BYTE_1 src1_sel:BYTE_1
	v_sub_u16_sdwa v179, v179, v182 dst_sel:BYTE_1 dst_unused:UNUSED_PAD src0_sel:DWORD src1_sel:BYTE_3
	v_sub_u16_sdwa v180, v180, v182 dst_sel:DWORD dst_unused:UNUSED_PAD src0_sel:WORD_1 src1_sel:WORD_1
	v_ashrrev_i32_e32 v182, s18, v183
	v_or_b32_sdwa v179, v180, v179 dst_sel:WORD_1 dst_unused:UNUSED_PAD src0_sel:BYTE_0 src1_sel:DWORD
	v_ashrrev_i32_e32 v180, s21, v181
	v_lshlrev_b32_e32 v182, 2, v182
	v_or_b32_sdwa v184, v184, v185 dst_sel:DWORD dst_unused:UNUSED_PAD src0_sel:BYTE_0 src1_sel:DWORD
	v_and_b32_e32 v181, 0x3030303, v180
	v_bfe_u32 v180, v180, 24, 2
	v_and_b32_e32 v182, 0x4040404, v182
	v_or_b32_sdwa v179, v184, v179 dst_sel:DWORD dst_unused:UNUSED_PAD src0_sel:WORD_0 src1_sel:DWORD
	v_sub_u16_e32 v183, v181, v182
	v_sub_u16_sdwa v184, v181, v182 dst_sel:BYTE_1 dst_unused:UNUSED_PAD src0_sel:BYTE_1 src1_sel:BYTE_1
	v_sub_u16_sdwa v180, v180, v182 dst_sel:BYTE_1 dst_unused:UNUSED_PAD src0_sel:DWORD src1_sel:BYTE_3
	v_sub_u16_sdwa v181, v181, v182 dst_sel:DWORD dst_unused:UNUSED_PAD src0_sel:WORD_1 src1_sel:WORD_1
	v_or_b32_sdwa v183, v183, v184 dst_sel:DWORD dst_unused:UNUSED_PAD src0_sel:BYTE_0 src1_sel:DWORD
	v_or_b32_sdwa v180, v181, v180 dst_sel:WORD_1 dst_unused:UNUSED_PAD src0_sel:BYTE_0 src1_sel:DWORD
	v_add_u32_e32 v184, 0x4210, v186
	v_or_b32_sdwa v180, v183, v180 dst_sel:DWORD dst_unused:UNUSED_PAD src0_sel:WORD_0 src1_sel:DWORD
	ds_read2_b32 v[182:183], v87 offset0:4 offset1:5
	ds_read2_b32 v[184:185], v184 offset1:1
	s_waitcnt lgkmcnt(1)
	v_ashrrev_i32_e32 v181, s21, v182
	s_waitcnt lgkmcnt(0)
	v_ashrrev_i32_e32 v184, s18, v184
	v_lshlrev_b32_e32 v184, 2, v184
	v_and_b32_e32 v182, 0x3030303, v181
	v_bfe_u32 v181, v181, 24, 2
	v_and_b32_e32 v184, 0x4040404, v184
	v_sub_u16_e32 v187, v182, v184
	v_sub_u16_sdwa v188, v182, v184 dst_sel:BYTE_1 dst_unused:UNUSED_PAD src0_sel:BYTE_1 src1_sel:BYTE_1
	v_sub_u16_sdwa v181, v181, v184 dst_sel:BYTE_1 dst_unused:UNUSED_PAD src0_sel:DWORD src1_sel:BYTE_3
	v_sub_u16_sdwa v182, v182, v184 dst_sel:DWORD dst_unused:UNUSED_PAD src0_sel:WORD_1 src1_sel:WORD_1
	v_ashrrev_i32_e32 v184, s18, v185
	v_or_b32_sdwa v181, v182, v181 dst_sel:WORD_1 dst_unused:UNUSED_PAD src0_sel:BYTE_0 src1_sel:DWORD
	v_ashrrev_i32_e32 v182, s21, v183
	v_lshlrev_b32_e32 v184, 2, v184
	v_or_b32_sdwa v187, v187, v188 dst_sel:DWORD dst_unused:UNUSED_PAD src0_sel:BYTE_0 src1_sel:DWORD
	v_and_b32_e32 v183, 0x3030303, v182
	v_bfe_u32 v182, v182, 24, 2
	v_and_b32_e32 v184, 0x4040404, v184
	v_or_b32_sdwa v181, v187, v181 dst_sel:DWORD dst_unused:UNUSED_PAD src0_sel:WORD_0 src1_sel:DWORD
	v_sub_u16_e32 v185, v183, v184
	v_sub_u16_sdwa v187, v183, v184 dst_sel:BYTE_1 dst_unused:UNUSED_PAD src0_sel:BYTE_1 src1_sel:BYTE_1
	v_sub_u16_sdwa v182, v182, v184 dst_sel:BYTE_1 dst_unused:UNUSED_PAD src0_sel:DWORD src1_sel:BYTE_3
	v_sub_u16_sdwa v183, v183, v184 dst_sel:DWORD dst_unused:UNUSED_PAD src0_sel:WORD_1 src1_sel:WORD_1
	v_or_b32_sdwa v185, v185, v187 dst_sel:DWORD dst_unused:UNUSED_PAD src0_sel:BYTE_0 src1_sel:DWORD
	v_or_b32_sdwa v182, v183, v182 dst_sel:WORD_1 dst_unused:UNUSED_PAD src0_sel:BYTE_0 src1_sel:DWORD
	v_or_b32_sdwa v183, v185, v182 dst_sel:DWORD dst_unused:UNUSED_PAD src0_sel:WORD_0 src1_sel:DWORD
	ds_read2_b32 v[184:185], v87 offset0:6 offset1:7
	s_waitcnt lgkmcnt(0)
	v_ashrrev_i32_e32 v87, s21, v184
	v_add_u32_e32 v184, 0x4218, v186
	ds_read2_b32 v[186:187], v184 offset1:1
	v_and_b32_e32 v182, 0x3030303, v87
	v_bfe_u32 v87, v87, 24, 2
	s_waitcnt lgkmcnt(0)
	v_ashrrev_i32_e32 v184, s18, v186
	v_lshlrev_b32_e32 v184, 2, v184
	v_and_b32_e32 v184, 0x4040404, v184
	v_sub_u16_e32 v186, v182, v184
	v_sub_u16_sdwa v188, v182, v184 dst_sel:BYTE_1 dst_unused:UNUSED_PAD src0_sel:BYTE_1 src1_sel:BYTE_1
	v_sub_u16_sdwa v87, v87, v184 dst_sel:BYTE_1 dst_unused:UNUSED_PAD src0_sel:DWORD src1_sel:BYTE_3
	v_sub_u16_sdwa v182, v182, v184 dst_sel:DWORD dst_unused:UNUSED_PAD src0_sel:WORD_1 src1_sel:WORD_1
	v_or_b32_sdwa v186, v186, v188 dst_sel:DWORD dst_unused:UNUSED_PAD src0_sel:BYTE_0 src1_sel:DWORD
	v_or_b32_sdwa v87, v182, v87 dst_sel:WORD_1 dst_unused:UNUSED_PAD src0_sel:BYTE_0 src1_sel:DWORD
	v_or_b32_sdwa v184, v186, v87 dst_sel:DWORD dst_unused:UNUSED_PAD src0_sel:WORD_0 src1_sel:DWORD
	v_ashrrev_i32_e32 v87, s21, v185
	v_ashrrev_i32_e32 v185, s18, v187
	v_lshlrev_b32_e32 v185, 2, v185
	v_and_b32_e32 v182, 0x3030303, v87
	v_bfe_u32 v87, v87, 24, 2
	v_and_b32_e32 v185, 0x4040404, v185
	v_sub_u16_e32 v186, v182, v185
	v_sub_u16_sdwa v187, v182, v185 dst_sel:BYTE_1 dst_unused:UNUSED_PAD src0_sel:BYTE_1 src1_sel:BYTE_1
	v_sub_u16_sdwa v87, v87, v185 dst_sel:BYTE_1 dst_unused:UNUSED_PAD src0_sel:DWORD src1_sel:BYTE_3
	v_sub_u16_sdwa v182, v182, v185 dst_sel:DWORD dst_unused:UNUSED_PAD src0_sel:WORD_1 src1_sel:WORD_1
	v_or_b32_sdwa v186, v186, v187 dst_sel:DWORD dst_unused:UNUSED_PAD src0_sel:BYTE_0 src1_sel:DWORD
	v_or_b32_sdwa v87, v182, v87 dst_sel:WORD_1 dst_unused:UNUSED_PAD src0_sel:BYTE_0 src1_sel:DWORD
	v_or_b32_sdwa v185, v186, v87 dst_sel:DWORD dst_unused:UNUSED_PAD src0_sel:WORD_0 src1_sel:DWORD
	v_add3_u32 v87, v143, s20, v86
	v_add_u32_e32 v182, s24, v131
	ds_read_b32 v182, v182
	ds_read_u16 v87, v87 offset:34546
	v_mov_b32_e32 v187, 0
	v_dot4c_i32_i8_e32 v187, v176, v4
	v_dot4c_i32_i8_e32 v187, v178, v5
	;; [unrolled: 1-line block ×3, first 2 shown]
	s_waitcnt lgkmcnt(0)
	v_lshrrev_b16_e32 v188, 8, v87
	v_bfe_i32 v186, v87, 0, 8
	v_mov_b32_e32 v87, 0
	v_dot4c_i32_i8_e32 v87, v181, v0
	v_dot4c_i32_i8_e32 v87, v183, v1
	;; [unrolled: 1-line block ×5, first 2 shown]
	v_bfe_i32 v188, v188, 0, 8
	v_mul_lo_u32 v190, v187, v186
	s_nop 0
	v_mad_u64_u32 v[190:191], s[26:27], v87, v188, v[190:191]
	v_cvt_f32_i32_e32 v187, v190
	v_mul_f32_e32 v87, v84, v182
	v_fmac_f32_e32 v110, v87, v187
	v_add_u32_e32 v87, s23, v133
	ds_read2_b32 v[190:191], v87 offset1:1
	s_waitcnt lgkmcnt(0)
	v_ashrrev_i32_e32 v187, s21, v190
	v_add_u32_e32 v190, 0x4200, v198
	ds_read2_b32 v[192:193], v190 offset1:1
	v_and_b32_e32 v189, 0x3030303, v187
	v_bfe_u32 v187, v187, 24, 2
	s_waitcnt lgkmcnt(0)
	v_ashrrev_i32_e32 v190, s18, v192
	v_lshlrev_b32_e32 v190, 2, v190
	v_and_b32_e32 v190, 0x4040404, v190
	v_sub_u16_e32 v192, v189, v190
	v_sub_u16_sdwa v194, v189, v190 dst_sel:BYTE_1 dst_unused:UNUSED_PAD src0_sel:BYTE_1 src1_sel:BYTE_1
	v_sub_u16_sdwa v187, v187, v190 dst_sel:BYTE_1 dst_unused:UNUSED_PAD src0_sel:DWORD src1_sel:BYTE_3
	v_sub_u16_sdwa v189, v189, v190 dst_sel:DWORD dst_unused:UNUSED_PAD src0_sel:WORD_1 src1_sel:WORD_1
	v_or_b32_sdwa v187, v189, v187 dst_sel:WORD_1 dst_unused:UNUSED_PAD src0_sel:BYTE_0 src1_sel:DWORD
	v_ashrrev_i32_e32 v189, s21, v191
	v_ashrrev_i32_e32 v191, s18, v193
	v_lshlrev_b32_e32 v191, 2, v191
	v_or_b32_sdwa v192, v192, v194 dst_sel:DWORD dst_unused:UNUSED_PAD src0_sel:BYTE_0 src1_sel:DWORD
	v_and_b32_e32 v190, 0x3030303, v189
	v_bfe_u32 v189, v189, 24, 2
	v_and_b32_e32 v191, 0x4040404, v191
	v_or_b32_sdwa v187, v192, v187 dst_sel:DWORD dst_unused:UNUSED_PAD src0_sel:WORD_0 src1_sel:DWORD
	v_sub_u16_e32 v192, v190, v191
	v_sub_u16_sdwa v193, v190, v191 dst_sel:BYTE_1 dst_unused:UNUSED_PAD src0_sel:BYTE_1 src1_sel:BYTE_1
	v_sub_u16_sdwa v189, v189, v191 dst_sel:BYTE_1 dst_unused:UNUSED_PAD src0_sel:DWORD src1_sel:BYTE_3
	v_sub_u16_sdwa v190, v190, v191 dst_sel:DWORD dst_unused:UNUSED_PAD src0_sel:WORD_1 src1_sel:WORD_1
	v_or_b32_sdwa v192, v192, v193 dst_sel:DWORD dst_unused:UNUSED_PAD src0_sel:BYTE_0 src1_sel:DWORD
	v_or_b32_sdwa v189, v190, v189 dst_sel:WORD_1 dst_unused:UNUSED_PAD src0_sel:BYTE_0 src1_sel:DWORD
	v_or_b32_sdwa v189, v192, v189 dst_sel:DWORD dst_unused:UNUSED_PAD src0_sel:WORD_0 src1_sel:DWORD
	v_add_u32_e32 v192, 0x4208, v198
	ds_read2_b32 v[190:191], v87 offset0:2 offset1:3
	ds_read2_b32 v[192:193], v192 offset1:1
	s_waitcnt lgkmcnt(1)
	v_ashrrev_i32_e32 v190, s21, v190
	s_waitcnt lgkmcnt(0)
	v_ashrrev_i32_e32 v192, s18, v192
	v_lshlrev_b32_e32 v192, 2, v192
	v_and_b32_e32 v194, 0x3030303, v190
	v_bfe_u32 v190, v190, 24, 2
	v_and_b32_e32 v192, 0x4040404, v192
	v_ashrrev_i32_e32 v193, s18, v193
	v_sub_u16_e32 v195, v194, v192
	v_sub_u16_sdwa v196, v194, v192 dst_sel:BYTE_1 dst_unused:UNUSED_PAD src0_sel:BYTE_1 src1_sel:BYTE_1
	v_sub_u16_sdwa v190, v190, v192 dst_sel:BYTE_1 dst_unused:UNUSED_PAD src0_sel:DWORD src1_sel:BYTE_3
	v_sub_u16_sdwa v192, v194, v192 dst_sel:DWORD dst_unused:UNUSED_PAD src0_sel:WORD_1 src1_sel:WORD_1
	v_ashrrev_i32_e32 v191, s21, v191
	v_lshlrev_b32_e32 v193, 2, v193
	v_or_b32_sdwa v195, v195, v196 dst_sel:DWORD dst_unused:UNUSED_PAD src0_sel:BYTE_0 src1_sel:DWORD
	v_or_b32_sdwa v190, v192, v190 dst_sel:WORD_1 dst_unused:UNUSED_PAD src0_sel:BYTE_0 src1_sel:DWORD
	v_and_b32_e32 v192, 0x3030303, v191
	v_bfe_u32 v191, v191, 24, 2
	v_and_b32_e32 v193, 0x4040404, v193
	v_or_b32_sdwa v190, v195, v190 dst_sel:DWORD dst_unused:UNUSED_PAD src0_sel:WORD_0 src1_sel:DWORD
	v_sub_u16_e32 v194, v192, v193
	v_sub_u16_sdwa v195, v192, v193 dst_sel:BYTE_1 dst_unused:UNUSED_PAD src0_sel:BYTE_1 src1_sel:BYTE_1
	v_sub_u16_sdwa v191, v191, v193 dst_sel:BYTE_1 dst_unused:UNUSED_PAD src0_sel:DWORD src1_sel:BYTE_3
	v_sub_u16_sdwa v192, v192, v193 dst_sel:DWORD dst_unused:UNUSED_PAD src0_sel:WORD_1 src1_sel:WORD_1
	v_or_b32_sdwa v194, v194, v195 dst_sel:DWORD dst_unused:UNUSED_PAD src0_sel:BYTE_0 src1_sel:DWORD
	v_or_b32_sdwa v191, v192, v191 dst_sel:WORD_1 dst_unused:UNUSED_PAD src0_sel:BYTE_0 src1_sel:DWORD
	v_or_b32_sdwa v191, v194, v191 dst_sel:DWORD dst_unused:UNUSED_PAD src0_sel:WORD_0 src1_sel:DWORD
	v_add_u32_e32 v194, 0x4210, v198
	ds_read2_b32 v[192:193], v87 offset0:4 offset1:5
	ds_read2_b32 v[194:195], v194 offset1:1
	s_waitcnt lgkmcnt(1)
	v_ashrrev_i32_e32 v192, s21, v192
	s_waitcnt lgkmcnt(0)
	v_ashrrev_i32_e32 v194, s18, v194
	v_lshlrev_b32_e32 v194, 2, v194
	v_and_b32_e32 v196, 0x3030303, v192
	v_bfe_u32 v192, v192, 24, 2
	v_and_b32_e32 v194, 0x4040404, v194
	v_ashrrev_i32_e32 v195, s18, v195
	v_sub_u16_e32 v197, v196, v194
	v_sub_u16_sdwa v199, v196, v194 dst_sel:BYTE_1 dst_unused:UNUSED_PAD src0_sel:BYTE_1 src1_sel:BYTE_1
	v_sub_u16_sdwa v192, v192, v194 dst_sel:BYTE_1 dst_unused:UNUSED_PAD src0_sel:DWORD src1_sel:BYTE_3
	v_sub_u16_sdwa v194, v196, v194 dst_sel:DWORD dst_unused:UNUSED_PAD src0_sel:WORD_1 src1_sel:WORD_1
	v_ashrrev_i32_e32 v193, s21, v193
	v_lshlrev_b32_e32 v195, 2, v195
	v_or_b32_sdwa v197, v197, v199 dst_sel:DWORD dst_unused:UNUSED_PAD src0_sel:BYTE_0 src1_sel:DWORD
	v_or_b32_sdwa v192, v194, v192 dst_sel:WORD_1 dst_unused:UNUSED_PAD src0_sel:BYTE_0 src1_sel:DWORD
	v_and_b32_e32 v194, 0x3030303, v193
	v_bfe_u32 v193, v193, 24, 2
	v_and_b32_e32 v195, 0x4040404, v195
	v_or_b32_sdwa v192, v197, v192 dst_sel:DWORD dst_unused:UNUSED_PAD src0_sel:WORD_0 src1_sel:DWORD
	v_sub_u16_e32 v196, v194, v195
	v_sub_u16_sdwa v197, v194, v195 dst_sel:BYTE_1 dst_unused:UNUSED_PAD src0_sel:BYTE_1 src1_sel:BYTE_1
	v_sub_u16_sdwa v193, v193, v195 dst_sel:BYTE_1 dst_unused:UNUSED_PAD src0_sel:DWORD src1_sel:BYTE_3
	v_sub_u16_sdwa v194, v194, v195 dst_sel:DWORD dst_unused:UNUSED_PAD src0_sel:WORD_1 src1_sel:WORD_1
	v_or_b32_sdwa v196, v196, v197 dst_sel:DWORD dst_unused:UNUSED_PAD src0_sel:BYTE_0 src1_sel:DWORD
	v_or_b32_sdwa v193, v194, v193 dst_sel:WORD_1 dst_unused:UNUSED_PAD src0_sel:BYTE_0 src1_sel:DWORD
	v_add_u32_e32 v195, 0x4218, v198
	v_or_b32_sdwa v194, v196, v193 dst_sel:DWORD dst_unused:UNUSED_PAD src0_sel:WORD_0 src1_sel:DWORD
	ds_read2_b32 v[196:197], v87 offset0:6 offset1:7
	ds_read2_b32 v[198:199], v195 offset1:1
	s_waitcnt lgkmcnt(1)
	v_ashrrev_i32_e32 v87, s21, v196
	s_waitcnt lgkmcnt(0)
	v_ashrrev_i32_e32 v195, s18, v198
	v_lshlrev_b32_e32 v195, 2, v195
	v_and_b32_e32 v193, 0x3030303, v87
	v_bfe_u32 v87, v87, 24, 2
	v_and_b32_e32 v195, 0x4040404, v195
	v_sub_u16_e32 v196, v193, v195
	v_sub_u16_sdwa v198, v193, v195 dst_sel:BYTE_1 dst_unused:UNUSED_PAD src0_sel:BYTE_1 src1_sel:BYTE_1
	v_sub_u16_sdwa v87, v87, v195 dst_sel:BYTE_1 dst_unused:UNUSED_PAD src0_sel:DWORD src1_sel:BYTE_3
	v_sub_u16_sdwa v193, v193, v195 dst_sel:DWORD dst_unused:UNUSED_PAD src0_sel:WORD_1 src1_sel:WORD_1
	v_or_b32_sdwa v196, v196, v198 dst_sel:DWORD dst_unused:UNUSED_PAD src0_sel:BYTE_0 src1_sel:DWORD
	v_or_b32_sdwa v87, v193, v87 dst_sel:WORD_1 dst_unused:UNUSED_PAD src0_sel:BYTE_0 src1_sel:DWORD
	v_or_b32_sdwa v195, v196, v87 dst_sel:DWORD dst_unused:UNUSED_PAD src0_sel:WORD_0 src1_sel:DWORD
	v_ashrrev_i32_e32 v196, s18, v199
	v_ashrrev_i32_e32 v87, s21, v197
	v_lshlrev_b32_e32 v196, 2, v196
	v_and_b32_e32 v193, 0x3030303, v87
	v_bfe_u32 v87, v87, 24, 2
	v_and_b32_e32 v196, 0x4040404, v196
	v_sub_u16_e32 v197, v193, v196
	v_sub_u16_sdwa v198, v193, v196 dst_sel:BYTE_1 dst_unused:UNUSED_PAD src0_sel:BYTE_1 src1_sel:BYTE_1
	v_sub_u16_sdwa v87, v87, v196 dst_sel:BYTE_1 dst_unused:UNUSED_PAD src0_sel:DWORD src1_sel:BYTE_3
	v_sub_u16_sdwa v193, v193, v196 dst_sel:DWORD dst_unused:UNUSED_PAD src0_sel:WORD_1 src1_sel:WORD_1
	v_or_b32_sdwa v197, v197, v198 dst_sel:DWORD dst_unused:UNUSED_PAD src0_sel:BYTE_0 src1_sel:DWORD
	v_or_b32_sdwa v87, v193, v87 dst_sel:WORD_1 dst_unused:UNUSED_PAD src0_sel:BYTE_0 src1_sel:DWORD
	v_or_b32_sdwa v196, v197, v87 dst_sel:DWORD dst_unused:UNUSED_PAD src0_sel:WORD_0 src1_sel:DWORD
	v_add3_u32 v87, v145, s20, v86
	v_add_u32_e32 v193, s24, v134
	ds_read_b32 v193, v193
	ds_read_u16 v87, v87 offset:35570
	v_mov_b32_e32 v198, 0
	v_dot4c_i32_i8_e32 v198, v187, v4
	v_dot4c_i32_i8_e32 v198, v189, v5
	;; [unrolled: 1-line block ×3, first 2 shown]
	s_waitcnt lgkmcnt(0)
	v_lshrrev_b16_e32 v199, 8, v87
	v_bfe_i32 v197, v87, 0, 8
	v_mov_b32_e32 v87, 0
	v_dot4c_i32_i8_e32 v87, v192, v0
	v_dot4c_i32_i8_e32 v87, v194, v1
	;; [unrolled: 1-line block ×5, first 2 shown]
	v_bfe_i32 v199, v199, 0, 8
	v_mul_lo_u32 v198, v198, v197
	v_add3_u32 v86, v147, s20, v86
	v_mad_u64_u32 v[200:201], s[26:27], v87, v199, v[198:199]
	v_cvt_f32_i32_e32 v198, v200
	v_mul_f32_e32 v87, v84, v193
	v_fmac_f32_e32 v104, v87, v198
	v_add_u32_e32 v87, s23, v136
	ds_read2_b32 v[200:201], v87 offset1:1
	s_waitcnt lgkmcnt(0)
	v_ashrrev_i32_e32 v198, s21, v200
	v_and_b32_e32 v200, 0x3030303, v198
	v_bfe_u32 v198, v198, 24, 2
	v_sub_u16_e32 v204, v200, v202
	v_sub_u16_sdwa v205, v200, v202 dst_sel:BYTE_1 dst_unused:UNUSED_PAD src0_sel:BYTE_1 src1_sel:BYTE_1
	v_sub_u16_sdwa v198, v198, v202 dst_sel:BYTE_1 dst_unused:UNUSED_PAD src0_sel:DWORD src1_sel:BYTE_3
	v_sub_u16_sdwa v200, v200, v202 dst_sel:DWORD dst_unused:UNUSED_PAD src0_sel:WORD_1 src1_sel:WORD_1
	v_ashrrev_i32_e32 v202, s18, v203
	v_or_b32_sdwa v198, v200, v198 dst_sel:WORD_1 dst_unused:UNUSED_PAD src0_sel:BYTE_0 src1_sel:DWORD
	v_ashrrev_i32_e32 v200, s21, v201
	v_lshlrev_b32_e32 v202, 2, v202
	v_or_b32_sdwa v204, v204, v205 dst_sel:DWORD dst_unused:UNUSED_PAD src0_sel:BYTE_0 src1_sel:DWORD
	v_and_b32_e32 v201, 0x3030303, v200
	v_bfe_u32 v200, v200, 24, 2
	v_and_b32_e32 v202, 0x4040404, v202
	v_or_b32_sdwa v198, v204, v198 dst_sel:DWORD dst_unused:UNUSED_PAD src0_sel:WORD_0 src1_sel:DWORD
	v_sub_u16_e32 v203, v201, v202
	v_sub_u16_sdwa v204, v201, v202 dst_sel:BYTE_1 dst_unused:UNUSED_PAD src0_sel:BYTE_1 src1_sel:BYTE_1
	v_sub_u16_sdwa v200, v200, v202 dst_sel:BYTE_1 dst_unused:UNUSED_PAD src0_sel:DWORD src1_sel:BYTE_3
	v_sub_u16_sdwa v201, v201, v202 dst_sel:DWORD dst_unused:UNUSED_PAD src0_sel:WORD_1 src1_sel:WORD_1
	v_or_b32_sdwa v203, v203, v204 dst_sel:DWORD dst_unused:UNUSED_PAD src0_sel:BYTE_0 src1_sel:DWORD
	v_or_b32_sdwa v200, v201, v200 dst_sel:WORD_1 dst_unused:UNUSED_PAD src0_sel:BYTE_0 src1_sel:DWORD
	v_add_u32_e32 v204, 0x4208, v208
	v_or_b32_sdwa v200, v203, v200 dst_sel:DWORD dst_unused:UNUSED_PAD src0_sel:WORD_0 src1_sel:DWORD
	ds_read2_b32 v[202:203], v87 offset0:2 offset1:3
	ds_read2_b32 v[204:205], v204 offset1:1
	s_waitcnt lgkmcnt(1)
	v_ashrrev_i32_e32 v201, s21, v202
	s_waitcnt lgkmcnt(0)
	v_ashrrev_i32_e32 v204, s18, v204
	v_lshlrev_b32_e32 v204, 2, v204
	v_and_b32_e32 v202, 0x3030303, v201
	v_bfe_u32 v201, v201, 24, 2
	v_and_b32_e32 v204, 0x4040404, v204
	v_sub_u16_e32 v206, v202, v204
	v_sub_u16_sdwa v207, v202, v204 dst_sel:BYTE_1 dst_unused:UNUSED_PAD src0_sel:BYTE_1 src1_sel:BYTE_1
	v_sub_u16_sdwa v201, v201, v204 dst_sel:BYTE_1 dst_unused:UNUSED_PAD src0_sel:DWORD src1_sel:BYTE_3
	v_sub_u16_sdwa v202, v202, v204 dst_sel:DWORD dst_unused:UNUSED_PAD src0_sel:WORD_1 src1_sel:WORD_1
	v_ashrrev_i32_e32 v204, s18, v205
	v_or_b32_sdwa v201, v202, v201 dst_sel:WORD_1 dst_unused:UNUSED_PAD src0_sel:BYTE_0 src1_sel:DWORD
	v_ashrrev_i32_e32 v202, s21, v203
	v_lshlrev_b32_e32 v204, 2, v204
	v_or_b32_sdwa v206, v206, v207 dst_sel:DWORD dst_unused:UNUSED_PAD src0_sel:BYTE_0 src1_sel:DWORD
	v_and_b32_e32 v203, 0x3030303, v202
	v_bfe_u32 v202, v202, 24, 2
	v_and_b32_e32 v204, 0x4040404, v204
	v_or_b32_sdwa v201, v206, v201 dst_sel:DWORD dst_unused:UNUSED_PAD src0_sel:WORD_0 src1_sel:DWORD
	v_sub_u16_e32 v205, v203, v204
	v_sub_u16_sdwa v206, v203, v204 dst_sel:BYTE_1 dst_unused:UNUSED_PAD src0_sel:BYTE_1 src1_sel:BYTE_1
	v_sub_u16_sdwa v202, v202, v204 dst_sel:BYTE_1 dst_unused:UNUSED_PAD src0_sel:DWORD src1_sel:BYTE_3
	v_sub_u16_sdwa v203, v203, v204 dst_sel:DWORD dst_unused:UNUSED_PAD src0_sel:WORD_1 src1_sel:WORD_1
	v_or_b32_sdwa v205, v205, v206 dst_sel:DWORD dst_unused:UNUSED_PAD src0_sel:BYTE_0 src1_sel:DWORD
	v_or_b32_sdwa v202, v203, v202 dst_sel:WORD_1 dst_unused:UNUSED_PAD src0_sel:BYTE_0 src1_sel:DWORD
	v_add_u32_e32 v206, 0x4210, v208
	v_or_b32_sdwa v202, v205, v202 dst_sel:DWORD dst_unused:UNUSED_PAD src0_sel:WORD_0 src1_sel:DWORD
	ds_read2_b32 v[204:205], v87 offset0:4 offset1:5
	ds_read2_b32 v[206:207], v206 offset1:1
	s_waitcnt lgkmcnt(1)
	v_ashrrev_i32_e32 v203, s21, v204
	s_waitcnt lgkmcnt(0)
	v_ashrrev_i32_e32 v206, s18, v206
	v_lshlrev_b32_e32 v206, 2, v206
	v_and_b32_e32 v204, 0x3030303, v203
	v_bfe_u32 v203, v203, 24, 2
	v_and_b32_e32 v206, 0x4040404, v206
	v_sub_u16_e32 v209, v204, v206
	v_sub_u16_sdwa v210, v204, v206 dst_sel:BYTE_1 dst_unused:UNUSED_PAD src0_sel:BYTE_1 src1_sel:BYTE_1
	v_sub_u16_sdwa v203, v203, v206 dst_sel:BYTE_1 dst_unused:UNUSED_PAD src0_sel:DWORD src1_sel:BYTE_3
	v_sub_u16_sdwa v204, v204, v206 dst_sel:DWORD dst_unused:UNUSED_PAD src0_sel:WORD_1 src1_sel:WORD_1
	v_ashrrev_i32_e32 v206, s18, v207
	v_or_b32_sdwa v203, v204, v203 dst_sel:WORD_1 dst_unused:UNUSED_PAD src0_sel:BYTE_0 src1_sel:DWORD
	v_ashrrev_i32_e32 v204, s21, v205
	v_lshlrev_b32_e32 v206, 2, v206
	v_or_b32_sdwa v209, v209, v210 dst_sel:DWORD dst_unused:UNUSED_PAD src0_sel:BYTE_0 src1_sel:DWORD
	v_and_b32_e32 v205, 0x3030303, v204
	v_bfe_u32 v204, v204, 24, 2
	v_and_b32_e32 v206, 0x4040404, v206
	v_or_b32_sdwa v203, v209, v203 dst_sel:DWORD dst_unused:UNUSED_PAD src0_sel:WORD_0 src1_sel:DWORD
	v_sub_u16_e32 v207, v205, v206
	v_sub_u16_sdwa v209, v205, v206 dst_sel:BYTE_1 dst_unused:UNUSED_PAD src0_sel:BYTE_1 src1_sel:BYTE_1
	v_sub_u16_sdwa v204, v204, v206 dst_sel:BYTE_1 dst_unused:UNUSED_PAD src0_sel:DWORD src1_sel:BYTE_3
	v_sub_u16_sdwa v205, v205, v206 dst_sel:DWORD dst_unused:UNUSED_PAD src0_sel:WORD_1 src1_sel:WORD_1
	v_or_b32_sdwa v207, v207, v209 dst_sel:DWORD dst_unused:UNUSED_PAD src0_sel:BYTE_0 src1_sel:DWORD
	v_or_b32_sdwa v204, v205, v204 dst_sel:WORD_1 dst_unused:UNUSED_PAD src0_sel:BYTE_0 src1_sel:DWORD
	v_or_b32_sdwa v205, v207, v204 dst_sel:DWORD dst_unused:UNUSED_PAD src0_sel:WORD_0 src1_sel:DWORD
	ds_read2_b32 v[206:207], v87 offset0:6 offset1:7
	s_waitcnt lgkmcnt(0)
	v_ashrrev_i32_e32 v87, s21, v206
	v_add_u32_e32 v206, 0x4218, v208
	ds_read2_b32 v[208:209], v206 offset1:1
	v_and_b32_e32 v204, 0x3030303, v87
	v_bfe_u32 v87, v87, 24, 2
	s_waitcnt lgkmcnt(0)
	v_ashrrev_i32_e32 v206, s18, v208
	v_lshlrev_b32_e32 v206, 2, v206
	v_and_b32_e32 v206, 0x4040404, v206
	v_sub_u16_e32 v208, v204, v206
	v_sub_u16_sdwa v210, v204, v206 dst_sel:BYTE_1 dst_unused:UNUSED_PAD src0_sel:BYTE_1 src1_sel:BYTE_1
	v_sub_u16_sdwa v87, v87, v206 dst_sel:BYTE_1 dst_unused:UNUSED_PAD src0_sel:DWORD src1_sel:BYTE_3
	v_sub_u16_sdwa v204, v204, v206 dst_sel:DWORD dst_unused:UNUSED_PAD src0_sel:WORD_1 src1_sel:WORD_1
	v_or_b32_sdwa v208, v208, v210 dst_sel:DWORD dst_unused:UNUSED_PAD src0_sel:BYTE_0 src1_sel:DWORD
	v_or_b32_sdwa v87, v204, v87 dst_sel:WORD_1 dst_unused:UNUSED_PAD src0_sel:BYTE_0 src1_sel:DWORD
	v_or_b32_sdwa v206, v208, v87 dst_sel:DWORD dst_unused:UNUSED_PAD src0_sel:WORD_0 src1_sel:DWORD
	v_ashrrev_i32_e32 v87, s21, v207
	v_ashrrev_i32_e32 v207, s18, v209
	v_lshlrev_b32_e32 v207, 2, v207
	v_and_b32_e32 v204, 0x3030303, v87
	v_bfe_u32 v87, v87, 24, 2
	v_and_b32_e32 v207, 0x4040404, v207
	v_sub_u16_e32 v208, v204, v207
	v_sub_u16_sdwa v209, v204, v207 dst_sel:BYTE_1 dst_unused:UNUSED_PAD src0_sel:BYTE_1 src1_sel:BYTE_1
	v_sub_u16_sdwa v87, v87, v207 dst_sel:BYTE_1 dst_unused:UNUSED_PAD src0_sel:DWORD src1_sel:BYTE_3
	v_sub_u16_sdwa v204, v204, v207 dst_sel:DWORD dst_unused:UNUSED_PAD src0_sel:WORD_1 src1_sel:WORD_1
	v_or_b32_sdwa v208, v208, v209 dst_sel:DWORD dst_unused:UNUSED_PAD src0_sel:BYTE_0 src1_sel:DWORD
	v_or_b32_sdwa v87, v204, v87 dst_sel:WORD_1 dst_unused:UNUSED_PAD src0_sel:BYTE_0 src1_sel:DWORD
	v_or_b32_sdwa v207, v208, v87 dst_sel:DWORD dst_unused:UNUSED_PAD src0_sel:WORD_0 src1_sel:DWORD
	v_add_u32_e32 v87, s24, v137
	ds_read_b32 v204, v87
	v_mov_b32_e32 v87, 0
	v_dot4c_i32_i8_e32 v87, v198, v4
	ds_read_u16 v4, v86 offset:36594
	v_dot4c_i32_i8_e32 v87, v200, v5
	v_dot4c_i32_i8_e32 v87, v201, v6
	v_mov_b32_e32 v6, 0
	v_dot4c_i32_i8_e32 v6, v203, v0
	v_dot4c_i32_i8_e32 v6, v205, v1
	;; [unrolled: 1-line block ×3, first 2 shown]
	s_waitcnt lgkmcnt(0)
	v_lshrrev_b16_e32 v5, 8, v4
	v_bfe_i32 v208, v4, 0, 8
	v_dot4c_i32_i8_e32 v6, v206, v2
	v_mul_lo_u32 v4, v87, v208
	v_dot4c_i32_i8_e32 v6, v207, v3
	v_bfe_i32 v209, v5, 0, 8
	v_mov_b32_e32 v86, 0
	s_add_i32 s18, s18, 1
	v_mad_u64_u32 v[0:1], s[20:21], v6, v209, v[4:5]
	v_cvt_f32_i32_e32 v0, v0
	v_mul_f32_e32 v1, v84, v204
	v_mov_b32_e32 v84, 0
	s_cmp_lt_u32 s19, 30
	v_fmac_f32_e32 v103, v1, v0
	ds_read_b128 v[0:3], v164 offset:1024
	ds_read_b128 v[4:7], v164 offset:1040
	s_waitcnt lgkmcnt(1)
	v_dot4c_i32_i8_e32 v84, v166, v0
	v_dot4c_i32_i8_e32 v84, v167, v1
	s_waitcnt lgkmcnt(0)
	v_dot4c_i32_i8_e32 v86, v171, v4
	v_dot4c_i32_i8_e32 v84, v168, v2
	;; [unrolled: 1-line block ×6, first 2 shown]
	s_nop 0
	v_mul_lo_u32 v84, v84, v175
	s_nop 0
	v_mad_u64_u32 v[86:87], s[20:21], v86, v177, v[84:85]
	v_cvt_f32_i32_e32 v86, v86
	v_mul_f32_e32 v84, v170, v85
	v_fmac_f32_e32 v100, v84, v86
	v_mov_b32_e32 v84, 0
	v_dot4c_i32_i8_e32 v84, v176, v0
	v_mov_b32_e32 v86, 0
	v_dot4c_i32_i8_e32 v84, v178, v1
	v_dot4c_i32_i8_e32 v86, v181, v4
	;; [unrolled: 1-line block ×7, first 2 shown]
	s_nop 0
	v_mul_lo_u32 v84, v84, v186
	s_nop 0
	v_mad_u64_u32 v[86:87], s[20:21], v86, v188, v[84:85]
	v_cvt_f32_i32_e32 v86, v86
	v_mul_f32_e32 v84, v182, v85
	v_fmac_f32_e32 v98, v84, v86
	v_mov_b32_e32 v84, 0
	v_dot4c_i32_i8_e32 v84, v187, v0
	v_mov_b32_e32 v86, 0
	v_dot4c_i32_i8_e32 v84, v189, v1
	v_dot4c_i32_i8_e32 v86, v192, v4
	;; [unrolled: 1-line block ×7, first 2 shown]
	s_nop 0
	v_mul_lo_u32 v84, v84, v197
	s_nop 0
	v_mad_u64_u32 v[86:87], s[20:21], v86, v199, v[84:85]
	v_cvt_f32_i32_e32 v86, v86
	v_mul_f32_e32 v84, v193, v85
	v_mov_b32_e32 v87, 0
	v_fmac_f32_e32 v97, v84, v86
	v_mov_b32_e32 v84, 0
	v_dot4c_i32_i8_e32 v84, v198, v0
	v_dot4c_i32_i8_e32 v84, v200, v1
	v_mov_b32_e32 v1, 0
	v_dot4c_i32_i8_e32 v1, v203, v4
	v_dot4c_i32_i8_e32 v84, v201, v2
	;; [unrolled: 1-line block ×6, first 2 shown]
	v_mov_b32_e32 v86, 0
	v_mul_lo_u32 v0, v84, v208
	s_nop 0
	v_mad_u64_u32 v[0:1], s[20:21], v1, v209, v[0:1]
	v_cvt_f32_i32_e32 v0, v0
	v_mul_f32_e32 v1, v204, v85
	v_fmac_f32_e32 v96, v1, v0
	ds_read2_b32 v[84:85], v165 offset0:64 offset1:96
	ds_read_b128 v[0:3], v164 offset:2048
	ds_read_b128 v[4:7], v164 offset:2064
	s_waitcnt lgkmcnt(1)
	v_dot4c_i32_i8_e32 v86, v166, v0
	v_dot4c_i32_i8_e32 v86, v167, v1
	s_waitcnt lgkmcnt(0)
	v_dot4c_i32_i8_e32 v87, v171, v4
	v_dot4c_i32_i8_e32 v86, v168, v2
	;; [unrolled: 1-line block ×6, first 2 shown]
	s_nop 0
	v_mul_lo_u32 v86, v86, v175
	s_nop 0
	v_mad_u64_u32 v[86:87], s[20:21], v87, v177, v[86:87]
	v_cvt_f32_i32_e32 v86, v86
	v_mul_f32_e32 v87, v170, v84
	v_fmac_f32_e32 v83, v87, v86
	v_mov_b32_e32 v86, 0
	v_dot4c_i32_i8_e32 v86, v176, v0
	v_mov_b32_e32 v87, 0
	v_dot4c_i32_i8_e32 v86, v178, v1
	v_dot4c_i32_i8_e32 v87, v181, v4
	;; [unrolled: 1-line block ×7, first 2 shown]
	s_nop 0
	v_mul_lo_u32 v86, v86, v186
	s_nop 0
	v_mad_u64_u32 v[86:87], s[20:21], v87, v188, v[86:87]
	v_cvt_f32_i32_e32 v86, v86
	v_mul_f32_e32 v87, v182, v84
	v_fmac_f32_e32 v71, v87, v86
	v_mov_b32_e32 v86, 0
	v_dot4c_i32_i8_e32 v86, v187, v0
	v_mov_b32_e32 v87, 0
	v_dot4c_i32_i8_e32 v86, v189, v1
	v_dot4c_i32_i8_e32 v87, v192, v4
	;; [unrolled: 1-line block ×7, first 2 shown]
	s_nop 0
	v_mul_lo_u32 v86, v86, v197
	s_nop 0
	v_mad_u64_u32 v[86:87], s[20:21], v87, v199, v[86:87]
	v_cvt_f32_i32_e32 v86, v86
	v_mul_f32_e32 v87, v193, v84
	v_fmac_f32_e32 v57, v87, v86
	v_mov_b32_e32 v86, 0
	v_dot4c_i32_i8_e32 v86, v198, v0
	v_dot4c_i32_i8_e32 v86, v200, v1
	v_mov_b32_e32 v1, 0
	v_dot4c_i32_i8_e32 v1, v203, v4
	v_dot4c_i32_i8_e32 v86, v201, v2
	;; [unrolled: 1-line block ×6, first 2 shown]
	s_nop 0
	v_mul_lo_u32 v0, v86, v208
	v_mov_b32_e32 v86, 0
	v_mad_u64_u32 v[0:1], s[20:21], v1, v209, v[0:1]
	v_cvt_f32_i32_e32 v0, v0
	v_mul_f32_e32 v1, v204, v84
	v_mov_b32_e32 v84, 0
	v_fmac_f32_e32 v53, v1, v0
	ds_read_b128 v[0:3], v164 offset:3072
	ds_read_b128 v[4:7], v164 offset:3088
	s_waitcnt lgkmcnt(1)
	v_dot4c_i32_i8_e32 v84, v166, v0
	v_dot4c_i32_i8_e32 v84, v167, v1
	s_waitcnt lgkmcnt(0)
	v_dot4c_i32_i8_e32 v86, v171, v4
	v_dot4c_i32_i8_e32 v84, v168, v2
	;; [unrolled: 1-line block ×6, first 2 shown]
	s_nop 0
	v_mul_lo_u32 v84, v84, v175
	s_nop 0
	v_mad_u64_u32 v[86:87], s[20:21], v86, v177, v[84:85]
	v_cvt_f32_i32_e32 v86, v86
	v_mul_f32_e32 v84, v170, v85
	v_fmac_f32_e32 v51, v84, v86
	v_mov_b32_e32 v84, 0
	v_dot4c_i32_i8_e32 v84, v176, v0
	v_mov_b32_e32 v86, 0
	v_dot4c_i32_i8_e32 v84, v178, v1
	v_dot4c_i32_i8_e32 v86, v181, v4
	;; [unrolled: 1-line block ×7, first 2 shown]
	s_nop 0
	v_mul_lo_u32 v84, v84, v186
	s_nop 0
	v_mad_u64_u32 v[86:87], s[20:21], v86, v188, v[84:85]
	v_cvt_f32_i32_e32 v86, v86
	v_mul_f32_e32 v84, v182, v85
	v_fmac_f32_e32 v49, v84, v86
	v_mov_b32_e32 v84, 0
	v_dot4c_i32_i8_e32 v84, v187, v0
	v_mov_b32_e32 v86, 0
	v_dot4c_i32_i8_e32 v84, v189, v1
	v_dot4c_i32_i8_e32 v86, v192, v4
	;; [unrolled: 1-line block ×7, first 2 shown]
	s_nop 0
	v_mul_lo_u32 v84, v84, v197
	s_nop 0
	v_mad_u64_u32 v[86:87], s[20:21], v86, v199, v[84:85]
	v_cvt_f32_i32_e32 v86, v86
	v_mul_f32_e32 v84, v193, v85
	v_mov_b32_e32 v87, 0
	v_fmac_f32_e32 v47, v84, v86
	v_mov_b32_e32 v84, 0
	v_dot4c_i32_i8_e32 v84, v198, v0
	v_dot4c_i32_i8_e32 v84, v200, v1
	v_mov_b32_e32 v1, 0
	v_dot4c_i32_i8_e32 v1, v203, v4
	v_dot4c_i32_i8_e32 v84, v201, v2
	;; [unrolled: 1-line block ×6, first 2 shown]
	v_mov_b32_e32 v86, 0
	v_mul_lo_u32 v0, v84, v208
	s_nop 0
	v_mad_u64_u32 v[0:1], s[20:21], v1, v209, v[0:1]
	v_cvt_f32_i32_e32 v0, v0
	v_mul_f32_e32 v1, v204, v85
	v_fmac_f32_e32 v45, v1, v0
	ds_read2_b32 v[84:85], v165 offset0:128 offset1:160
	ds_read_b128 v[0:3], v164 offset:4096
	ds_read_b128 v[4:7], v164 offset:4112
	s_waitcnt lgkmcnt(1)
	v_dot4c_i32_i8_e32 v86, v166, v0
	v_dot4c_i32_i8_e32 v86, v167, v1
	s_waitcnt lgkmcnt(0)
	v_dot4c_i32_i8_e32 v87, v171, v4
	v_dot4c_i32_i8_e32 v86, v168, v2
	;; [unrolled: 1-line block ×6, first 2 shown]
	s_nop 0
	v_mul_lo_u32 v86, v86, v175
	s_nop 0
	v_mad_u64_u32 v[86:87], s[20:21], v87, v177, v[86:87]
	v_cvt_f32_i32_e32 v86, v86
	v_mul_f32_e32 v87, v170, v84
	v_fmac_f32_e32 v41, v87, v86
	v_mov_b32_e32 v86, 0
	v_dot4c_i32_i8_e32 v86, v176, v0
	v_mov_b32_e32 v87, 0
	v_dot4c_i32_i8_e32 v86, v178, v1
	v_dot4c_i32_i8_e32 v87, v181, v4
	;; [unrolled: 1-line block ×7, first 2 shown]
	s_nop 0
	v_mul_lo_u32 v86, v86, v186
	s_nop 0
	v_mad_u64_u32 v[86:87], s[20:21], v87, v188, v[86:87]
	v_cvt_f32_i32_e32 v86, v86
	v_mul_f32_e32 v87, v182, v84
	v_fmac_f32_e32 v37, v87, v86
	v_mov_b32_e32 v86, 0
	v_dot4c_i32_i8_e32 v86, v187, v0
	v_mov_b32_e32 v87, 0
	v_dot4c_i32_i8_e32 v86, v189, v1
	v_dot4c_i32_i8_e32 v87, v192, v4
	;; [unrolled: 1-line block ×7, first 2 shown]
	s_nop 0
	v_mul_lo_u32 v86, v86, v197
	s_nop 0
	v_mad_u64_u32 v[86:87], s[20:21], v87, v199, v[86:87]
	v_cvt_f32_i32_e32 v86, v86
	v_mul_f32_e32 v87, v193, v84
	v_fmac_f32_e32 v35, v87, v86
	v_mov_b32_e32 v86, 0
	v_dot4c_i32_i8_e32 v86, v198, v0
	v_dot4c_i32_i8_e32 v86, v200, v1
	v_mov_b32_e32 v1, 0
	v_dot4c_i32_i8_e32 v1, v203, v4
	v_dot4c_i32_i8_e32 v86, v201, v2
	;; [unrolled: 1-line block ×6, first 2 shown]
	s_nop 0
	v_mul_lo_u32 v0, v86, v208
	v_mov_b32_e32 v86, 0
	v_mad_u64_u32 v[0:1], s[20:21], v1, v209, v[0:1]
	v_cvt_f32_i32_e32 v0, v0
	v_mul_f32_e32 v1, v204, v84
	v_mov_b32_e32 v84, 0
	v_fmac_f32_e32 v33, v1, v0
	ds_read_b128 v[0:3], v164 offset:5120
	ds_read_b128 v[4:7], v164 offset:5136
	s_waitcnt lgkmcnt(1)
	v_dot4c_i32_i8_e32 v84, v166, v0
	v_dot4c_i32_i8_e32 v84, v167, v1
	s_waitcnt lgkmcnt(0)
	v_dot4c_i32_i8_e32 v86, v171, v4
	v_dot4c_i32_i8_e32 v84, v168, v2
	;; [unrolled: 1-line block ×6, first 2 shown]
	s_nop 0
	v_mul_lo_u32 v84, v84, v175
	s_nop 0
	v_mad_u64_u32 v[86:87], s[20:21], v86, v177, v[84:85]
	v_cvt_f32_i32_e32 v86, v86
	v_mul_f32_e32 v84, v170, v85
	v_fmac_f32_e32 v31, v84, v86
	v_mov_b32_e32 v84, 0
	v_dot4c_i32_i8_e32 v84, v176, v0
	v_mov_b32_e32 v86, 0
	v_dot4c_i32_i8_e32 v84, v178, v1
	v_dot4c_i32_i8_e32 v86, v181, v4
	;; [unrolled: 1-line block ×7, first 2 shown]
	s_nop 0
	v_mul_lo_u32 v84, v84, v186
	s_nop 0
	v_mad_u64_u32 v[86:87], s[20:21], v86, v188, v[84:85]
	v_cvt_f32_i32_e32 v86, v86
	v_mul_f32_e32 v84, v182, v85
	v_fmac_f32_e32 v29, v84, v86
	v_mov_b32_e32 v84, 0
	v_dot4c_i32_i8_e32 v84, v187, v0
	v_mov_b32_e32 v86, 0
	v_dot4c_i32_i8_e32 v84, v189, v1
	v_dot4c_i32_i8_e32 v86, v192, v4
	;; [unrolled: 1-line block ×7, first 2 shown]
	s_nop 0
	v_mul_lo_u32 v84, v84, v197
	s_nop 0
	v_mad_u64_u32 v[86:87], s[20:21], v86, v199, v[84:85]
	v_cvt_f32_i32_e32 v86, v86
	v_mul_f32_e32 v84, v193, v85
	v_mov_b32_e32 v87, 0
	v_fmac_f32_e32 v27, v84, v86
	v_mov_b32_e32 v84, 0
	v_dot4c_i32_i8_e32 v84, v198, v0
	v_dot4c_i32_i8_e32 v84, v200, v1
	v_mov_b32_e32 v1, 0
	v_dot4c_i32_i8_e32 v1, v203, v4
	v_dot4c_i32_i8_e32 v84, v201, v2
	;; [unrolled: 1-line block ×6, first 2 shown]
	v_mov_b32_e32 v86, 0
	v_mul_lo_u32 v0, v84, v208
	s_nop 0
	v_mad_u64_u32 v[0:1], s[20:21], v1, v209, v[0:1]
	v_cvt_f32_i32_e32 v0, v0
	v_mul_f32_e32 v1, v204, v85
	v_fmac_f32_e32 v25, v1, v0
	ds_read2_b32 v[84:85], v165 offset0:192 offset1:224
	ds_read_b128 v[4:7], v164 offset:6144
	ds_read_b128 v[0:3], v164 offset:6160
	v_add_u32_e32 v165, 4, v165
	s_waitcnt lgkmcnt(1)
	v_dot4c_i32_i8_e32 v86, v166, v4
	v_dot4c_i32_i8_e32 v86, v167, v5
	s_waitcnt lgkmcnt(0)
	v_dot4c_i32_i8_e32 v87, v171, v0
	v_dot4c_i32_i8_e32 v86, v168, v6
	;; [unrolled: 1-line block ×6, first 2 shown]
	s_nop 0
	v_mul_lo_u32 v86, v86, v175
	s_nop 0
	v_mad_u64_u32 v[86:87], s[20:21], v87, v177, v[86:87]
	v_cvt_f32_i32_e32 v86, v86
	v_mul_f32_e32 v87, v170, v84
	v_fmac_f32_e32 v23, v87, v86
	v_mov_b32_e32 v86, 0
	v_dot4c_i32_i8_e32 v86, v176, v4
	v_mov_b32_e32 v87, 0
	v_dot4c_i32_i8_e32 v86, v178, v5
	v_dot4c_i32_i8_e32 v87, v181, v0
	;; [unrolled: 1-line block ×7, first 2 shown]
	s_nop 0
	v_mul_lo_u32 v86, v86, v186
	s_nop 0
	v_mad_u64_u32 v[86:87], s[20:21], v87, v188, v[86:87]
	v_cvt_f32_i32_e32 v86, v86
	v_mul_f32_e32 v87, v182, v84
	v_fmac_f32_e32 v21, v87, v86
	v_mov_b32_e32 v86, 0
	v_dot4c_i32_i8_e32 v86, v187, v4
	v_mov_b32_e32 v87, 0
	v_dot4c_i32_i8_e32 v86, v189, v5
	v_dot4c_i32_i8_e32 v87, v192, v0
	;; [unrolled: 1-line block ×7, first 2 shown]
	s_nop 0
	v_mul_lo_u32 v86, v86, v197
	s_nop 0
	v_mad_u64_u32 v[86:87], s[20:21], v87, v199, v[86:87]
	v_cvt_f32_i32_e32 v86, v86
	v_mul_f32_e32 v87, v193, v84
	v_fmac_f32_e32 v19, v87, v86
	v_mov_b32_e32 v86, 0
	v_dot4c_i32_i8_e32 v86, v198, v4
	v_dot4c_i32_i8_e32 v86, v200, v5
	v_mov_b32_e32 v5, 0
	v_dot4c_i32_i8_e32 v5, v203, v0
	v_dot4c_i32_i8_e32 v86, v201, v6
	;; [unrolled: 1-line block ×6, first 2 shown]
	s_nop 0
	v_mul_lo_u32 v4, v86, v208
	v_mov_b32_e32 v86, 0
	v_mad_u64_u32 v[0:1], s[20:21], v5, v209, v[4:5]
	v_cvt_f32_i32_e32 v0, v0
	v_mul_f32_e32 v1, v204, v84
	v_mov_b32_e32 v84, 0
	v_fmac_f32_e32 v17, v1, v0
	ds_read_b128 v[0:3], v164 offset:7168
	ds_read_b128 v[4:7], v164 offset:7184
	v_add_u32_e32 v164, 32, v164
	s_waitcnt lgkmcnt(1)
	v_dot4c_i32_i8_e32 v84, v166, v0
	v_dot4c_i32_i8_e32 v84, v167, v1
	s_waitcnt lgkmcnt(0)
	v_dot4c_i32_i8_e32 v86, v171, v4
	v_dot4c_i32_i8_e32 v84, v168, v2
	v_dot4c_i32_i8_e32 v86, v172, v5
	v_dot4c_i32_i8_e32 v84, v169, v3
	v_dot4c_i32_i8_e32 v86, v173, v6
	v_dot4c_i32_i8_e32 v86, v174, v7
	s_nop 0
	v_mul_lo_u32 v84, v84, v175
	s_nop 0
	v_mad_u64_u32 v[86:87], s[20:21], v86, v177, v[84:85]
	v_cvt_f32_i32_e32 v86, v86
	v_mul_f32_e32 v84, v170, v85
	v_fmac_f32_e32 v15, v84, v86
	v_mov_b32_e32 v84, 0
	v_dot4c_i32_i8_e32 v84, v176, v0
	v_mov_b32_e32 v86, 0
	v_dot4c_i32_i8_e32 v84, v178, v1
	v_dot4c_i32_i8_e32 v86, v181, v4
	;; [unrolled: 1-line block ×7, first 2 shown]
	s_nop 0
	v_mul_lo_u32 v84, v84, v186
	s_nop 0
	v_mad_u64_u32 v[86:87], s[20:21], v86, v188, v[84:85]
	v_cvt_f32_i32_e32 v86, v86
	v_mul_f32_e32 v84, v182, v85
	v_fmac_f32_e32 v13, v84, v86
	v_mov_b32_e32 v84, 0
	v_dot4c_i32_i8_e32 v84, v187, v0
	v_mov_b32_e32 v86, 0
	v_dot4c_i32_i8_e32 v84, v189, v1
	v_dot4c_i32_i8_e32 v86, v192, v4
	;; [unrolled: 1-line block ×7, first 2 shown]
	s_nop 0
	v_mul_lo_u32 v84, v84, v197
	s_nop 0
	v_mad_u64_u32 v[86:87], s[20:21], v86, v199, v[84:85]
	v_cvt_f32_i32_e32 v86, v86
	v_mul_f32_e32 v84, v193, v85
	v_fmac_f32_e32 v11, v84, v86
	v_mov_b32_e32 v84, 0
	v_dot4c_i32_i8_e32 v84, v198, v0
	v_dot4c_i32_i8_e32 v84, v200, v1
	v_mov_b32_e32 v1, 0
	v_dot4c_i32_i8_e32 v1, v203, v4
	v_dot4c_i32_i8_e32 v84, v201, v2
	;; [unrolled: 1-line block ×6, first 2 shown]
	s_nop 0
	v_mul_lo_u32 v0, v84, v208
	s_nop 0
	v_mad_u64_u32 v[0:1], s[20:21], v1, v209, v[0:1]
	v_cvt_f32_i32_e32 v0, v0
	v_mul_f32_e32 v1, v204, v85
	s_mov_b32 s20, s19
	v_fmac_f32_e32 v9, v1, v0
	s_cbranch_scc1 .LBB129_14
; %bb.15:                               ;   in Loop: Header=BB129_6 Depth=1
	s_barrier
	s_branch .LBB129_5
.LBB129_16:
	v_mov_b32_e32 v1, v43
.LBB129_17:
	v_cmp_gt_u32_e32 vcc, s8, v79
	s_and_saveexec_b64 s[0:1], vcc
	s_cbranch_execz .LBB129_68
; %bb.18:
	v_add_u32_e32 v0, s6, v39
	v_mul_lo_u32 v5, v79, s10
	v_cmp_gt_u32_e32 vcc, s10, v0
	s_and_saveexec_b64 s[2:3], vcc
	s_cbranch_execz .LBB129_20
; %bb.19:
	v_add_u32_e32 v2, v0, v5
	v_mov_b32_e32 v3, 0
	v_lshlrev_b64 v[2:3], 2, v[2:3]
	s_waitcnt lgkmcnt(0)
	v_mov_b32_e32 v4, s13
	v_add_co_u32_e64 v2, s[0:1], s12, v2
	v_addc_co_u32_e64 v3, s[0:1], v4, v3, s[0:1]
	global_store_dword v[2:3], v118, off
.LBB129_20:
	s_or_b64 exec, exec, s[2:3]
	v_add_u32_e32 v2, 32, v0
	v_cmp_gt_u32_e64 s[0:1], s10, v2
	s_and_saveexec_b64 s[4:5], s[0:1]
	s_cbranch_execz .LBB129_22
; %bb.21:
	v_add_u32_e32 v6, v2, v5
	v_mov_b32_e32 v7, 0
	v_lshlrev_b64 v[6:7], 2, v[6:7]
	s_waitcnt lgkmcnt(0)
	v_mov_b32_e32 v3, s13
	v_add_co_u32_e64 v6, s[2:3], s12, v6
	v_addc_co_u32_e64 v7, s[2:3], v3, v7, s[2:3]
	global_store_dword v[6:7], v110, off
.LBB129_22:
	s_or_b64 exec, exec, s[4:5]
	v_add_u32_e32 v3, 64, v0
	v_cmp_gt_u32_e64 s[2:3], s10, v3
	s_and_saveexec_b64 s[6:7], s[2:3]
	;; [unrolled: 15-line block ×3, first 2 shown]
	s_cbranch_execz .LBB129_26
; %bb.25:
	v_add_u32_e32 v6, v4, v5
	v_mov_b32_e32 v7, 0
	v_lshlrev_b64 v[6:7], 2, v[6:7]
	s_waitcnt lgkmcnt(0)
	v_mov_b32_e32 v5, s13
	v_add_co_u32_e64 v6, s[6:7], s12, v6
	v_addc_co_u32_e64 v7, s[6:7], v5, v7, s[6:7]
	global_store_dword v[6:7], v103, off
.LBB129_26:
	s_or_b64 exec, exec, s[14:15]
	v_add3_u32 v5, v1, s11, 8
	v_cmp_gt_u32_e64 s[6:7], s8, v5
	s_and_b64 exec, exec, s[6:7]
	s_cbranch_execz .LBB129_68
; %bb.27:
	v_mul_lo_u32 v5, v5, s10
	s_and_saveexec_b64 s[14:15], vcc
	s_cbranch_execnz .LBB129_69
; %bb.28:
	s_or_b64 exec, exec, s[14:15]
	s_and_saveexec_b64 s[14:15], s[0:1]
	s_cbranch_execnz .LBB129_70
.LBB129_29:
	s_or_b64 exec, exec, s[14:15]
	s_and_saveexec_b64 s[14:15], s[2:3]
	s_cbranch_execnz .LBB129_71
.LBB129_30:
	s_or_b64 exec, exec, s[14:15]
	s_and_saveexec_b64 s[14:15], s[4:5]
	s_cbranch_execz .LBB129_32
.LBB129_31:
	v_add_u32_e32 v6, v5, v4
	v_mov_b32_e32 v7, 0
	v_lshlrev_b64 v[6:7], 2, v[6:7]
	s_waitcnt lgkmcnt(0)
	v_mov_b32_e32 v5, s13
	v_add_co_u32_e64 v6, s[6:7], s12, v6
	v_addc_co_u32_e64 v7, s[6:7], v5, v7, s[6:7]
	global_store_dword v[6:7], v96, off
.LBB129_32:
	s_or_b64 exec, exec, s[14:15]
	v_add3_u32 v5, v1, s11, 16
	v_cmp_gt_u32_e64 s[6:7], s8, v5
	s_and_b64 exec, exec, s[6:7]
	s_cbranch_execz .LBB129_68
; %bb.33:
	v_mul_lo_u32 v5, v5, s10
	s_and_saveexec_b64 s[14:15], vcc
	s_cbranch_execnz .LBB129_72
; %bb.34:
	s_or_b64 exec, exec, s[14:15]
	s_and_saveexec_b64 s[14:15], s[0:1]
	s_cbranch_execnz .LBB129_73
.LBB129_35:
	s_or_b64 exec, exec, s[14:15]
	s_and_saveexec_b64 s[14:15], s[2:3]
	s_cbranch_execnz .LBB129_74
.LBB129_36:
	s_or_b64 exec, exec, s[14:15]
	s_and_saveexec_b64 s[14:15], s[4:5]
	s_cbranch_execz .LBB129_38
.LBB129_37:
	v_add_u32_e32 v6, v5, v4
	v_mov_b32_e32 v7, 0
	v_lshlrev_b64 v[6:7], 2, v[6:7]
	s_waitcnt lgkmcnt(0)
	v_mov_b32_e32 v5, s13
	v_add_co_u32_e64 v6, s[6:7], s12, v6
	v_addc_co_u32_e64 v7, s[6:7], v5, v7, s[6:7]
	global_store_dword v[6:7], v53, off
.LBB129_38:
	s_or_b64 exec, exec, s[14:15]
	v_add3_u32 v5, v1, s11, 24
	v_cmp_gt_u32_e64 s[6:7], s8, v5
	s_and_b64 exec, exec, s[6:7]
	s_cbranch_execz .LBB129_68
; %bb.39:
	v_mul_lo_u32 v5, v5, s10
	s_and_saveexec_b64 s[14:15], vcc
	s_cbranch_execnz .LBB129_75
; %bb.40:
	s_or_b64 exec, exec, s[14:15]
	s_and_saveexec_b64 s[14:15], s[0:1]
	s_cbranch_execnz .LBB129_76
.LBB129_41:
	s_or_b64 exec, exec, s[14:15]
	s_and_saveexec_b64 s[14:15], s[2:3]
	s_cbranch_execnz .LBB129_77
.LBB129_42:
	s_or_b64 exec, exec, s[14:15]
	s_and_saveexec_b64 s[14:15], s[4:5]
	s_cbranch_execz .LBB129_44
.LBB129_43:
	v_add_u32_e32 v6, v5, v4
	v_mov_b32_e32 v7, 0
	v_lshlrev_b64 v[6:7], 2, v[6:7]
	s_waitcnt lgkmcnt(0)
	v_mov_b32_e32 v5, s13
	v_add_co_u32_e64 v6, s[6:7], s12, v6
	v_addc_co_u32_e64 v7, s[6:7], v5, v7, s[6:7]
	global_store_dword v[6:7], v45, off
.LBB129_44:
	s_or_b64 exec, exec, s[14:15]
	v_add3_u32 v5, v1, s11, 32
	v_cmp_gt_u32_e64 s[6:7], s8, v5
	s_and_b64 exec, exec, s[6:7]
	s_cbranch_execz .LBB129_68
; %bb.45:
	v_mul_lo_u32 v5, v5, s10
	s_and_saveexec_b64 s[14:15], vcc
	s_cbranch_execnz .LBB129_78
; %bb.46:
	s_or_b64 exec, exec, s[14:15]
	s_and_saveexec_b64 s[14:15], s[0:1]
	s_cbranch_execnz .LBB129_79
.LBB129_47:
	s_or_b64 exec, exec, s[14:15]
	s_and_saveexec_b64 s[14:15], s[2:3]
	s_cbranch_execnz .LBB129_80
.LBB129_48:
	s_or_b64 exec, exec, s[14:15]
	s_and_saveexec_b64 s[14:15], s[4:5]
	s_cbranch_execz .LBB129_50
.LBB129_49:
	v_add_u32_e32 v6, v5, v4
	v_mov_b32_e32 v7, 0
	v_lshlrev_b64 v[6:7], 2, v[6:7]
	s_waitcnt lgkmcnt(0)
	v_mov_b32_e32 v5, s13
	v_add_co_u32_e64 v6, s[6:7], s12, v6
	v_addc_co_u32_e64 v7, s[6:7], v5, v7, s[6:7]
	global_store_dword v[6:7], v33, off
.LBB129_50:
	s_or_b64 exec, exec, s[14:15]
	v_add3_u32 v5, v1, s11, 40
	v_cmp_gt_u32_e64 s[6:7], s8, v5
	s_and_b64 exec, exec, s[6:7]
	s_cbranch_execz .LBB129_68
; %bb.51:
	v_mul_lo_u32 v5, v5, s10
	s_and_saveexec_b64 s[14:15], vcc
	s_cbranch_execnz .LBB129_81
; %bb.52:
	s_or_b64 exec, exec, s[14:15]
	s_and_saveexec_b64 s[14:15], s[0:1]
	s_cbranch_execnz .LBB129_82
.LBB129_53:
	s_or_b64 exec, exec, s[14:15]
	s_and_saveexec_b64 s[14:15], s[2:3]
	s_cbranch_execnz .LBB129_83
.LBB129_54:
	s_or_b64 exec, exec, s[14:15]
	s_and_saveexec_b64 s[14:15], s[4:5]
	s_cbranch_execz .LBB129_56
.LBB129_55:
	v_add_u32_e32 v6, v5, v4
	v_mov_b32_e32 v7, 0
	v_lshlrev_b64 v[6:7], 2, v[6:7]
	s_waitcnt lgkmcnt(0)
	v_mov_b32_e32 v5, s13
	v_add_co_u32_e64 v6, s[6:7], s12, v6
	v_addc_co_u32_e64 v7, s[6:7], v5, v7, s[6:7]
	global_store_dword v[6:7], v25, off
.LBB129_56:
	s_or_b64 exec, exec, s[14:15]
	v_add3_u32 v5, v1, s11, 48
	v_cmp_gt_u32_e64 s[6:7], s8, v5
	s_and_b64 exec, exec, s[6:7]
	s_cbranch_execz .LBB129_68
; %bb.57:
	v_mul_lo_u32 v5, v5, s10
	s_and_saveexec_b64 s[14:15], vcc
	s_cbranch_execnz .LBB129_84
; %bb.58:
	s_or_b64 exec, exec, s[14:15]
	s_and_saveexec_b64 s[14:15], s[0:1]
	s_cbranch_execnz .LBB129_85
.LBB129_59:
	s_or_b64 exec, exec, s[14:15]
	s_and_saveexec_b64 s[14:15], s[2:3]
	s_cbranch_execnz .LBB129_86
.LBB129_60:
	s_or_b64 exec, exec, s[14:15]
	s_and_saveexec_b64 s[14:15], s[4:5]
	s_cbranch_execz .LBB129_62
.LBB129_61:
	v_add_u32_e32 v6, v5, v4
	v_mov_b32_e32 v7, 0
	v_lshlrev_b64 v[6:7], 2, v[6:7]
	s_waitcnt lgkmcnt(0)
	v_mov_b32_e32 v5, s13
	v_add_co_u32_e64 v6, s[6:7], s12, v6
	v_addc_co_u32_e64 v7, s[6:7], v5, v7, s[6:7]
	global_store_dword v[6:7], v17, off
.LBB129_62:
	s_or_b64 exec, exec, s[14:15]
	v_add3_u32 v1, v1, s11, 56
	v_cmp_gt_u32_e64 s[6:7], s8, v1
	s_and_b64 exec, exec, s[6:7]
	s_cbranch_execz .LBB129_68
; %bb.63:
	v_mul_lo_u32 v1, v1, s10
	s_and_saveexec_b64 s[6:7], vcc
	s_cbranch_execnz .LBB129_87
; %bb.64:
	s_or_b64 exec, exec, s[6:7]
	s_and_saveexec_b64 s[6:7], s[0:1]
	s_cbranch_execnz .LBB129_88
.LBB129_65:
	s_or_b64 exec, exec, s[6:7]
	s_and_saveexec_b64 s[0:1], s[2:3]
	s_cbranch_execnz .LBB129_89
.LBB129_66:
	s_or_b64 exec, exec, s[0:1]
	s_and_b64 exec, exec, s[4:5]
	s_cbranch_execz .LBB129_68
.LBB129_67:
	v_add_u32_e32 v0, v1, v4
	v_mov_b32_e32 v1, 0
	v_lshlrev_b64 v[0:1], 2, v[0:1]
	s_waitcnt lgkmcnt(0)
	v_mov_b32_e32 v2, s13
	v_add_co_u32_e32 v0, vcc, s12, v0
	v_addc_co_u32_e32 v1, vcc, v2, v1, vcc
	global_store_dword v[0:1], v9, off
.LBB129_68:
	s_endpgm
.LBB129_69:
	v_add_u32_e32 v6, v5, v0
	v_mov_b32_e32 v7, 0
	v_lshlrev_b64 v[6:7], 2, v[6:7]
	s_waitcnt lgkmcnt(0)
	v_mov_b32_e32 v8, s13
	v_add_co_u32_e64 v6, s[6:7], s12, v6
	v_addc_co_u32_e64 v7, s[6:7], v8, v7, s[6:7]
	global_store_dword v[6:7], v100, off
	s_or_b64 exec, exec, s[14:15]
	s_and_saveexec_b64 s[14:15], s[0:1]
	s_cbranch_execz .LBB129_29
.LBB129_70:
	v_add_u32_e32 v6, v5, v2
	v_mov_b32_e32 v7, 0
	v_lshlrev_b64 v[6:7], 2, v[6:7]
	s_waitcnt lgkmcnt(0)
	v_mov_b32_e32 v8, s13
	v_add_co_u32_e64 v6, s[6:7], s12, v6
	v_addc_co_u32_e64 v7, s[6:7], v8, v7, s[6:7]
	global_store_dword v[6:7], v98, off
	s_or_b64 exec, exec, s[14:15]
	s_and_saveexec_b64 s[14:15], s[2:3]
	s_cbranch_execz .LBB129_30
.LBB129_71:
	v_add_u32_e32 v6, v5, v3
	v_mov_b32_e32 v7, 0
	v_lshlrev_b64 v[6:7], 2, v[6:7]
	s_waitcnt lgkmcnt(0)
	v_mov_b32_e32 v8, s13
	v_add_co_u32_e64 v6, s[6:7], s12, v6
	v_addc_co_u32_e64 v7, s[6:7], v8, v7, s[6:7]
	global_store_dword v[6:7], v97, off
	s_or_b64 exec, exec, s[14:15]
	s_and_saveexec_b64 s[14:15], s[4:5]
	s_cbranch_execnz .LBB129_31
	s_branch .LBB129_32
.LBB129_72:
	v_add_u32_e32 v6, v5, v0
	v_mov_b32_e32 v7, 0
	v_lshlrev_b64 v[6:7], 2, v[6:7]
	s_waitcnt lgkmcnt(0)
	v_mov_b32_e32 v8, s13
	v_add_co_u32_e64 v6, s[6:7], s12, v6
	v_addc_co_u32_e64 v7, s[6:7], v8, v7, s[6:7]
	global_store_dword v[6:7], v83, off
	s_or_b64 exec, exec, s[14:15]
	s_and_saveexec_b64 s[14:15], s[0:1]
	s_cbranch_execz .LBB129_35
.LBB129_73:
	v_add_u32_e32 v6, v5, v2
	v_mov_b32_e32 v7, 0
	v_lshlrev_b64 v[6:7], 2, v[6:7]
	s_waitcnt lgkmcnt(0)
	v_mov_b32_e32 v8, s13
	v_add_co_u32_e64 v6, s[6:7], s12, v6
	v_addc_co_u32_e64 v7, s[6:7], v8, v7, s[6:7]
	global_store_dword v[6:7], v71, off
	s_or_b64 exec, exec, s[14:15]
	s_and_saveexec_b64 s[14:15], s[2:3]
	s_cbranch_execz .LBB129_36
.LBB129_74:
	v_add_u32_e32 v6, v5, v3
	v_mov_b32_e32 v7, 0
	v_lshlrev_b64 v[6:7], 2, v[6:7]
	s_waitcnt lgkmcnt(0)
	v_mov_b32_e32 v8, s13
	v_add_co_u32_e64 v6, s[6:7], s12, v6
	v_addc_co_u32_e64 v7, s[6:7], v8, v7, s[6:7]
	global_store_dword v[6:7], v57, off
	s_or_b64 exec, exec, s[14:15]
	s_and_saveexec_b64 s[14:15], s[4:5]
	s_cbranch_execnz .LBB129_37
	s_branch .LBB129_38
.LBB129_75:
	v_add_u32_e32 v6, v5, v0
	v_mov_b32_e32 v7, 0
	v_lshlrev_b64 v[6:7], 2, v[6:7]
	s_waitcnt lgkmcnt(0)
	v_mov_b32_e32 v8, s13
	v_add_co_u32_e64 v6, s[6:7], s12, v6
	v_addc_co_u32_e64 v7, s[6:7], v8, v7, s[6:7]
	global_store_dword v[6:7], v51, off
	s_or_b64 exec, exec, s[14:15]
	s_and_saveexec_b64 s[14:15], s[0:1]
	s_cbranch_execz .LBB129_41
.LBB129_76:
	v_add_u32_e32 v6, v5, v2
	v_mov_b32_e32 v7, 0
	v_lshlrev_b64 v[6:7], 2, v[6:7]
	s_waitcnt lgkmcnt(0)
	v_mov_b32_e32 v8, s13
	v_add_co_u32_e64 v6, s[6:7], s12, v6
	v_addc_co_u32_e64 v7, s[6:7], v8, v7, s[6:7]
	global_store_dword v[6:7], v49, off
	s_or_b64 exec, exec, s[14:15]
	s_and_saveexec_b64 s[14:15], s[2:3]
	s_cbranch_execz .LBB129_42
.LBB129_77:
	v_add_u32_e32 v6, v5, v3
	v_mov_b32_e32 v7, 0
	v_lshlrev_b64 v[6:7], 2, v[6:7]
	s_waitcnt lgkmcnt(0)
	v_mov_b32_e32 v8, s13
	v_add_co_u32_e64 v6, s[6:7], s12, v6
	v_addc_co_u32_e64 v7, s[6:7], v8, v7, s[6:7]
	global_store_dword v[6:7], v47, off
	s_or_b64 exec, exec, s[14:15]
	s_and_saveexec_b64 s[14:15], s[4:5]
	s_cbranch_execnz .LBB129_43
	s_branch .LBB129_44
.LBB129_78:
	v_add_u32_e32 v6, v5, v0
	v_mov_b32_e32 v7, 0
	v_lshlrev_b64 v[6:7], 2, v[6:7]
	s_waitcnt lgkmcnt(0)
	v_mov_b32_e32 v8, s13
	v_add_co_u32_e64 v6, s[6:7], s12, v6
	v_addc_co_u32_e64 v7, s[6:7], v8, v7, s[6:7]
	global_store_dword v[6:7], v41, off
	s_or_b64 exec, exec, s[14:15]
	s_and_saveexec_b64 s[14:15], s[0:1]
	s_cbranch_execz .LBB129_47
.LBB129_79:
	v_add_u32_e32 v6, v5, v2
	v_mov_b32_e32 v7, 0
	v_lshlrev_b64 v[6:7], 2, v[6:7]
	s_waitcnt lgkmcnt(0)
	v_mov_b32_e32 v8, s13
	v_add_co_u32_e64 v6, s[6:7], s12, v6
	v_addc_co_u32_e64 v7, s[6:7], v8, v7, s[6:7]
	global_store_dword v[6:7], v37, off
	s_or_b64 exec, exec, s[14:15]
	s_and_saveexec_b64 s[14:15], s[2:3]
	s_cbranch_execz .LBB129_48
.LBB129_80:
	v_add_u32_e32 v6, v5, v3
	v_mov_b32_e32 v7, 0
	v_lshlrev_b64 v[6:7], 2, v[6:7]
	s_waitcnt lgkmcnt(0)
	v_mov_b32_e32 v8, s13
	v_add_co_u32_e64 v6, s[6:7], s12, v6
	v_addc_co_u32_e64 v7, s[6:7], v8, v7, s[6:7]
	global_store_dword v[6:7], v35, off
	s_or_b64 exec, exec, s[14:15]
	s_and_saveexec_b64 s[14:15], s[4:5]
	s_cbranch_execnz .LBB129_49
	s_branch .LBB129_50
.LBB129_81:
	v_add_u32_e32 v6, v5, v0
	v_mov_b32_e32 v7, 0
	v_lshlrev_b64 v[6:7], 2, v[6:7]
	s_waitcnt lgkmcnt(0)
	v_mov_b32_e32 v8, s13
	v_add_co_u32_e64 v6, s[6:7], s12, v6
	v_addc_co_u32_e64 v7, s[6:7], v8, v7, s[6:7]
	global_store_dword v[6:7], v31, off
	s_or_b64 exec, exec, s[14:15]
	s_and_saveexec_b64 s[14:15], s[0:1]
	s_cbranch_execz .LBB129_53
.LBB129_82:
	v_add_u32_e32 v6, v5, v2
	v_mov_b32_e32 v7, 0
	v_lshlrev_b64 v[6:7], 2, v[6:7]
	s_waitcnt lgkmcnt(0)
	v_mov_b32_e32 v8, s13
	v_add_co_u32_e64 v6, s[6:7], s12, v6
	v_addc_co_u32_e64 v7, s[6:7], v8, v7, s[6:7]
	global_store_dword v[6:7], v29, off
	s_or_b64 exec, exec, s[14:15]
	s_and_saveexec_b64 s[14:15], s[2:3]
	s_cbranch_execz .LBB129_54
.LBB129_83:
	v_add_u32_e32 v6, v5, v3
	v_mov_b32_e32 v7, 0
	v_lshlrev_b64 v[6:7], 2, v[6:7]
	s_waitcnt lgkmcnt(0)
	v_mov_b32_e32 v8, s13
	v_add_co_u32_e64 v6, s[6:7], s12, v6
	v_addc_co_u32_e64 v7, s[6:7], v8, v7, s[6:7]
	global_store_dword v[6:7], v27, off
	s_or_b64 exec, exec, s[14:15]
	s_and_saveexec_b64 s[14:15], s[4:5]
	s_cbranch_execnz .LBB129_55
	s_branch .LBB129_56
.LBB129_84:
	v_add_u32_e32 v6, v5, v0
	v_mov_b32_e32 v7, 0
	v_lshlrev_b64 v[6:7], 2, v[6:7]
	s_waitcnt lgkmcnt(0)
	v_mov_b32_e32 v8, s13
	v_add_co_u32_e64 v6, s[6:7], s12, v6
	v_addc_co_u32_e64 v7, s[6:7], v8, v7, s[6:7]
	global_store_dword v[6:7], v23, off
	s_or_b64 exec, exec, s[14:15]
	s_and_saveexec_b64 s[14:15], s[0:1]
	s_cbranch_execz .LBB129_59
.LBB129_85:
	v_add_u32_e32 v6, v5, v2
	v_mov_b32_e32 v7, 0
	v_lshlrev_b64 v[6:7], 2, v[6:7]
	s_waitcnt lgkmcnt(0)
	v_mov_b32_e32 v8, s13
	v_add_co_u32_e64 v6, s[6:7], s12, v6
	v_addc_co_u32_e64 v7, s[6:7], v8, v7, s[6:7]
	global_store_dword v[6:7], v21, off
	s_or_b64 exec, exec, s[14:15]
	s_and_saveexec_b64 s[14:15], s[2:3]
	s_cbranch_execz .LBB129_60
.LBB129_86:
	v_add_u32_e32 v6, v5, v3
	v_mov_b32_e32 v7, 0
	v_lshlrev_b64 v[6:7], 2, v[6:7]
	s_waitcnt lgkmcnt(0)
	v_mov_b32_e32 v8, s13
	v_add_co_u32_e64 v6, s[6:7], s12, v6
	v_addc_co_u32_e64 v7, s[6:7], v8, v7, s[6:7]
	global_store_dword v[6:7], v19, off
	s_or_b64 exec, exec, s[14:15]
	s_and_saveexec_b64 s[14:15], s[4:5]
	s_cbranch_execnz .LBB129_61
	s_branch .LBB129_62
.LBB129_87:
	v_add_u32_e32 v6, v1, v0
	v_mov_b32_e32 v7, 0
	v_lshlrev_b64 v[6:7], 2, v[6:7]
	s_waitcnt lgkmcnt(0)
	v_mov_b32_e32 v0, s13
	v_add_co_u32_e32 v6, vcc, s12, v6
	v_addc_co_u32_e32 v7, vcc, v0, v7, vcc
	global_store_dword v[6:7], v15, off
	s_or_b64 exec, exec, s[6:7]
	s_and_saveexec_b64 s[6:7], s[0:1]
	s_cbranch_execz .LBB129_65
.LBB129_88:
	v_add_u32_e32 v6, v1, v2
	v_mov_b32_e32 v7, 0
	v_lshlrev_b64 v[6:7], 2, v[6:7]
	s_waitcnt lgkmcnt(0)
	v_mov_b32_e32 v0, s13
	v_add_co_u32_e32 v6, vcc, s12, v6
	v_addc_co_u32_e32 v7, vcc, v0, v7, vcc
	global_store_dword v[6:7], v13, off
	s_or_b64 exec, exec, s[6:7]
	s_and_saveexec_b64 s[0:1], s[2:3]
	s_cbranch_execz .LBB129_66
.LBB129_89:
	v_add_u32_e32 v2, v1, v3
	v_mov_b32_e32 v3, 0
	v_lshlrev_b64 v[2:3], 2, v[2:3]
	s_waitcnt lgkmcnt(0)
	v_mov_b32_e32 v0, s13
	v_add_co_u32_e32 v2, vcc, s12, v2
	v_addc_co_u32_e32 v3, vcc, v0, v3, vcc
	global_store_dword v[2:3], v11, off
	s_or_b64 exec, exec, s[0:1]
	s_and_b64 exec, exec, s[4:5]
	s_cbranch_execnz .LBB129_67
	s_branch .LBB129_68
	.section	.rodata,"a",@progbits
	.p2align	6, 0x0
	.amdhsa_kernel _ZL12mul_mat_q3_KIfLb0EEvPKvS1_PT_iiiii
		.amdhsa_group_segment_fixed_size 39840
		.amdhsa_private_segment_fixed_size 0
		.amdhsa_kernarg_size 44
		.amdhsa_user_sgpr_count 6
		.amdhsa_user_sgpr_private_segment_buffer 1
		.amdhsa_user_sgpr_dispatch_ptr 0
		.amdhsa_user_sgpr_queue_ptr 0
		.amdhsa_user_sgpr_kernarg_segment_ptr 1
		.amdhsa_user_sgpr_dispatch_id 0
		.amdhsa_user_sgpr_flat_scratch_init 0
		.amdhsa_user_sgpr_kernarg_preload_length 0
		.amdhsa_user_sgpr_kernarg_preload_offset 0
		.amdhsa_user_sgpr_private_segment_size 0
		.amdhsa_uses_dynamic_stack 0
		.amdhsa_system_sgpr_private_segment_wavefront_offset 0
		.amdhsa_system_sgpr_workgroup_id_x 1
		.amdhsa_system_sgpr_workgroup_id_y 1
		.amdhsa_system_sgpr_workgroup_id_z 0
		.amdhsa_system_sgpr_workgroup_info 0
		.amdhsa_system_vgpr_workitem_id 1
		.amdhsa_next_free_vgpr 214
		.amdhsa_next_free_sgpr 28
		.amdhsa_accum_offset 216
		.amdhsa_reserve_vcc 1
		.amdhsa_reserve_flat_scratch 0
		.amdhsa_float_round_mode_32 0
		.amdhsa_float_round_mode_16_64 0
		.amdhsa_float_denorm_mode_32 3
		.amdhsa_float_denorm_mode_16_64 3
		.amdhsa_dx10_clamp 1
		.amdhsa_ieee_mode 1
		.amdhsa_fp16_overflow 0
		.amdhsa_tg_split 0
		.amdhsa_exception_fp_ieee_invalid_op 0
		.amdhsa_exception_fp_denorm_src 0
		.amdhsa_exception_fp_ieee_div_zero 0
		.amdhsa_exception_fp_ieee_overflow 0
		.amdhsa_exception_fp_ieee_underflow 0
		.amdhsa_exception_fp_ieee_inexact 0
		.amdhsa_exception_int_div_zero 0
	.end_amdhsa_kernel
	.section	.text._ZL12mul_mat_q3_KIfLb0EEvPKvS1_PT_iiiii,"axG",@progbits,_ZL12mul_mat_q3_KIfLb0EEvPKvS1_PT_iiiii,comdat
.Lfunc_end129:
	.size	_ZL12mul_mat_q3_KIfLb0EEvPKvS1_PT_iiiii, .Lfunc_end129-_ZL12mul_mat_q3_KIfLb0EEvPKvS1_PT_iiiii
                                        ; -- End function
	.section	.AMDGPU.csdata,"",@progbits
; Kernel info:
; codeLenInByte = 32368
; NumSgprs: 32
; NumVgprs: 214
; NumAgprs: 0
; TotalNumVgprs: 214
; ScratchSize: 0
; MemoryBound: 0
; FloatMode: 240
; IeeeMode: 1
; LDSByteSize: 39840 bytes/workgroup (compile time only)
; SGPRBlocks: 3
; VGPRBlocks: 26
; NumSGPRsForWavesPerEU: 32
; NumVGPRsForWavesPerEU: 214
; AccumOffset: 216
; Occupancy: 1
; WaveLimiterHint : 0
; COMPUTE_PGM_RSRC2:SCRATCH_EN: 0
; COMPUTE_PGM_RSRC2:USER_SGPR: 6
; COMPUTE_PGM_RSRC2:TRAP_HANDLER: 0
; COMPUTE_PGM_RSRC2:TGID_X_EN: 1
; COMPUTE_PGM_RSRC2:TGID_Y_EN: 1
; COMPUTE_PGM_RSRC2:TGID_Z_EN: 0
; COMPUTE_PGM_RSRC2:TIDIG_COMP_CNT: 1
; COMPUTE_PGM_RSRC3_GFX90A:ACCUM_OFFSET: 53
; COMPUTE_PGM_RSRC3_GFX90A:TG_SPLIT: 0
	.section	.text._ZL12mul_mat_q3_KIfLb1EEvPKvS1_PT_iiiii,"axG",@progbits,_ZL12mul_mat_q3_KIfLb1EEvPKvS1_PT_iiiii,comdat
	.globl	_ZL12mul_mat_q3_KIfLb1EEvPKvS1_PT_iiiii ; -- Begin function _ZL12mul_mat_q3_KIfLb1EEvPKvS1_PT_iiiii
	.p2align	8
	.type	_ZL12mul_mat_q3_KIfLb1EEvPKvS1_PT_iiiii,@function
_ZL12mul_mat_q3_KIfLb1EEvPKvS1_PT_iiiii: ; @_ZL12mul_mat_q3_KIfLb1EEvPKvS1_PT_iiiii
; %bb.0:
	s_load_dwordx4 s[8:11], s[4:5], 0x18
	s_load_dword s14, s[4:5], 0x28
	s_lshl_b32 s15, s7, 6
	v_bfe_u32 v41, v0, 10, 10
	s_waitcnt lgkmcnt(0)
	s_cmpk_gt_i32 s8, 0xff
	s_cbranch_scc1 .LBB130_2
; %bb.1:
	v_bfe_u32 v1, v0, 10, 10
	v_and_b32_e32 v37, 0x3ff, v0
	v_add_u32_e32 v63, s15, v1
	s_mov_b64 s[0:1], 0
	s_mov_b32 s2, 0
	s_branch .LBB130_3
.LBB130_2:
	s_mov_b64 s[0:1], -1
                                        ; implicit-def: $sgpr2
                                        ; implicit-def: $vgpr1
                                        ; implicit-def: $vgpr37
                                        ; implicit-def: $vgpr63
.LBB130_3:
	s_load_dwordx2 s[12:13], s[4:5], 0x10
	s_lshl_b32 s6, s6, 7
	s_andn2_b64 vcc, exec, s[0:1]
	v_mov_b32_e32 v9, s2
	v_mov_b32_e32 v17, s2
	;; [unrolled: 1-line block ×32, first 2 shown]
	s_cbranch_vccnz .LBB130_17
; %bb.4:
	s_load_dwordx4 s[0:3], s[4:5], 0x0
	s_ashr_i32 s4, s8, 31
	s_lshr_b32 s4, s4, 24
	s_add_i32 s4, s8, s4
	s_ashr_i32 s5, s11, 31
	s_ashr_i32 s4, s4, 8
	s_lshr_b32 s5, s5, 27
	s_add_i32 s5, s11, s5
	s_mul_i32 s7, s4, s6
	s_ashr_i32 s11, s5, 5
	s_mul_hi_i32 s8, s7, 0x6e
	s_mulk_i32 s7, 0x6e
	s_waitcnt lgkmcnt(0)
	s_add_u32 s0, s0, s7
	s_addc_u32 s1, s1, s8
	s_not_b32 s17, s6
	s_add_i32 s17, s17, s9
	v_and_b32_e32 v37, 0x3ff, v0
	v_and_b32_e32 v1, 15, v37
	v_min_i32_e32 v2, s17, v41
	v_lshlrev_b32_e32 v0, 2, v37
	s_movk_i32 s9, 0x84
	v_add_u32_e32 v3, 8, v41
	v_mul_lo_u32 v12, v2, s4
	v_mad_u64_u32 v[14:15], s[18:19], v2, s9, v[0:1]
	v_min_i32_e32 v2, s17, v3
	v_add_u32_e32 v6, 16, v41
	v_mul_lo_u32 v16, v2, s4
	v_mad_u64_u32 v[18:19], s[18:19], v2, s9, v[0:1]
	v_min_i32_e32 v2, s17, v6
	;; [unrolled: 4-line block ×7, first 2 shown]
	v_mul_lo_u32 v40, v2, s4
	v_mad_u64_u32 v[42:43], s[18:19], v2, s9, v[0:1]
	v_add_u32_e32 v2, 64, v41
	v_min_i32_e32 v2, s17, v2
	v_mul_lo_u32 v44, v2, s4
	v_mad_u64_u32 v[46:47], s[18:19], v2, s9, v[0:1]
	v_add_u32_e32 v2, 0x48, v41
	v_min_i32_e32 v2, s17, v2
	;; [unrolled: 4-line block ×8, first 2 shown]
	v_lshlrev_b32_e32 v59, 4, v41
	v_lshrrev_b32_e32 v17, 1, v37
	v_mul_lo_u32 v72, v2, s4
	v_mad_u64_u32 v[74:75], s[18:19], v2, s9, v[0:1]
	v_add_u32_e32 v2, v17, v59
	v_and_b32_e32 v2, 0x7f, v2
	v_min_i32_e32 v2, s17, v2
	v_ashrrev_i32_e32 v4, 31, v2
	v_lshrrev_b32_e32 v4, 28, v4
	v_add_u32_e32 v4, v2, v4
	v_lshrrev_b32_e32 v8, 4, v37
	v_and_b32_e32 v76, 1, v37
	v_ashrrev_i32_e32 v4, 4, v4
	v_mul_lo_u32 v78, v2, s4
	v_lshlrev_b32_e32 v4, 2, v4
	v_lshlrev_b32_e32 v5, 2, v76
	s_mov_b32 s16, 0x9380
	v_lshlrev_b32_e32 v21, 3, v2
	v_lshl_add_u32 v2, v41, 1, v8
	v_add3_u32 v19, v4, v5, s16
	v_min_i32_e32 v4, s17, v2
	v_lshrrev_b32_e32 v5, 31, v4
	v_mul_lo_u32 v84, v4, s4
	v_add_lshl_u32 v5, v4, v5, 1
	v_lshlrev_b32_e32 v25, 6, v4
	v_add_u32_e32 v4, 16, v2
	v_lshlrev_b32_e32 v10, 2, v1
	v_and_b32_e32 v5, -4, v5
	s_movk_i32 s18, 0x4200
	v_min_i32_e32 v4, s17, v4
	v_add3_u32 v23, v5, v10, s18
	v_lshrrev_b32_e32 v5, 31, v4
	v_mul_lo_u32 v86, v4, s4
	v_add_lshl_u32 v5, v4, v5, 1
	v_lshlrev_b32_e32 v29, 6, v4
	v_add_u32_e32 v4, 32, v2
	v_and_b32_e32 v5, -4, v5
	v_min_i32_e32 v4, s17, v4
	v_add3_u32 v27, v5, v10, s18
	v_lshrrev_b32_e32 v5, 31, v4
	v_mul_lo_u32 v88, v4, s4
	v_add_lshl_u32 v5, v4, v5, 1
	v_lshlrev_b32_e32 v33, 6, v4
	v_add_u32_e32 v4, 48, v2
	v_and_b32_e32 v5, -4, v5
	;; [unrolled: 8-line block ×5, first 2 shown]
	v_min_i32_e32 v4, s17, v4
	v_add_u32_e32 v2, 0x70, v2
	v_add3_u32 v47, v5, v10, s18
	v_lshrrev_b32_e32 v5, 31, v4
	v_min_i32_e32 v2, s17, v2
	v_cmp_lt_u32_e32 vcc, 7, v1
	v_and_b32_e32 v1, 7, v37
	v_mul_lo_u32 v96, v4, s4
	v_add_lshl_u32 v5, v4, v5, 1
	v_lshlrev_b32_e32 v53, 6, v4
	v_lshrrev_b32_e32 v4, 31, v2
	v_cndmask_b32_e64 v80, 0, 1, vcc
	v_mul_lo_u32 v98, v2, s4
	v_add_lshl_u32 v4, v2, v4, 1
	v_lshlrev_b32_e32 v57, 6, v2
	v_cmp_lt_u32_e32 vcc, 3, v1
	v_and_b32_e32 v2, 3, v37
	v_lshlrev_b32_e32 v82, 2, v1
	v_cndmask_b32_e64 v100, 0, 1, vcc
	v_add_u16_e32 v1, -2, v2
	v_cmp_gt_u32_e32 vcc, 2, v2
	v_and_b32_e32 v5, -4, v5
	v_cndmask_b32_e32 v1, v1, v2, vcc
	v_cmp_lt_u32_e32 vcc, 1, v2
	v_add3_u32 v51, v5, v10, s18
	v_and_b32_e32 v4, -4, v4
	v_lshrrev_b32_e32 v73, 3, v37
	v_cndmask_b32_e64 v5, 0, 1, vcc
	v_add3_u32 v55, v4, v10, s18
	v_lshl_add_u32 v4, v41, 2, v73
	v_lshlrev_b32_e32 v75, 2, v5
	v_mov_b32_e32 v5, 2
	v_lshlrev_b32_sdwa v102, v5, v1 dst_sel:DWORD dst_unused:UNUSED_PAD src0_sel:DWORD src1_sel:BYTE_0
	v_min_i32_e32 v1, s17, v4
	v_ashrrev_i32_e32 v5, 31, v1
	v_lshrrev_b32_e32 v5, 30, v5
	v_mul_lo_u32 v104, v1, s4
	v_add_u32_e32 v5, v1, v5
	v_lshlrev_b32_e32 v65, 5, v1
	v_add_u32_e32 v1, 32, v4
	v_and_b32_e32 v5, -4, v5
	s_mov_b32 s18, 0x8300
	v_min_i32_e32 v1, s17, v1
	v_add3_u32 v61, v5, v82, s18
	v_ashrrev_i32_e32 v5, 31, v1
	v_lshrrev_b32_e32 v5, 30, v5
	v_mul_lo_u32 v106, v1, s4
	v_add_u32_e32 v5, v1, v5
	v_lshlrev_b32_e32 v69, 5, v1
	v_add_u32_e32 v1, 64, v4
	v_and_b32_e32 v5, -4, v5
	v_min_i32_e32 v1, s17, v1
	v_add3_u32 v67, v5, v82, s18
	v_ashrrev_i32_e32 v5, 31, v1
	v_lshrrev_b32_e32 v5, 30, v5
	v_mul_lo_u32 v108, v1, s4
	v_add_u32_e32 v5, v1, v5
	v_lshlrev_b32_e32 v79, 5, v1
	v_add_u32_e32 v1, 0x60, v4
	v_min_i32_e32 v1, s17, v1
	v_and_b32_e32 v0, 28, v0
	v_ashrrev_i32_e32 v4, 31, v1
	v_add_co_u32_e32 v112, vcc, s2, v0
	v_lshrrev_b32_e32 v0, 2, v37
	v_lshrrev_b32_e32 v4, 30, v4
	v_lshl_add_u32 v0, v41, 3, v0
	v_mul_lo_u32 v110, v1, s4
	v_add_u32_e32 v4, v1, v4
	v_lshlrev_b32_e32 v83, 5, v1
	v_mov_b32_e32 v1, s3
	v_and_b32_e32 v0, 63, v0
	s_add_i32 s17, s10, -1
	v_addc_co_u32_e32 v113, vcc, 0, v1, vcc
	v_or_b32_e32 v1, s15, v0
	v_and_b32_e32 v5, -4, v5
	v_and_b32_e32 v4, -4, v4
	v_min_i32_e32 v1, s17, v1
	v_add3_u32 v71, v5, v82, s18
	v_add3_u32 v81, v4, v82, s18
	v_mad_u64_u32 v[114:115], s[18:19], v1, s11, v[2:3]
	v_lshlrev_b32_e32 v1, 2, v2
	v_add_u32_e32 v63, s15, v41
	v_lshl_or_b32 v0, v0, 4, v1
	v_cvt_f64_i32_e32 v[4:5], s17
	v_add_u32_e32 v85, 0x97a0, v0
	v_cvt_f64_u32_e32 v[0:1], v63
	v_and_b32_e32 v89, 31, v37
	v_min_f64 v[0:1], v[0:1], v[4:5]
	v_lshlrev_b32_e32 v77, 1, v2
	v_cvt_i32_f64_e32 v0, v[0:1]
	v_lshlrev_b32_e32 v2, 2, v89
	v_lshlrev_b32_e32 v89, 7, v41
	v_mul_lo_u32 v87, s11, v0
	v_or_b32_e32 v0, v89, v2
	v_add_u32_e32 v91, 0x6300, v0
	v_add_u32_e32 v0, 8, v63
	v_cvt_f64_u32_e32 v[0:1], v0
	v_min_f64 v[0:1], v[0:1], v[4:5]
	v_cvt_i32_f64_e32 v0, v[0:1]
	v_mul_lo_u32 v95, s11, v0
	v_lshl_or_b32 v0, v3, 7, v2
	v_add_u32_e32 v97, 0x6300, v0
	v_add_u32_e32 v0, 16, v63
	v_cvt_f64_u32_e32 v[0:1], v0
	v_min_f64 v[0:1], v[0:1], v[4:5]
	v_cvt_i32_f64_e32 v0, v[0:1]
	v_mul_lo_u32 v99, s11, v0
	v_lshl_or_b32 v0, v6, 7, v2
	;; [unrolled: 7-line block ×7, first 2 shown]
	v_add_u32_e32 v123, 0x6300, v0
	v_add_u32_e32 v0, 32, v37
	v_lshrrev_b32_e32 v1, 1, v0
	v_lshl_add_u32 v128, v0, 4, v1
	v_mov_b32_e32 v1, 0x1080
	v_lshlrev_b32_e32 v6, 2, v8
	v_lshlrev_b32_e32 v7, 3, v37
	v_mad_u32_u24 v129, v37, s9, v1
	v_lshrrev_b32_e32 v1, 2, v0
	v_add3_u32 v127, v6, v7, s16
	v_and_b32_e32 v1, 0x7c, v1
	v_lshlrev_b32_e32 v6, 3, v0
	v_add_u32_e32 v2, 64, v37
	v_add3_u32 v130, v6, v1, s16
	v_mov_b32_e32 v1, 0x2100
	v_lshrrev_b32_e32 v3, 1, v2
	v_mad_u32_u24 v132, v37, s9, v1
	v_lshrrev_b32_e32 v1, 2, v2
	v_lshl_add_u32 v131, v2, 4, v3
	v_and_b32_e32 v1, 0x7c, v1
	v_lshlrev_b32_e32 v3, 3, v2
	v_add_u32_e32 v4, 0x60, v37
	v_add3_u32 v133, v3, v1, s16
	v_mov_b32_e32 v1, 0x3180
	v_mad_u32_u24 v135, v37, s9, v1
	v_lshrrev_b32_e32 v1, 2, v4
	v_lshrrev_b32_e32 v5, 1, v4
	v_and_b32_e32 v1, 0x7c, v1
	v_lshlrev_b32_e32 v3, 3, v4
	v_and_b32_e32 v140, 0xfc, v37
	v_and_b32_e32 v142, 0x1fc, v0
	;; [unrolled: 1-line block ×4, first 2 shown]
	s_movk_i32 s5, 0x6e
	s_mov_b32 s7, 0
	s_movk_i32 s8, 0x60
	v_lshlrev_b32_e32 v124, 5, v37
	v_lshl_add_u32 v125, v37, 4, v17
	v_mul_u32_u24_e32 v126, 0x84, v37
	v_lshl_add_u32 v134, v4, 4, v5
	v_add3_u32 v136, v3, v1, s16
	v_lshrrev_b32_e32 v137, 3, v0
	v_lshrrev_b32_e32 v138, 3, v2
	;; [unrolled: 1-line block ×3, first 2 shown]
	v_or_b32_e32 v141, 0x6300, v140
	v_add_u32_e32 v143, 0x6300, v142
	v_add_u32_e32 v145, 0x6300, v144
	;; [unrolled: 1-line block ×14, first 2 shown]
	s_mov_b32 s9, 0x30303030
	s_movk_i32 s11, 0x3f00
	s_movk_i32 s16, 0xe000
	v_add_u32_e32 v159, v61, v65
	v_add_u32_e32 v160, v67, v69
	;; [unrolled: 1-line block ×4, first 2 shown]
	v_mov_b32_e32 v163, 8
	v_mov_b32_e32 v93, 0
	;; [unrolled: 1-line block ×33, first 2 shown]
	s_branch .LBB130_6
.LBB130_5:                              ;   in Loop: Header=BB130_6 Depth=1
	s_add_i32 s7, s7, 2
	s_cmp_ge_i32 s7, s4
	s_cbranch_scc1 .LBB130_16
.LBB130_6:                              ; =>This Loop Header: Depth=1
                                        ;     Child Loop BB130_7 Depth 2
                                        ;     Child Loop BB130_9 Depth 2
	;; [unrolled: 1-line block ×4, first 2 shown]
	s_mul_i32 s18, s7, 0x6e
	s_mul_hi_u32 s17, s7, 0x6e
	s_add_u32 s18, s0, s18
	s_addc_u32 s19, s1, s17
	v_pk_mov_b32 v[0:1], s[18:19], s[18:19] op_sel:[0,1]
	v_mad_u64_u32 v[2:3], s[18:19], v8, s5, v[0:1]
	v_add_co_u32_e32 v2, vcc, v2, v10
	v_addc_co_u32_e32 v3, vcc, 0, v3, vcc
	v_add_co_u32_e32 v2, vcc, 32, v2
	v_addc_co_u32_e32 v3, vcc, 0, v3, vcc
	v_mad_i64_i32 v[4:5], s[18:19], v12, s5, v[2:3]
	v_mad_i64_i32 v[6:7], s[18:19], v16, s5, v[2:3]
	;; [unrolled: 1-line block ×8, first 2 shown]
	global_load_dword v172, v[4:5], off
	global_load_dword v173, v[6:7], off
	;; [unrolled: 1-line block ×7, first 2 shown]
	s_nop 0
	global_load_dword v170, v[170:171], off
	v_mad_i64_i32 v[4:5], s[18:19], v44, s5, v[2:3]
	v_mad_i64_i32 v[6:7], s[18:19], v48, s5, v[2:3]
	;; [unrolled: 1-line block ×8, first 2 shown]
	global_load_dword v171, v[4:5], off
	global_load_dword v179, v[6:7], off
	;; [unrolled: 1-line block ×4, first 2 shown]
	s_nop 0
	global_load_dword v164, v[164:165], off
	s_nop 0
	global_load_dword v165, v[166:167], off
	;; [unrolled: 2-line block ×3, first 2 shown]
	global_load_dword v167, v[2:3], off
	v_mad_i64_i32 v[2:3], s[18:19], v78, s5, v[0:1]
	v_mad_u64_u32 v[2:3], s[18:19], v76, s5, v[2:3]
	global_load_ushort v168, v[2:3], off offset:108
	v_mad_u64_u32 v[4:5], s[18:19], v80, s5, v[0:1]
	v_add_co_u32_e32 v4, vcc, v4, v82
	v_addc_co_u32_e32 v5, vcc, 0, v5, vcc
	v_mad_i64_i32 v[6:7], s[18:19], v84, s5, v[4:5]
	v_mad_i64_i32 v[116:117], s[18:19], v86, s5, v[4:5]
	global_load_dword v169, v[6:7], off
	global_load_dword v182, v[116:117], off
	v_mad_i64_i32 v[2:3], s[18:19], v88, s5, v[4:5]
	v_mad_i64_i32 v[118:119], s[18:19], v90, s5, v[4:5]
	global_load_dword v183, v[2:3], off
	global_load_dword v184, v[118:119], off
	v_mad_i64_i32 v[6:7], s[18:19], v92, s5, v[4:5]
	v_mad_i64_i32 v[2:3], s[18:19], v94, s5, v[4:5]
	global_load_dword v185, v[6:7], off
	global_load_dword v186, v[2:3], off
	v_mad_u64_u32 v[0:1], s[18:19], v100, s5, v[0:1]
	v_mad_i64_i32 v[2:3], s[18:19], v96, s5, v[4:5]
	v_add_co_u32_e32 v0, vcc, s8, v0
	global_load_dword v187, v[2:3], off
	v_mad_i64_i32 v[2:3], s[18:19], v98, s5, v[4:5]
	v_addc_co_u32_e32 v1, vcc, 0, v1, vcc
	global_load_dword v188, v[2:3], off
	v_mad_i64_i32 v[2:3], s[18:19], v104, s5, v[0:1]
	v_add_co_u32_e32 v4, vcc, v2, v102
	v_addc_co_u32_e32 v5, vcc, 0, v3, vcc
	global_load_dword v189, v[4:5], off
	v_mad_i64_i32 v[4:5], s[18:19], v106, s5, v[0:1]
	v_add_co_u32_e32 v6, vcc, v4, v102
	v_addc_co_u32_e32 v7, vcc, 0, v5, vcc
	v_mad_i64_i32 v[116:117], s[18:19], v108, s5, v[0:1]
	v_add_co_u32_e32 v118, vcc, v116, v102
	v_mad_i64_i32 v[0:1], s[18:19], v110, s5, v[0:1]
	v_addc_co_u32_e32 v119, vcc, 0, v117, vcc
	global_load_dword v190, v[0:1], off offset:8
	global_load_dword v191, v[118:119], off
	global_load_dword v192, v[116:117], off offset:8
	global_load_dword v193, v[6:7], off
	global_load_dword v194, v[4:5], off offset:8
	global_load_dword v195, v[2:3], off offset:8
	v_add_co_u32_e32 v0, vcc, v0, v102
	s_waitcnt vmcnt(31)
	ds_write_b32 v14, v172
	s_waitcnt vmcnt(30)
	ds_write_b32 v18, v173
	;; [unrolled: 2-line block ×13, first 2 shown]
	v_addc_co_u32_e32 v1, vcc, 0, v1, vcc
	s_lshl_b32 s17, s7, 3
	v_add_u32_e32 v164, s17, v114
	v_mad_u64_u32 v[170:171], s[18:19], v164, 36, s[2:3]
	s_mov_b32 s21, -2
	s_waitcnt vmcnt(15)
	v_cvt_f32_f16_e32 v2, v168
	ds_write_b32 v66, v165
	ds_write_b32 v70, v166
	;; [unrolled: 1-line block ×4, first 2 shown]
	global_load_dword v172, v[0:1], off
	v_add_u32_e32 v168, s17, v73
	v_add_u32_e32 v0, v168, v87
	;; [unrolled: 1-line block ×5, first 2 shown]
	v_mad_i64_i32 v[0:1], s[18:19], v0, 36, v[112:113]
	s_waitcnt vmcnt(15)
	v_not_b32_e32 v2, v169
	ds_write_b32 v151, v2
	s_waitcnt vmcnt(14)
	v_not_b32_e32 v2, v182
	ds_write_b32 v152, v2
	v_mad_i64_i32 v[4:5], s[18:19], v4, 36, v[112:113]
	s_waitcnt vmcnt(13)
	v_not_b32_e32 v2, v183
	ds_write_b32 v153, v2
	s_waitcnt vmcnt(12)
	v_not_b32_e32 v2, v184
	ds_write_b32 v154, v2
	;; [unrolled: 3-line block ×4, first 2 shown]
	v_add_u32_e32 v2, v168, v95
	v_mad_i64_i32 v[2:3], s[18:19], v2, 36, v[112:113]
	v_mad_i64_i32 v[6:7], s[18:19], v6, 36, v[112:113]
	v_mad_i64_i32 v[116:117], s[18:19], v116, 36, v[112:113]
	v_add_u32_e32 v118, v168, v111
	v_add_u32_e32 v166, v168, v120
	v_add_u32_e32 v168, v168, v122
	v_mad_i64_i32 v[118:119], s[18:19], v118, 36, v[112:113]
	v_mad_i64_i32 v[166:167], s[18:19], v166, 36, v[112:113]
	;; [unrolled: 1-line block ×3, first 2 shown]
	global_load_dword v0, v[0:1], off offset:4
	s_nop 0
	global_load_dword v1, v[2:3], off offset:4
	s_nop 0
	global_load_dword v2, v[4:5], off offset:4
	global_load_dword v3, v[6:7], off offset:4
	s_nop 0
	global_load_dword v4, v[116:117], off offset:4
	global_load_dword v5, v[170:171], off
	global_load_dword v6, v[118:119], off offset:4
	global_load_dword v7, v[166:167], off offset:4
	s_nop 0
	global_load_dword v116, v[168:169], off offset:4
	s_waitcnt vmcnt(18)
	v_not_b32_e32 v165, v187
	s_waitcnt vmcnt(17)
	v_not_b32_e32 v117, v188
	ds_write_b32 v157, v165
	ds_write_b32 v158, v117
	s_waitcnt vmcnt(16)
	v_ashrrev_i32_e32 v117, v75, v189
	v_and_b32_e32 v117, 0xf0f0f0f, v117
	v_mov_b32_e32 v165, v89
	v_mov_b32_e32 v166, v59
	s_mov_b32 s18, 0
	s_mov_b32 s19, 0
	s_waitcnt vmcnt(10)
	v_ashrrev_i32_e32 v118, v77, v195
	v_lshlrev_b32_e32 v118, 4, v118
	v_and_or_b32 v117, v118, s9, v117
	v_lshlrev_b16_e32 v119, 8, v117
	v_and_b32_e32 v118, 0x3f00, v117
	v_add_u16_e32 v119, 0xe000, v119
	v_or_b32_sdwa v118, v118, v119 dst_sel:DWORD dst_unused:UNUSED_PAD src0_sel:DWORD src1_sel:BYTE_1
	v_and_b32_sdwa v119, v117, s11 dst_sel:DWORD dst_unused:UNUSED_PAD src0_sel:WORD_1 src1_sel:DWORD
	v_lshlrev_b16_sdwa v117, v163, v117 dst_sel:DWORD dst_unused:UNUSED_PAD src0_sel:DWORD src1_sel:WORD_1
	v_add_u16_e32 v117, 0xe000, v117
	v_or_b32_sdwa v117, v119, v117 dst_sel:DWORD dst_unused:UNUSED_PAD src0_sel:DWORD src1_sel:BYTE_1
	v_add_u16_e32 v118, 0xe000, v118
	v_add_u16_sdwa v117, v117, s16 dst_sel:WORD_1 dst_unused:UNUSED_PAD src0_sel:DWORD src1_sel:DWORD
	v_or_b32_e32 v117, v118, v117
	ds_write_b32 v159, v117
	v_ashrrev_i32_e32 v117, v75, v193
	v_ashrrev_i32_e32 v118, v77, v194
	v_and_b32_e32 v117, 0xf0f0f0f, v117
	v_lshlrev_b32_e32 v118, 4, v118
	v_and_or_b32 v117, v118, s9, v117
	v_lshlrev_b16_e32 v119, 8, v117
	v_and_b32_e32 v118, 0x3f00, v117
	v_add_u16_e32 v119, 0xe000, v119
	v_or_b32_sdwa v118, v118, v119 dst_sel:DWORD dst_unused:UNUSED_PAD src0_sel:DWORD src1_sel:BYTE_1
	v_and_b32_sdwa v119, v117, s11 dst_sel:DWORD dst_unused:UNUSED_PAD src0_sel:WORD_1 src1_sel:DWORD
	v_lshlrev_b16_sdwa v117, v163, v117 dst_sel:DWORD dst_unused:UNUSED_PAD src0_sel:DWORD src1_sel:WORD_1
	v_add_u16_e32 v117, 0xe000, v117
	v_or_b32_sdwa v117, v119, v117 dst_sel:DWORD dst_unused:UNUSED_PAD src0_sel:DWORD src1_sel:BYTE_1
	v_add_u16_e32 v118, 0xe000, v118
	v_add_u16_sdwa v117, v117, s16 dst_sel:WORD_1 dst_unused:UNUSED_PAD src0_sel:DWORD src1_sel:DWORD
	v_or_b32_e32 v117, v118, v117
	ds_write_b32 v160, v117
	v_ashrrev_i32_e32 v117, v75, v191
	v_ashrrev_i32_e32 v118, v77, v192
	v_and_b32_e32 v117, 0xf0f0f0f, v117
	v_lshlrev_b32_e32 v118, 4, v118
	v_and_or_b32 v117, v118, s9, v117
	v_lshlrev_b16_e32 v119, 8, v117
	v_and_b32_e32 v118, 0x3f00, v117
	v_add_u16_e32 v119, 0xe000, v119
	v_or_b32_sdwa v118, v118, v119 dst_sel:DWORD dst_unused:UNUSED_PAD src0_sel:DWORD src1_sel:BYTE_1
	v_and_b32_sdwa v119, v117, s11 dst_sel:DWORD dst_unused:UNUSED_PAD src0_sel:WORD_1 src1_sel:DWORD
	v_lshlrev_b16_sdwa v117, v163, v117 dst_sel:DWORD dst_unused:UNUSED_PAD src0_sel:DWORD src1_sel:WORD_1
	v_add_u16_e32 v117, 0xe000, v117
	v_or_b32_sdwa v117, v119, v117 dst_sel:DWORD dst_unused:UNUSED_PAD src0_sel:DWORD src1_sel:BYTE_1
	v_add_u16_e32 v118, 0xe000, v118
	v_add_u16_sdwa v117, v117, s16 dst_sel:WORD_1 dst_unused:UNUSED_PAD src0_sel:DWORD src1_sel:DWORD
	v_or_b32_e32 v117, v118, v117
	ds_write_b32 v161, v117
	s_waitcnt vmcnt(9)
	v_ashrrev_i32_e32 v117, v75, v172
	v_ashrrev_i32_e32 v118, v77, v190
	v_and_b32_e32 v117, 0xf0f0f0f, v117
	v_lshlrev_b32_e32 v118, 4, v118
	v_and_or_b32 v117, v118, s9, v117
	v_lshlrev_b16_e32 v119, 8, v117
	v_and_b32_e32 v118, 0x3f00, v117
	v_add_u16_e32 v119, 0xe000, v119
	v_or_b32_sdwa v118, v118, v119 dst_sel:DWORD dst_unused:UNUSED_PAD src0_sel:DWORD src1_sel:BYTE_1
	v_and_b32_sdwa v119, v117, s11 dst_sel:DWORD dst_unused:UNUSED_PAD src0_sel:WORD_1 src1_sel:DWORD
	v_lshlrev_b16_sdwa v117, v163, v117 dst_sel:DWORD dst_unused:UNUSED_PAD src0_sel:DWORD src1_sel:WORD_1
	v_add_u16_e32 v117, 0xe000, v117
	v_or_b32_sdwa v117, v119, v117 dst_sel:DWORD dst_unused:UNUSED_PAD src0_sel:DWORD src1_sel:BYTE_1
	v_add_u16_e32 v118, 0xe000, v118
	v_add_u16_sdwa v117, v117, s16 dst_sel:WORD_1 dst_unused:UNUSED_PAD src0_sel:DWORD src1_sel:DWORD
	v_or_b32_e32 v117, v118, v117
	ds_write_b32 v162, v117
	s_waitcnt vmcnt(8)
	ds_write_b32 v91, v0
	s_waitcnt vmcnt(7)
	;; [unrolled: 2-line block ×6, first 2 shown]
	v_cvt_f32_f16_e32 v0, v5
	s_waitcnt vmcnt(2)
	ds_write_b32 v115, v6
	s_waitcnt vmcnt(1)
	ds_write_b32 v121, v7
	;; [unrolled: 2-line block ×3, first 2 shown]
	ds_write_b32 v85, v0
	s_waitcnt lgkmcnt(0)
	s_barrier
.LBB130_7:                              ;   Parent Loop BB130_6 Depth=1
                                        ; =>  This Inner Loop Header: Depth=2
	s_add_i32 s20, s21, 2
	s_and_b32 s22, s19, -16
	s_lshr_b32 s24, s20, 4
	v_add_u32_e32 v118, s22, v124
	s_and_b32 s23, s20, 0x3ffffff8
	s_lshl_b32 s22, s24, 3
	s_lshl_b32 s23, s23, 2
	v_add_lshl_u32 v176, v125, s22, 2
	v_add_u32_e32 v0, 0x9600, v166
	v_add_u32_e32 v119, s23, v126
	;; [unrolled: 1-line block ×3, first 2 shown]
	ds_read2_b32 v[116:117], v0 offset0:104 offset1:136
	ds_read_b128 v[4:7], v165 offset:25344
	ds_read_b128 v[0:3], v165 offset:25360
	ds_read2_b32 v[168:169], v119 offset1:1
	ds_read2_b32 v[170:171], v170 offset1:1
	s_lshl_b32 s24, s24, 2
	v_add_lshl_u32 v198, v131, s22, 2
	v_add_lshl_u32 v188, v128, s22, 2
	s_waitcnt lgkmcnt(1)
	v_ashrrev_i32_e32 v167, s20, v168
	s_waitcnt lgkmcnt(0)
	v_ashrrev_i32_e32 v170, s18, v170
	v_lshlrev_b32_e32 v170, 2, v170
	v_and_b32_e32 v168, 0x3030303, v167
	v_bfe_u32 v167, v167, 24, 2
	v_and_b32_e32 v170, 0x4040404, v170
	v_sub_u16_e32 v172, v168, v170
	v_sub_u16_sdwa v173, v168, v170 dst_sel:BYTE_1 dst_unused:UNUSED_PAD src0_sel:BYTE_1 src1_sel:BYTE_1
	v_sub_u16_sdwa v167, v167, v170 dst_sel:BYTE_1 dst_unused:UNUSED_PAD src0_sel:DWORD src1_sel:BYTE_3
	v_sub_u16_sdwa v168, v168, v170 dst_sel:DWORD dst_unused:UNUSED_PAD src0_sel:WORD_1 src1_sel:WORD_1
	v_ashrrev_i32_e32 v170, s18, v171
	v_or_b32_sdwa v167, v168, v167 dst_sel:WORD_1 dst_unused:UNUSED_PAD src0_sel:BYTE_0 src1_sel:DWORD
	v_ashrrev_i32_e32 v168, s20, v169
	v_lshlrev_b32_e32 v170, 2, v170
	v_or_b32_sdwa v172, v172, v173 dst_sel:DWORD dst_unused:UNUSED_PAD src0_sel:BYTE_0 src1_sel:DWORD
	v_and_b32_e32 v169, 0x3030303, v168
	v_bfe_u32 v168, v168, 24, 2
	v_and_b32_e32 v170, 0x4040404, v170
	v_or_b32_sdwa v167, v172, v167 dst_sel:DWORD dst_unused:UNUSED_PAD src0_sel:WORD_0 src1_sel:DWORD
	v_sub_u16_e32 v171, v169, v170
	v_sub_u16_sdwa v172, v169, v170 dst_sel:BYTE_1 dst_unused:UNUSED_PAD src0_sel:BYTE_1 src1_sel:BYTE_1
	v_sub_u16_sdwa v168, v168, v170 dst_sel:BYTE_1 dst_unused:UNUSED_PAD src0_sel:DWORD src1_sel:BYTE_3
	v_sub_u16_sdwa v169, v169, v170 dst_sel:DWORD dst_unused:UNUSED_PAD src0_sel:WORD_1 src1_sel:WORD_1
	v_or_b32_sdwa v171, v171, v172 dst_sel:DWORD dst_unused:UNUSED_PAD src0_sel:BYTE_0 src1_sel:DWORD
	v_or_b32_sdwa v168, v169, v168 dst_sel:WORD_1 dst_unused:UNUSED_PAD src0_sel:BYTE_0 src1_sel:DWORD
	v_add_u32_e32 v172, 0x4208, v176
	v_or_b32_sdwa v168, v171, v168 dst_sel:DWORD dst_unused:UNUSED_PAD src0_sel:WORD_0 src1_sel:DWORD
	ds_read2_b32 v[170:171], v119 offset0:2 offset1:3
	ds_read2_b32 v[172:173], v172 offset1:1
	v_add_u32_e32 v192, 0x4200, v198
	v_add_lshl_u32 v210, v134, s22, 2
	s_add_i32 s19, s19, 2
	s_waitcnt lgkmcnt(1)
	v_ashrrev_i32_e32 v169, s20, v170
	s_waitcnt lgkmcnt(0)
	v_ashrrev_i32_e32 v172, s18, v172
	v_lshlrev_b32_e32 v172, 2, v172
	v_and_b32_e32 v170, 0x3030303, v169
	v_bfe_u32 v169, v169, 24, 2
	v_and_b32_e32 v172, 0x4040404, v172
	v_sub_u16_e32 v174, v170, v172
	v_sub_u16_sdwa v175, v170, v172 dst_sel:BYTE_1 dst_unused:UNUSED_PAD src0_sel:BYTE_1 src1_sel:BYTE_1
	v_sub_u16_sdwa v169, v169, v172 dst_sel:BYTE_1 dst_unused:UNUSED_PAD src0_sel:DWORD src1_sel:BYTE_3
	v_sub_u16_sdwa v170, v170, v172 dst_sel:DWORD dst_unused:UNUSED_PAD src0_sel:WORD_1 src1_sel:WORD_1
	v_ashrrev_i32_e32 v172, s18, v173
	v_or_b32_sdwa v169, v170, v169 dst_sel:WORD_1 dst_unused:UNUSED_PAD src0_sel:BYTE_0 src1_sel:DWORD
	v_ashrrev_i32_e32 v170, s20, v171
	v_lshlrev_b32_e32 v172, 2, v172
	v_or_b32_sdwa v174, v174, v175 dst_sel:DWORD dst_unused:UNUSED_PAD src0_sel:BYTE_0 src1_sel:DWORD
	v_and_b32_e32 v171, 0x3030303, v170
	v_bfe_u32 v170, v170, 24, 2
	v_and_b32_e32 v172, 0x4040404, v172
	v_or_b32_sdwa v169, v174, v169 dst_sel:DWORD dst_unused:UNUSED_PAD src0_sel:WORD_0 src1_sel:DWORD
	v_sub_u16_e32 v173, v171, v172
	v_sub_u16_sdwa v174, v171, v172 dst_sel:BYTE_1 dst_unused:UNUSED_PAD src0_sel:BYTE_1 src1_sel:BYTE_1
	v_sub_u16_sdwa v170, v170, v172 dst_sel:BYTE_1 dst_unused:UNUSED_PAD src0_sel:DWORD src1_sel:BYTE_3
	v_sub_u16_sdwa v171, v171, v172 dst_sel:DWORD dst_unused:UNUSED_PAD src0_sel:WORD_1 src1_sel:WORD_1
	v_or_b32_sdwa v173, v173, v174 dst_sel:DWORD dst_unused:UNUSED_PAD src0_sel:BYTE_0 src1_sel:DWORD
	v_or_b32_sdwa v170, v171, v170 dst_sel:WORD_1 dst_unused:UNUSED_PAD src0_sel:BYTE_0 src1_sel:DWORD
	v_add_u32_e32 v174, 0x4210, v176
	v_or_b32_sdwa v170, v173, v170 dst_sel:DWORD dst_unused:UNUSED_PAD src0_sel:WORD_0 src1_sel:DWORD
	ds_read2_b32 v[172:173], v119 offset0:4 offset1:5
	ds_read2_b32 v[174:175], v174 offset1:1
	ds_read2_b32 v[192:193], v192 offset1:1
	s_waitcnt lgkmcnt(2)
	v_ashrrev_i32_e32 v171, s20, v172
	s_waitcnt lgkmcnt(1)
	v_ashrrev_i32_e32 v174, s18, v174
	v_lshlrev_b32_e32 v174, 2, v174
	v_and_b32_e32 v172, 0x3030303, v171
	v_bfe_u32 v171, v171, 24, 2
	v_and_b32_e32 v174, 0x4040404, v174
	v_sub_u16_e32 v177, v172, v174
	v_sub_u16_sdwa v178, v172, v174 dst_sel:BYTE_1 dst_unused:UNUSED_PAD src0_sel:BYTE_1 src1_sel:BYTE_1
	v_sub_u16_sdwa v171, v171, v174 dst_sel:BYTE_1 dst_unused:UNUSED_PAD src0_sel:DWORD src1_sel:BYTE_3
	v_sub_u16_sdwa v172, v172, v174 dst_sel:DWORD dst_unused:UNUSED_PAD src0_sel:WORD_1 src1_sel:WORD_1
	v_or_b32_sdwa v177, v177, v178 dst_sel:DWORD dst_unused:UNUSED_PAD src0_sel:BYTE_0 src1_sel:DWORD
	v_or_b32_sdwa v171, v172, v171 dst_sel:WORD_1 dst_unused:UNUSED_PAD src0_sel:BYTE_0 src1_sel:DWORD
	v_ashrrev_i32_e32 v174, s18, v175
	v_or_b32_sdwa v172, v177, v171 dst_sel:DWORD dst_unused:UNUSED_PAD src0_sel:WORD_0 src1_sel:DWORD
	v_ashrrev_i32_e32 v171, s20, v173
	v_lshlrev_b32_e32 v174, 2, v174
	v_and_b32_e32 v173, 0x3030303, v171
	v_bfe_u32 v171, v171, 24, 2
	v_and_b32_e32 v174, 0x4040404, v174
	v_sub_u16_e32 v175, v173, v174
	v_sub_u16_sdwa v177, v173, v174 dst_sel:BYTE_1 dst_unused:UNUSED_PAD src0_sel:BYTE_1 src1_sel:BYTE_1
	v_sub_u16_sdwa v171, v171, v174 dst_sel:BYTE_1 dst_unused:UNUSED_PAD src0_sel:DWORD src1_sel:BYTE_3
	v_sub_u16_sdwa v173, v173, v174 dst_sel:DWORD dst_unused:UNUSED_PAD src0_sel:WORD_1 src1_sel:WORD_1
	v_or_b32_sdwa v175, v175, v177 dst_sel:DWORD dst_unused:UNUSED_PAD src0_sel:BYTE_0 src1_sel:DWORD
	v_or_b32_sdwa v171, v173, v171 dst_sel:WORD_1 dst_unused:UNUSED_PAD src0_sel:BYTE_0 src1_sel:DWORD
	v_or_b32_sdwa v173, v175, v171 dst_sel:DWORD dst_unused:UNUSED_PAD src0_sel:WORD_0 src1_sel:DWORD
	ds_read2_b32 v[174:175], v119 offset0:6 offset1:7
	s_waitcnt lgkmcnt(1)
	v_ashrrev_i32_e32 v192, s18, v192
	v_lshlrev_b32_e32 v192, 2, v192
	v_and_b32_e32 v192, 0x4040404, v192
	s_waitcnt lgkmcnt(0)
	v_ashrrev_i32_e32 v119, s20, v174
	v_add_u32_e32 v174, 0x4218, v176
	ds_read2_b32 v[176:177], v174 offset1:1
	v_and_b32_e32 v171, 0x3030303, v119
	v_bfe_u32 v119, v119, 24, 2
	s_waitcnt lgkmcnt(0)
	v_ashrrev_i32_e32 v174, s18, v176
	v_lshlrev_b32_e32 v174, 2, v174
	v_and_b32_e32 v174, 0x4040404, v174
	v_sub_u16_e32 v176, v171, v174
	v_sub_u16_sdwa v178, v171, v174 dst_sel:BYTE_1 dst_unused:UNUSED_PAD src0_sel:BYTE_1 src1_sel:BYTE_1
	v_sub_u16_sdwa v119, v119, v174 dst_sel:BYTE_1 dst_unused:UNUSED_PAD src0_sel:DWORD src1_sel:BYTE_3
	v_sub_u16_sdwa v171, v171, v174 dst_sel:DWORD dst_unused:UNUSED_PAD src0_sel:WORD_1 src1_sel:WORD_1
	v_or_b32_sdwa v176, v176, v178 dst_sel:DWORD dst_unused:UNUSED_PAD src0_sel:BYTE_0 src1_sel:DWORD
	v_or_b32_sdwa v119, v171, v119 dst_sel:WORD_1 dst_unused:UNUSED_PAD src0_sel:BYTE_0 src1_sel:DWORD
	v_or_b32_sdwa v174, v176, v119 dst_sel:DWORD dst_unused:UNUSED_PAD src0_sel:WORD_0 src1_sel:DWORD
	v_ashrrev_i32_e32 v119, s20, v175
	v_ashrrev_i32_e32 v175, s18, v177
	v_lshlrev_b32_e32 v175, 2, v175
	v_and_b32_e32 v171, 0x3030303, v119
	v_bfe_u32 v119, v119, 24, 2
	v_and_b32_e32 v175, 0x4040404, v175
	v_sub_u16_e32 v176, v171, v175
	v_sub_u16_sdwa v177, v171, v175 dst_sel:BYTE_1 dst_unused:UNUSED_PAD src0_sel:BYTE_1 src1_sel:BYTE_1
	v_sub_u16_sdwa v119, v119, v175 dst_sel:BYTE_1 dst_unused:UNUSED_PAD src0_sel:DWORD src1_sel:BYTE_3
	v_sub_u16_sdwa v171, v171, v175 dst_sel:DWORD dst_unused:UNUSED_PAD src0_sel:WORD_1 src1_sel:WORD_1
	v_or_b32_sdwa v176, v176, v177 dst_sel:DWORD dst_unused:UNUSED_PAD src0_sel:BYTE_0 src1_sel:DWORD
	v_or_b32_sdwa v119, v171, v119 dst_sel:WORD_1 dst_unused:UNUSED_PAD src0_sel:BYTE_0 src1_sel:DWORD
	v_or_b32_sdwa v175, v176, v119 dst_sel:DWORD dst_unused:UNUSED_PAD src0_sel:WORD_0 src1_sel:DWORD
	v_add3_u32 v119, v141, s21, v118
	v_add_u32_e32 v171, s24, v127
	ds_read_b32 v171, v171
	ds_read_u16 v119, v119 offset:8194
	v_mov_b32_e32 v177, 0
	v_dot4c_i32_i8_e32 v177, v167, v4
	v_dot4c_i32_i8_e32 v177, v168, v5
	;; [unrolled: 1-line block ×3, first 2 shown]
	s_waitcnt lgkmcnt(0)
	v_lshrrev_b16_e32 v178, 8, v119
	v_bfe_i32 v176, v119, 0, 8
	v_mov_b32_e32 v119, 0
	v_dot4c_i32_i8_e32 v119, v172, v0
	v_dot4c_i32_i8_e32 v119, v173, v1
	;; [unrolled: 1-line block ×5, first 2 shown]
	v_bfe_i32 v178, v178, 0, 8
	v_mul_lo_u32 v180, v177, v176
	s_nop 0
	v_mad_u64_u32 v[180:181], s[26:27], v119, v178, v[180:181]
	v_cvt_f32_i32_e32 v177, v180
	v_mul_f32_e32 v119, v116, v171
	v_fmac_f32_e32 v93, v119, v177
	v_add_u32_e32 v119, s23, v129
	ds_read2_b32 v[180:181], v119 offset1:1
	s_waitcnt lgkmcnt(0)
	v_ashrrev_i32_e32 v177, s20, v180
	v_add_u32_e32 v180, 0x4200, v188
	ds_read2_b32 v[182:183], v180 offset1:1
	v_and_b32_e32 v179, 0x3030303, v177
	v_bfe_u32 v177, v177, 24, 2
	s_waitcnt lgkmcnt(0)
	v_ashrrev_i32_e32 v180, s18, v182
	v_lshlrev_b32_e32 v180, 2, v180
	v_and_b32_e32 v180, 0x4040404, v180
	v_sub_u16_e32 v182, v179, v180
	v_sub_u16_sdwa v184, v179, v180 dst_sel:BYTE_1 dst_unused:UNUSED_PAD src0_sel:BYTE_1 src1_sel:BYTE_1
	v_sub_u16_sdwa v177, v177, v180 dst_sel:BYTE_1 dst_unused:UNUSED_PAD src0_sel:DWORD src1_sel:BYTE_3
	v_sub_u16_sdwa v179, v179, v180 dst_sel:DWORD dst_unused:UNUSED_PAD src0_sel:WORD_1 src1_sel:WORD_1
	v_or_b32_sdwa v177, v179, v177 dst_sel:WORD_1 dst_unused:UNUSED_PAD src0_sel:BYTE_0 src1_sel:DWORD
	v_ashrrev_i32_e32 v179, s20, v181
	v_ashrrev_i32_e32 v181, s18, v183
	v_lshlrev_b32_e32 v181, 2, v181
	v_or_b32_sdwa v182, v182, v184 dst_sel:DWORD dst_unused:UNUSED_PAD src0_sel:BYTE_0 src1_sel:DWORD
	v_and_b32_e32 v180, 0x3030303, v179
	v_bfe_u32 v179, v179, 24, 2
	v_and_b32_e32 v181, 0x4040404, v181
	v_or_b32_sdwa v177, v182, v177 dst_sel:DWORD dst_unused:UNUSED_PAD src0_sel:WORD_0 src1_sel:DWORD
	v_sub_u16_e32 v182, v180, v181
	v_sub_u16_sdwa v183, v180, v181 dst_sel:BYTE_1 dst_unused:UNUSED_PAD src0_sel:BYTE_1 src1_sel:BYTE_1
	v_sub_u16_sdwa v179, v179, v181 dst_sel:BYTE_1 dst_unused:UNUSED_PAD src0_sel:DWORD src1_sel:BYTE_3
	v_sub_u16_sdwa v180, v180, v181 dst_sel:DWORD dst_unused:UNUSED_PAD src0_sel:WORD_1 src1_sel:WORD_1
	v_or_b32_sdwa v182, v182, v183 dst_sel:DWORD dst_unused:UNUSED_PAD src0_sel:BYTE_0 src1_sel:DWORD
	v_or_b32_sdwa v179, v180, v179 dst_sel:WORD_1 dst_unused:UNUSED_PAD src0_sel:BYTE_0 src1_sel:DWORD
	v_or_b32_sdwa v179, v182, v179 dst_sel:DWORD dst_unused:UNUSED_PAD src0_sel:WORD_0 src1_sel:DWORD
	v_add_u32_e32 v182, 0x4208, v188
	ds_read2_b32 v[180:181], v119 offset0:2 offset1:3
	ds_read2_b32 v[182:183], v182 offset1:1
	s_waitcnt lgkmcnt(1)
	v_ashrrev_i32_e32 v180, s20, v180
	s_waitcnt lgkmcnt(0)
	v_ashrrev_i32_e32 v182, s18, v182
	v_lshlrev_b32_e32 v182, 2, v182
	v_and_b32_e32 v184, 0x3030303, v180
	v_bfe_u32 v180, v180, 24, 2
	v_and_b32_e32 v182, 0x4040404, v182
	v_ashrrev_i32_e32 v183, s18, v183
	v_sub_u16_e32 v185, v184, v182
	v_sub_u16_sdwa v186, v184, v182 dst_sel:BYTE_1 dst_unused:UNUSED_PAD src0_sel:BYTE_1 src1_sel:BYTE_1
	v_sub_u16_sdwa v180, v180, v182 dst_sel:BYTE_1 dst_unused:UNUSED_PAD src0_sel:DWORD src1_sel:BYTE_3
	v_sub_u16_sdwa v182, v184, v182 dst_sel:DWORD dst_unused:UNUSED_PAD src0_sel:WORD_1 src1_sel:WORD_1
	v_ashrrev_i32_e32 v181, s20, v181
	v_lshlrev_b32_e32 v183, 2, v183
	v_or_b32_sdwa v185, v185, v186 dst_sel:DWORD dst_unused:UNUSED_PAD src0_sel:BYTE_0 src1_sel:DWORD
	v_or_b32_sdwa v180, v182, v180 dst_sel:WORD_1 dst_unused:UNUSED_PAD src0_sel:BYTE_0 src1_sel:DWORD
	v_and_b32_e32 v182, 0x3030303, v181
	v_bfe_u32 v181, v181, 24, 2
	v_and_b32_e32 v183, 0x4040404, v183
	v_or_b32_sdwa v180, v185, v180 dst_sel:DWORD dst_unused:UNUSED_PAD src0_sel:WORD_0 src1_sel:DWORD
	v_sub_u16_e32 v184, v182, v183
	v_sub_u16_sdwa v185, v182, v183 dst_sel:BYTE_1 dst_unused:UNUSED_PAD src0_sel:BYTE_1 src1_sel:BYTE_1
	v_sub_u16_sdwa v181, v181, v183 dst_sel:BYTE_1 dst_unused:UNUSED_PAD src0_sel:DWORD src1_sel:BYTE_3
	v_sub_u16_sdwa v182, v182, v183 dst_sel:DWORD dst_unused:UNUSED_PAD src0_sel:WORD_1 src1_sel:WORD_1
	v_or_b32_sdwa v184, v184, v185 dst_sel:DWORD dst_unused:UNUSED_PAD src0_sel:BYTE_0 src1_sel:DWORD
	v_or_b32_sdwa v181, v182, v181 dst_sel:WORD_1 dst_unused:UNUSED_PAD src0_sel:BYTE_0 src1_sel:DWORD
	v_or_b32_sdwa v181, v184, v181 dst_sel:DWORD dst_unused:UNUSED_PAD src0_sel:WORD_0 src1_sel:DWORD
	v_add_u32_e32 v184, 0x4210, v188
	ds_read2_b32 v[182:183], v119 offset0:4 offset1:5
	ds_read2_b32 v[184:185], v184 offset1:1
	s_waitcnt lgkmcnt(1)
	v_ashrrev_i32_e32 v182, s20, v182
	s_waitcnt lgkmcnt(0)
	v_ashrrev_i32_e32 v184, s18, v184
	v_lshlrev_b32_e32 v184, 2, v184
	v_and_b32_e32 v186, 0x3030303, v182
	v_bfe_u32 v182, v182, 24, 2
	v_and_b32_e32 v184, 0x4040404, v184
	v_ashrrev_i32_e32 v185, s18, v185
	v_sub_u16_e32 v187, v186, v184
	v_sub_u16_sdwa v189, v186, v184 dst_sel:BYTE_1 dst_unused:UNUSED_PAD src0_sel:BYTE_1 src1_sel:BYTE_1
	v_sub_u16_sdwa v182, v182, v184 dst_sel:BYTE_1 dst_unused:UNUSED_PAD src0_sel:DWORD src1_sel:BYTE_3
	v_sub_u16_sdwa v184, v186, v184 dst_sel:DWORD dst_unused:UNUSED_PAD src0_sel:WORD_1 src1_sel:WORD_1
	v_ashrrev_i32_e32 v183, s20, v183
	v_lshlrev_b32_e32 v185, 2, v185
	v_or_b32_sdwa v187, v187, v189 dst_sel:DWORD dst_unused:UNUSED_PAD src0_sel:BYTE_0 src1_sel:DWORD
	v_or_b32_sdwa v182, v184, v182 dst_sel:WORD_1 dst_unused:UNUSED_PAD src0_sel:BYTE_0 src1_sel:DWORD
	v_and_b32_e32 v184, 0x3030303, v183
	v_bfe_u32 v183, v183, 24, 2
	v_and_b32_e32 v185, 0x4040404, v185
	v_or_b32_sdwa v182, v187, v182 dst_sel:DWORD dst_unused:UNUSED_PAD src0_sel:WORD_0 src1_sel:DWORD
	v_sub_u16_e32 v186, v184, v185
	v_sub_u16_sdwa v187, v184, v185 dst_sel:BYTE_1 dst_unused:UNUSED_PAD src0_sel:BYTE_1 src1_sel:BYTE_1
	v_sub_u16_sdwa v183, v183, v185 dst_sel:BYTE_1 dst_unused:UNUSED_PAD src0_sel:DWORD src1_sel:BYTE_3
	v_sub_u16_sdwa v184, v184, v185 dst_sel:DWORD dst_unused:UNUSED_PAD src0_sel:WORD_1 src1_sel:WORD_1
	v_or_b32_sdwa v186, v186, v187 dst_sel:DWORD dst_unused:UNUSED_PAD src0_sel:BYTE_0 src1_sel:DWORD
	v_or_b32_sdwa v183, v184, v183 dst_sel:WORD_1 dst_unused:UNUSED_PAD src0_sel:BYTE_0 src1_sel:DWORD
	v_add_u32_e32 v185, 0x4218, v188
	v_or_b32_sdwa v184, v186, v183 dst_sel:DWORD dst_unused:UNUSED_PAD src0_sel:WORD_0 src1_sel:DWORD
	ds_read2_b32 v[186:187], v119 offset0:6 offset1:7
	ds_read2_b32 v[188:189], v185 offset1:1
	s_waitcnt lgkmcnt(1)
	v_ashrrev_i32_e32 v119, s20, v186
	s_waitcnt lgkmcnt(0)
	v_ashrrev_i32_e32 v185, s18, v188
	v_lshlrev_b32_e32 v185, 2, v185
	v_and_b32_e32 v183, 0x3030303, v119
	v_bfe_u32 v119, v119, 24, 2
	v_and_b32_e32 v185, 0x4040404, v185
	v_sub_u16_e32 v186, v183, v185
	v_sub_u16_sdwa v188, v183, v185 dst_sel:BYTE_1 dst_unused:UNUSED_PAD src0_sel:BYTE_1 src1_sel:BYTE_1
	v_sub_u16_sdwa v119, v119, v185 dst_sel:BYTE_1 dst_unused:UNUSED_PAD src0_sel:DWORD src1_sel:BYTE_3
	v_sub_u16_sdwa v183, v183, v185 dst_sel:DWORD dst_unused:UNUSED_PAD src0_sel:WORD_1 src1_sel:WORD_1
	v_or_b32_sdwa v186, v186, v188 dst_sel:DWORD dst_unused:UNUSED_PAD src0_sel:BYTE_0 src1_sel:DWORD
	v_or_b32_sdwa v119, v183, v119 dst_sel:WORD_1 dst_unused:UNUSED_PAD src0_sel:BYTE_0 src1_sel:DWORD
	v_or_b32_sdwa v185, v186, v119 dst_sel:DWORD dst_unused:UNUSED_PAD src0_sel:WORD_0 src1_sel:DWORD
	v_ashrrev_i32_e32 v186, s18, v189
	v_ashrrev_i32_e32 v119, s20, v187
	v_lshlrev_b32_e32 v186, 2, v186
	v_and_b32_e32 v183, 0x3030303, v119
	v_bfe_u32 v119, v119, 24, 2
	v_and_b32_e32 v186, 0x4040404, v186
	v_sub_u16_e32 v187, v183, v186
	v_sub_u16_sdwa v188, v183, v186 dst_sel:BYTE_1 dst_unused:UNUSED_PAD src0_sel:BYTE_1 src1_sel:BYTE_1
	v_sub_u16_sdwa v119, v119, v186 dst_sel:BYTE_1 dst_unused:UNUSED_PAD src0_sel:DWORD src1_sel:BYTE_3
	v_sub_u16_sdwa v183, v183, v186 dst_sel:DWORD dst_unused:UNUSED_PAD src0_sel:WORD_1 src1_sel:WORD_1
	v_or_b32_sdwa v187, v187, v188 dst_sel:DWORD dst_unused:UNUSED_PAD src0_sel:BYTE_0 src1_sel:DWORD
	v_or_b32_sdwa v119, v183, v119 dst_sel:WORD_1 dst_unused:UNUSED_PAD src0_sel:BYTE_0 src1_sel:DWORD
	v_or_b32_sdwa v186, v187, v119 dst_sel:DWORD dst_unused:UNUSED_PAD src0_sel:WORD_0 src1_sel:DWORD
	v_add3_u32 v119, v143, s21, v118
	v_add_u32_e32 v183, s24, v130
	ds_read_b32 v183, v183
	ds_read_u16 v119, v119 offset:9218
	v_mov_b32_e32 v188, 0
	v_dot4c_i32_i8_e32 v188, v177, v4
	v_dot4c_i32_i8_e32 v188, v179, v5
	;; [unrolled: 1-line block ×3, first 2 shown]
	s_waitcnt lgkmcnt(0)
	v_lshrrev_b16_e32 v189, 8, v119
	v_bfe_i32 v187, v119, 0, 8
	v_mov_b32_e32 v119, 0
	v_dot4c_i32_i8_e32 v119, v182, v0
	v_dot4c_i32_i8_e32 v119, v184, v1
	;; [unrolled: 1-line block ×5, first 2 shown]
	v_bfe_i32 v189, v189, 0, 8
	v_mul_lo_u32 v188, v188, v187
	s_nop 0
	v_mad_u64_u32 v[190:191], s[26:27], v119, v189, v[188:189]
	v_cvt_f32_i32_e32 v188, v190
	v_mul_f32_e32 v119, v116, v183
	v_fmac_f32_e32 v83, v119, v188
	v_add_u32_e32 v119, s23, v132
	ds_read2_b32 v[190:191], v119 offset1:1
	s_waitcnt lgkmcnt(0)
	v_ashrrev_i32_e32 v188, s20, v190
	v_and_b32_e32 v190, 0x3030303, v188
	v_bfe_u32 v188, v188, 24, 2
	v_sub_u16_e32 v194, v190, v192
	v_sub_u16_sdwa v195, v190, v192 dst_sel:BYTE_1 dst_unused:UNUSED_PAD src0_sel:BYTE_1 src1_sel:BYTE_1
	v_sub_u16_sdwa v188, v188, v192 dst_sel:BYTE_1 dst_unused:UNUSED_PAD src0_sel:DWORD src1_sel:BYTE_3
	v_sub_u16_sdwa v190, v190, v192 dst_sel:DWORD dst_unused:UNUSED_PAD src0_sel:WORD_1 src1_sel:WORD_1
	v_ashrrev_i32_e32 v192, s18, v193
	v_or_b32_sdwa v188, v190, v188 dst_sel:WORD_1 dst_unused:UNUSED_PAD src0_sel:BYTE_0 src1_sel:DWORD
	v_ashrrev_i32_e32 v190, s20, v191
	v_lshlrev_b32_e32 v192, 2, v192
	v_or_b32_sdwa v194, v194, v195 dst_sel:DWORD dst_unused:UNUSED_PAD src0_sel:BYTE_0 src1_sel:DWORD
	v_and_b32_e32 v191, 0x3030303, v190
	v_bfe_u32 v190, v190, 24, 2
	v_and_b32_e32 v192, 0x4040404, v192
	v_or_b32_sdwa v188, v194, v188 dst_sel:DWORD dst_unused:UNUSED_PAD src0_sel:WORD_0 src1_sel:DWORD
	v_sub_u16_e32 v193, v191, v192
	v_sub_u16_sdwa v194, v191, v192 dst_sel:BYTE_1 dst_unused:UNUSED_PAD src0_sel:BYTE_1 src1_sel:BYTE_1
	v_sub_u16_sdwa v190, v190, v192 dst_sel:BYTE_1 dst_unused:UNUSED_PAD src0_sel:DWORD src1_sel:BYTE_3
	v_sub_u16_sdwa v191, v191, v192 dst_sel:DWORD dst_unused:UNUSED_PAD src0_sel:WORD_1 src1_sel:WORD_1
	v_or_b32_sdwa v193, v193, v194 dst_sel:DWORD dst_unused:UNUSED_PAD src0_sel:BYTE_0 src1_sel:DWORD
	v_or_b32_sdwa v190, v191, v190 dst_sel:WORD_1 dst_unused:UNUSED_PAD src0_sel:BYTE_0 src1_sel:DWORD
	v_add_u32_e32 v194, 0x4208, v198
	v_or_b32_sdwa v190, v193, v190 dst_sel:DWORD dst_unused:UNUSED_PAD src0_sel:WORD_0 src1_sel:DWORD
	ds_read2_b32 v[192:193], v119 offset0:2 offset1:3
	ds_read2_b32 v[194:195], v194 offset1:1
	s_waitcnt lgkmcnt(1)
	v_ashrrev_i32_e32 v191, s20, v192
	s_waitcnt lgkmcnt(0)
	v_ashrrev_i32_e32 v194, s18, v194
	v_lshlrev_b32_e32 v194, 2, v194
	v_and_b32_e32 v192, 0x3030303, v191
	v_bfe_u32 v191, v191, 24, 2
	v_and_b32_e32 v194, 0x4040404, v194
	v_sub_u16_e32 v196, v192, v194
	v_sub_u16_sdwa v197, v192, v194 dst_sel:BYTE_1 dst_unused:UNUSED_PAD src0_sel:BYTE_1 src1_sel:BYTE_1
	v_sub_u16_sdwa v191, v191, v194 dst_sel:BYTE_1 dst_unused:UNUSED_PAD src0_sel:DWORD src1_sel:BYTE_3
	v_sub_u16_sdwa v192, v192, v194 dst_sel:DWORD dst_unused:UNUSED_PAD src0_sel:WORD_1 src1_sel:WORD_1
	v_ashrrev_i32_e32 v194, s18, v195
	v_or_b32_sdwa v191, v192, v191 dst_sel:WORD_1 dst_unused:UNUSED_PAD src0_sel:BYTE_0 src1_sel:DWORD
	v_ashrrev_i32_e32 v192, s20, v193
	v_lshlrev_b32_e32 v194, 2, v194
	v_or_b32_sdwa v196, v196, v197 dst_sel:DWORD dst_unused:UNUSED_PAD src0_sel:BYTE_0 src1_sel:DWORD
	v_and_b32_e32 v193, 0x3030303, v192
	v_bfe_u32 v192, v192, 24, 2
	v_and_b32_e32 v194, 0x4040404, v194
	v_or_b32_sdwa v191, v196, v191 dst_sel:DWORD dst_unused:UNUSED_PAD src0_sel:WORD_0 src1_sel:DWORD
	v_sub_u16_e32 v195, v193, v194
	v_sub_u16_sdwa v196, v193, v194 dst_sel:BYTE_1 dst_unused:UNUSED_PAD src0_sel:BYTE_1 src1_sel:BYTE_1
	v_sub_u16_sdwa v192, v192, v194 dst_sel:BYTE_1 dst_unused:UNUSED_PAD src0_sel:DWORD src1_sel:BYTE_3
	v_sub_u16_sdwa v193, v193, v194 dst_sel:DWORD dst_unused:UNUSED_PAD src0_sel:WORD_1 src1_sel:WORD_1
	v_or_b32_sdwa v195, v195, v196 dst_sel:DWORD dst_unused:UNUSED_PAD src0_sel:BYTE_0 src1_sel:DWORD
	v_or_b32_sdwa v192, v193, v192 dst_sel:WORD_1 dst_unused:UNUSED_PAD src0_sel:BYTE_0 src1_sel:DWORD
	v_add_u32_e32 v196, 0x4210, v198
	v_or_b32_sdwa v192, v195, v192 dst_sel:DWORD dst_unused:UNUSED_PAD src0_sel:WORD_0 src1_sel:DWORD
	ds_read2_b32 v[194:195], v119 offset0:4 offset1:5
	ds_read2_b32 v[196:197], v196 offset1:1
	s_waitcnt lgkmcnt(1)
	v_ashrrev_i32_e32 v193, s20, v194
	s_waitcnt lgkmcnt(0)
	v_ashrrev_i32_e32 v196, s18, v196
	v_lshlrev_b32_e32 v196, 2, v196
	v_and_b32_e32 v194, 0x3030303, v193
	v_bfe_u32 v193, v193, 24, 2
	v_and_b32_e32 v196, 0x4040404, v196
	v_sub_u16_e32 v199, v194, v196
	v_sub_u16_sdwa v200, v194, v196 dst_sel:BYTE_1 dst_unused:UNUSED_PAD src0_sel:BYTE_1 src1_sel:BYTE_1
	v_sub_u16_sdwa v193, v193, v196 dst_sel:BYTE_1 dst_unused:UNUSED_PAD src0_sel:DWORD src1_sel:BYTE_3
	v_sub_u16_sdwa v194, v194, v196 dst_sel:DWORD dst_unused:UNUSED_PAD src0_sel:WORD_1 src1_sel:WORD_1
	v_ashrrev_i32_e32 v196, s18, v197
	v_or_b32_sdwa v193, v194, v193 dst_sel:WORD_1 dst_unused:UNUSED_PAD src0_sel:BYTE_0 src1_sel:DWORD
	v_ashrrev_i32_e32 v194, s20, v195
	v_lshlrev_b32_e32 v196, 2, v196
	v_or_b32_sdwa v199, v199, v200 dst_sel:DWORD dst_unused:UNUSED_PAD src0_sel:BYTE_0 src1_sel:DWORD
	v_and_b32_e32 v195, 0x3030303, v194
	v_bfe_u32 v194, v194, 24, 2
	v_and_b32_e32 v196, 0x4040404, v196
	v_or_b32_sdwa v193, v199, v193 dst_sel:DWORD dst_unused:UNUSED_PAD src0_sel:WORD_0 src1_sel:DWORD
	v_sub_u16_e32 v197, v195, v196
	v_sub_u16_sdwa v199, v195, v196 dst_sel:BYTE_1 dst_unused:UNUSED_PAD src0_sel:BYTE_1 src1_sel:BYTE_1
	v_sub_u16_sdwa v194, v194, v196 dst_sel:BYTE_1 dst_unused:UNUSED_PAD src0_sel:DWORD src1_sel:BYTE_3
	v_sub_u16_sdwa v195, v195, v196 dst_sel:DWORD dst_unused:UNUSED_PAD src0_sel:WORD_1 src1_sel:WORD_1
	v_or_b32_sdwa v197, v197, v199 dst_sel:DWORD dst_unused:UNUSED_PAD src0_sel:BYTE_0 src1_sel:DWORD
	v_or_b32_sdwa v194, v195, v194 dst_sel:WORD_1 dst_unused:UNUSED_PAD src0_sel:BYTE_0 src1_sel:DWORD
	v_or_b32_sdwa v195, v197, v194 dst_sel:DWORD dst_unused:UNUSED_PAD src0_sel:WORD_0 src1_sel:DWORD
	ds_read2_b32 v[196:197], v119 offset0:6 offset1:7
	s_waitcnt lgkmcnt(0)
	v_ashrrev_i32_e32 v119, s20, v196
	v_add_u32_e32 v196, 0x4218, v198
	ds_read2_b32 v[198:199], v196 offset1:1
	v_and_b32_e32 v194, 0x3030303, v119
	v_bfe_u32 v119, v119, 24, 2
	s_waitcnt lgkmcnt(0)
	v_ashrrev_i32_e32 v196, s18, v198
	v_lshlrev_b32_e32 v196, 2, v196
	v_and_b32_e32 v196, 0x4040404, v196
	v_sub_u16_e32 v198, v194, v196
	v_sub_u16_sdwa v200, v194, v196 dst_sel:BYTE_1 dst_unused:UNUSED_PAD src0_sel:BYTE_1 src1_sel:BYTE_1
	v_sub_u16_sdwa v119, v119, v196 dst_sel:BYTE_1 dst_unused:UNUSED_PAD src0_sel:DWORD src1_sel:BYTE_3
	v_sub_u16_sdwa v194, v194, v196 dst_sel:DWORD dst_unused:UNUSED_PAD src0_sel:WORD_1 src1_sel:WORD_1
	v_or_b32_sdwa v198, v198, v200 dst_sel:DWORD dst_unused:UNUSED_PAD src0_sel:BYTE_0 src1_sel:DWORD
	v_or_b32_sdwa v119, v194, v119 dst_sel:WORD_1 dst_unused:UNUSED_PAD src0_sel:BYTE_0 src1_sel:DWORD
	v_or_b32_sdwa v196, v198, v119 dst_sel:DWORD dst_unused:UNUSED_PAD src0_sel:WORD_0 src1_sel:DWORD
	v_ashrrev_i32_e32 v119, s20, v197
	v_ashrrev_i32_e32 v197, s18, v199
	v_lshlrev_b32_e32 v197, 2, v197
	v_and_b32_e32 v194, 0x3030303, v119
	v_bfe_u32 v119, v119, 24, 2
	v_and_b32_e32 v197, 0x4040404, v197
	v_sub_u16_e32 v198, v194, v197
	v_sub_u16_sdwa v199, v194, v197 dst_sel:BYTE_1 dst_unused:UNUSED_PAD src0_sel:BYTE_1 src1_sel:BYTE_1
	v_sub_u16_sdwa v119, v119, v197 dst_sel:BYTE_1 dst_unused:UNUSED_PAD src0_sel:DWORD src1_sel:BYTE_3
	v_sub_u16_sdwa v194, v194, v197 dst_sel:DWORD dst_unused:UNUSED_PAD src0_sel:WORD_1 src1_sel:WORD_1
	v_or_b32_sdwa v198, v198, v199 dst_sel:DWORD dst_unused:UNUSED_PAD src0_sel:BYTE_0 src1_sel:DWORD
	v_or_b32_sdwa v119, v194, v119 dst_sel:WORD_1 dst_unused:UNUSED_PAD src0_sel:BYTE_0 src1_sel:DWORD
	v_or_b32_sdwa v197, v198, v119 dst_sel:DWORD dst_unused:UNUSED_PAD src0_sel:WORD_0 src1_sel:DWORD
	v_add3_u32 v119, v145, s21, v118
	v_add_u32_e32 v194, s24, v133
	ds_read_b32 v194, v194
	ds_read_u16 v119, v119 offset:10242
	v_mov_b32_e32 v199, 0
	v_dot4c_i32_i8_e32 v199, v188, v4
	v_dot4c_i32_i8_e32 v199, v190, v5
	;; [unrolled: 1-line block ×3, first 2 shown]
	s_waitcnt lgkmcnt(0)
	v_lshrrev_b16_e32 v200, 8, v119
	v_bfe_i32 v198, v119, 0, 8
	v_mov_b32_e32 v119, 0
	v_dot4c_i32_i8_e32 v119, v193, v0
	v_dot4c_i32_i8_e32 v119, v195, v1
	;; [unrolled: 1-line block ×5, first 2 shown]
	v_bfe_i32 v200, v200, 0, 8
	v_mul_lo_u32 v202, v199, v198
	v_add3_u32 v118, v147, s21, v118
	v_mad_u64_u32 v[202:203], s[26:27], v119, v200, v[202:203]
	v_cvt_f32_i32_e32 v199, v202
	v_mul_f32_e32 v119, v116, v194
	s_mov_b32 s21, s20
	v_fmac_f32_e32 v81, v119, v199
	v_add_u32_e32 v119, s23, v135
	ds_read2_b32 v[202:203], v119 offset1:1
	s_waitcnt lgkmcnt(0)
	v_ashrrev_i32_e32 v199, s20, v202
	v_add_u32_e32 v202, 0x4200, v210
	ds_read2_b32 v[204:205], v202 offset1:1
	v_and_b32_e32 v201, 0x3030303, v199
	v_bfe_u32 v199, v199, 24, 2
	s_waitcnt lgkmcnt(0)
	v_ashrrev_i32_e32 v202, s18, v204
	v_lshlrev_b32_e32 v202, 2, v202
	v_and_b32_e32 v202, 0x4040404, v202
	v_sub_u16_e32 v204, v201, v202
	v_sub_u16_sdwa v206, v201, v202 dst_sel:BYTE_1 dst_unused:UNUSED_PAD src0_sel:BYTE_1 src1_sel:BYTE_1
	v_sub_u16_sdwa v199, v199, v202 dst_sel:BYTE_1 dst_unused:UNUSED_PAD src0_sel:DWORD src1_sel:BYTE_3
	v_sub_u16_sdwa v201, v201, v202 dst_sel:DWORD dst_unused:UNUSED_PAD src0_sel:WORD_1 src1_sel:WORD_1
	v_or_b32_sdwa v199, v201, v199 dst_sel:WORD_1 dst_unused:UNUSED_PAD src0_sel:BYTE_0 src1_sel:DWORD
	v_ashrrev_i32_e32 v201, s20, v203
	v_ashrrev_i32_e32 v203, s18, v205
	v_lshlrev_b32_e32 v203, 2, v203
	v_or_b32_sdwa v204, v204, v206 dst_sel:DWORD dst_unused:UNUSED_PAD src0_sel:BYTE_0 src1_sel:DWORD
	v_and_b32_e32 v202, 0x3030303, v201
	v_bfe_u32 v201, v201, 24, 2
	v_and_b32_e32 v203, 0x4040404, v203
	v_or_b32_sdwa v199, v204, v199 dst_sel:DWORD dst_unused:UNUSED_PAD src0_sel:WORD_0 src1_sel:DWORD
	v_sub_u16_e32 v204, v202, v203
	v_sub_u16_sdwa v205, v202, v203 dst_sel:BYTE_1 dst_unused:UNUSED_PAD src0_sel:BYTE_1 src1_sel:BYTE_1
	v_sub_u16_sdwa v201, v201, v203 dst_sel:BYTE_1 dst_unused:UNUSED_PAD src0_sel:DWORD src1_sel:BYTE_3
	v_sub_u16_sdwa v202, v202, v203 dst_sel:DWORD dst_unused:UNUSED_PAD src0_sel:WORD_1 src1_sel:WORD_1
	v_or_b32_sdwa v204, v204, v205 dst_sel:DWORD dst_unused:UNUSED_PAD src0_sel:BYTE_0 src1_sel:DWORD
	v_or_b32_sdwa v201, v202, v201 dst_sel:WORD_1 dst_unused:UNUSED_PAD src0_sel:BYTE_0 src1_sel:DWORD
	v_or_b32_sdwa v201, v204, v201 dst_sel:DWORD dst_unused:UNUSED_PAD src0_sel:WORD_0 src1_sel:DWORD
	v_add_u32_e32 v204, 0x4208, v210
	ds_read2_b32 v[202:203], v119 offset0:2 offset1:3
	ds_read2_b32 v[204:205], v204 offset1:1
	s_waitcnt lgkmcnt(1)
	v_ashrrev_i32_e32 v202, s20, v202
	s_waitcnt lgkmcnt(0)
	v_ashrrev_i32_e32 v204, s18, v204
	v_lshlrev_b32_e32 v204, 2, v204
	v_and_b32_e32 v206, 0x3030303, v202
	v_bfe_u32 v202, v202, 24, 2
	v_and_b32_e32 v204, 0x4040404, v204
	v_ashrrev_i32_e32 v205, s18, v205
	v_sub_u16_e32 v207, v206, v204
	v_sub_u16_sdwa v208, v206, v204 dst_sel:BYTE_1 dst_unused:UNUSED_PAD src0_sel:BYTE_1 src1_sel:BYTE_1
	v_sub_u16_sdwa v202, v202, v204 dst_sel:BYTE_1 dst_unused:UNUSED_PAD src0_sel:DWORD src1_sel:BYTE_3
	v_sub_u16_sdwa v204, v206, v204 dst_sel:DWORD dst_unused:UNUSED_PAD src0_sel:WORD_1 src1_sel:WORD_1
	v_ashrrev_i32_e32 v203, s20, v203
	v_lshlrev_b32_e32 v205, 2, v205
	v_or_b32_sdwa v207, v207, v208 dst_sel:DWORD dst_unused:UNUSED_PAD src0_sel:BYTE_0 src1_sel:DWORD
	v_or_b32_sdwa v202, v204, v202 dst_sel:WORD_1 dst_unused:UNUSED_PAD src0_sel:BYTE_0 src1_sel:DWORD
	v_and_b32_e32 v204, 0x3030303, v203
	v_bfe_u32 v203, v203, 24, 2
	v_and_b32_e32 v205, 0x4040404, v205
	v_or_b32_sdwa v202, v207, v202 dst_sel:DWORD dst_unused:UNUSED_PAD src0_sel:WORD_0 src1_sel:DWORD
	v_sub_u16_e32 v206, v204, v205
	v_sub_u16_sdwa v207, v204, v205 dst_sel:BYTE_1 dst_unused:UNUSED_PAD src0_sel:BYTE_1 src1_sel:BYTE_1
	v_sub_u16_sdwa v203, v203, v205 dst_sel:BYTE_1 dst_unused:UNUSED_PAD src0_sel:DWORD src1_sel:BYTE_3
	v_sub_u16_sdwa v204, v204, v205 dst_sel:DWORD dst_unused:UNUSED_PAD src0_sel:WORD_1 src1_sel:WORD_1
	v_or_b32_sdwa v206, v206, v207 dst_sel:DWORD dst_unused:UNUSED_PAD src0_sel:BYTE_0 src1_sel:DWORD
	v_or_b32_sdwa v203, v204, v203 dst_sel:WORD_1 dst_unused:UNUSED_PAD src0_sel:BYTE_0 src1_sel:DWORD
	v_or_b32_sdwa v203, v206, v203 dst_sel:DWORD dst_unused:UNUSED_PAD src0_sel:WORD_0 src1_sel:DWORD
	v_add_u32_e32 v206, 0x4210, v210
	ds_read2_b32 v[204:205], v119 offset0:4 offset1:5
	ds_read2_b32 v[206:207], v206 offset1:1
	s_waitcnt lgkmcnt(1)
	v_ashrrev_i32_e32 v204, s20, v204
	s_waitcnt lgkmcnt(0)
	v_ashrrev_i32_e32 v206, s18, v206
	v_lshlrev_b32_e32 v206, 2, v206
	v_and_b32_e32 v208, 0x3030303, v204
	v_bfe_u32 v204, v204, 24, 2
	v_and_b32_e32 v206, 0x4040404, v206
	v_ashrrev_i32_e32 v207, s18, v207
	v_sub_u16_e32 v209, v208, v206
	v_sub_u16_sdwa v211, v208, v206 dst_sel:BYTE_1 dst_unused:UNUSED_PAD src0_sel:BYTE_1 src1_sel:BYTE_1
	v_sub_u16_sdwa v204, v204, v206 dst_sel:BYTE_1 dst_unused:UNUSED_PAD src0_sel:DWORD src1_sel:BYTE_3
	v_sub_u16_sdwa v206, v208, v206 dst_sel:DWORD dst_unused:UNUSED_PAD src0_sel:WORD_1 src1_sel:WORD_1
	v_ashrrev_i32_e32 v205, s20, v205
	v_lshlrev_b32_e32 v207, 2, v207
	v_or_b32_sdwa v209, v209, v211 dst_sel:DWORD dst_unused:UNUSED_PAD src0_sel:BYTE_0 src1_sel:DWORD
	v_or_b32_sdwa v204, v206, v204 dst_sel:WORD_1 dst_unused:UNUSED_PAD src0_sel:BYTE_0 src1_sel:DWORD
	v_and_b32_e32 v206, 0x3030303, v205
	v_bfe_u32 v205, v205, 24, 2
	v_and_b32_e32 v207, 0x4040404, v207
	v_or_b32_sdwa v204, v209, v204 dst_sel:DWORD dst_unused:UNUSED_PAD src0_sel:WORD_0 src1_sel:DWORD
	v_sub_u16_e32 v208, v206, v207
	v_sub_u16_sdwa v209, v206, v207 dst_sel:BYTE_1 dst_unused:UNUSED_PAD src0_sel:BYTE_1 src1_sel:BYTE_1
	v_sub_u16_sdwa v205, v205, v207 dst_sel:BYTE_1 dst_unused:UNUSED_PAD src0_sel:DWORD src1_sel:BYTE_3
	v_sub_u16_sdwa v206, v206, v207 dst_sel:DWORD dst_unused:UNUSED_PAD src0_sel:WORD_1 src1_sel:WORD_1
	v_or_b32_sdwa v208, v208, v209 dst_sel:DWORD dst_unused:UNUSED_PAD src0_sel:BYTE_0 src1_sel:DWORD
	v_or_b32_sdwa v205, v206, v205 dst_sel:WORD_1 dst_unused:UNUSED_PAD src0_sel:BYTE_0 src1_sel:DWORD
	v_add_u32_e32 v207, 0x4218, v210
	v_or_b32_sdwa v206, v208, v205 dst_sel:DWORD dst_unused:UNUSED_PAD src0_sel:WORD_0 src1_sel:DWORD
	ds_read2_b32 v[208:209], v119 offset0:6 offset1:7
	ds_read2_b32 v[210:211], v207 offset1:1
	s_waitcnt lgkmcnt(1)
	v_ashrrev_i32_e32 v119, s20, v208
	s_waitcnt lgkmcnt(0)
	v_ashrrev_i32_e32 v207, s18, v210
	v_lshlrev_b32_e32 v207, 2, v207
	v_and_b32_e32 v205, 0x3030303, v119
	v_bfe_u32 v119, v119, 24, 2
	v_and_b32_e32 v207, 0x4040404, v207
	v_sub_u16_e32 v208, v205, v207
	v_sub_u16_sdwa v210, v205, v207 dst_sel:BYTE_1 dst_unused:UNUSED_PAD src0_sel:BYTE_1 src1_sel:BYTE_1
	v_sub_u16_sdwa v119, v119, v207 dst_sel:BYTE_1 dst_unused:UNUSED_PAD src0_sel:DWORD src1_sel:BYTE_3
	v_sub_u16_sdwa v205, v205, v207 dst_sel:DWORD dst_unused:UNUSED_PAD src0_sel:WORD_1 src1_sel:WORD_1
	v_or_b32_sdwa v208, v208, v210 dst_sel:DWORD dst_unused:UNUSED_PAD src0_sel:BYTE_0 src1_sel:DWORD
	v_or_b32_sdwa v119, v205, v119 dst_sel:WORD_1 dst_unused:UNUSED_PAD src0_sel:BYTE_0 src1_sel:DWORD
	v_or_b32_sdwa v207, v208, v119 dst_sel:DWORD dst_unused:UNUSED_PAD src0_sel:WORD_0 src1_sel:DWORD
	v_ashrrev_i32_e32 v208, s18, v211
	v_ashrrev_i32_e32 v119, s20, v209
	v_lshlrev_b32_e32 v208, 2, v208
	v_and_b32_e32 v205, 0x3030303, v119
	v_bfe_u32 v119, v119, 24, 2
	v_and_b32_e32 v208, 0x4040404, v208
	v_sub_u16_e32 v209, v205, v208
	v_sub_u16_sdwa v210, v205, v208 dst_sel:BYTE_1 dst_unused:UNUSED_PAD src0_sel:BYTE_1 src1_sel:BYTE_1
	v_sub_u16_sdwa v119, v119, v208 dst_sel:BYTE_1 dst_unused:UNUSED_PAD src0_sel:DWORD src1_sel:BYTE_3
	v_sub_u16_sdwa v205, v205, v208 dst_sel:DWORD dst_unused:UNUSED_PAD src0_sel:WORD_1 src1_sel:WORD_1
	v_or_b32_sdwa v209, v209, v210 dst_sel:DWORD dst_unused:UNUSED_PAD src0_sel:BYTE_0 src1_sel:DWORD
	v_or_b32_sdwa v119, v205, v119 dst_sel:WORD_1 dst_unused:UNUSED_PAD src0_sel:BYTE_0 src1_sel:DWORD
	v_or_b32_sdwa v208, v209, v119 dst_sel:DWORD dst_unused:UNUSED_PAD src0_sel:WORD_0 src1_sel:DWORD
	v_add_u32_e32 v119, s24, v136
	ds_read_b32 v205, v119
	v_mov_b32_e32 v119, 0
	v_dot4c_i32_i8_e32 v119, v199, v4
	ds_read_u16 v4, v118 offset:11266
	v_dot4c_i32_i8_e32 v119, v201, v5
	v_dot4c_i32_i8_e32 v119, v202, v6
	v_mov_b32_e32 v6, 0
	v_dot4c_i32_i8_e32 v6, v204, v0
	v_dot4c_i32_i8_e32 v6, v206, v1
	;; [unrolled: 1-line block ×3, first 2 shown]
	s_waitcnt lgkmcnt(0)
	v_lshrrev_b16_e32 v5, 8, v4
	v_bfe_i32 v209, v4, 0, 8
	v_dot4c_i32_i8_e32 v6, v207, v2
	v_mul_lo_u32 v4, v119, v209
	v_dot4c_i32_i8_e32 v6, v208, v3
	v_bfe_i32 v210, v5, 0, 8
	v_mov_b32_e32 v118, 0
	s_add_i32 s18, s18, 1
	v_mad_u64_u32 v[0:1], s[22:23], v6, v210, v[4:5]
	v_cvt_f32_i32_e32 v0, v0
	v_mul_f32_e32 v1, v116, v205
	v_mov_b32_e32 v116, 0
	s_cmp_lt_u32 s20, 6
	v_fmac_f32_e32 v79, v1, v0
	ds_read_b128 v[0:3], v165 offset:26368
	ds_read_b128 v[4:7], v165 offset:26384
	s_waitcnt lgkmcnt(1)
	v_dot4c_i32_i8_e32 v116, v167, v0
	v_dot4c_i32_i8_e32 v116, v168, v1
	s_waitcnt lgkmcnt(0)
	v_dot4c_i32_i8_e32 v118, v172, v4
	v_dot4c_i32_i8_e32 v116, v169, v2
	;; [unrolled: 1-line block ×6, first 2 shown]
	s_nop 0
	v_mul_lo_u32 v116, v116, v176
	s_nop 0
	v_mad_u64_u32 v[118:119], s[22:23], v118, v178, v[116:117]
	v_cvt_f32_i32_e32 v118, v118
	v_mul_f32_e32 v116, v171, v117
	v_fmac_f32_e32 v71, v116, v118
	v_mov_b32_e32 v116, 0
	v_dot4c_i32_i8_e32 v116, v177, v0
	v_mov_b32_e32 v118, 0
	v_dot4c_i32_i8_e32 v116, v179, v1
	v_dot4c_i32_i8_e32 v118, v182, v4
	;; [unrolled: 1-line block ×7, first 2 shown]
	s_nop 0
	v_mul_lo_u32 v116, v116, v187
	s_nop 0
	v_mad_u64_u32 v[118:119], s[22:23], v118, v189, v[116:117]
	v_cvt_f32_i32_e32 v118, v118
	v_mul_f32_e32 v116, v183, v117
	v_fmac_f32_e32 v69, v116, v118
	v_mov_b32_e32 v116, 0
	v_dot4c_i32_i8_e32 v116, v188, v0
	v_mov_b32_e32 v118, 0
	v_dot4c_i32_i8_e32 v116, v190, v1
	v_dot4c_i32_i8_e32 v118, v193, v4
	;; [unrolled: 1-line block ×7, first 2 shown]
	s_nop 0
	v_mul_lo_u32 v116, v116, v198
	s_nop 0
	v_mad_u64_u32 v[118:119], s[22:23], v118, v200, v[116:117]
	v_cvt_f32_i32_e32 v118, v118
	v_mul_f32_e32 v116, v194, v117
	v_fmac_f32_e32 v67, v116, v118
	v_mov_b32_e32 v116, 0
	v_dot4c_i32_i8_e32 v116, v199, v0
	v_dot4c_i32_i8_e32 v116, v201, v1
	v_mov_b32_e32 v1, 0
	v_dot4c_i32_i8_e32 v1, v204, v4
	v_dot4c_i32_i8_e32 v116, v202, v2
	;; [unrolled: 1-line block ×6, first 2 shown]
	s_nop 0
	v_mul_lo_u32 v0, v116, v209
	s_nop 0
	v_mad_u64_u32 v[0:1], s[22:23], v1, v210, v[0:1]
	v_cvt_f32_i32_e32 v0, v0
	v_mul_f32_e32 v1, v205, v117
	v_fmac_f32_e32 v65, v1, v0
	v_add_u32_e32 v0, 0x9800, v166
	ds_read2_b32 v[6:7], v0 offset0:40 offset1:72
	ds_read_b128 v[2:5], v165 offset:27392
	ds_read_b128 v[116:119], v165 offset:27408
	v_mov_b32_e32 v1, 0
	v_add_u32_e32 v166, 4, v166
	s_waitcnt lgkmcnt(1)
	v_dot4c_i32_i8_e32 v1, v167, v2
	v_dot4c_i32_i8_e32 v1, v168, v3
	;; [unrolled: 1-line block ×4, first 2 shown]
	s_nop 2
	v_mul_lo_u32 v212, v1, v176
	v_mov_b32_e32 v1, 0
	s_waitcnt lgkmcnt(0)
	v_dot4c_i32_i8_e32 v1, v172, v116
	v_dot4c_i32_i8_e32 v1, v173, v117
	;; [unrolled: 1-line block ×4, first 2 shown]
	s_nop 2
	v_mad_u64_u32 v[212:213], s[22:23], v1, v178, v[212:213]
	v_cvt_f32_i32_e32 v211, v212
	v_mul_f32_e32 v1, v171, v6
	v_fmac_f32_e32 v61, v1, v211
	v_mov_b32_e32 v1, 0
	v_dot4c_i32_i8_e32 v1, v177, v2
	v_dot4c_i32_i8_e32 v1, v179, v3
	;; [unrolled: 1-line block ×4, first 2 shown]
	s_nop 2
	v_mul_lo_u32 v212, v1, v187
	v_mov_b32_e32 v1, 0
	v_dot4c_i32_i8_e32 v1, v182, v116
	v_dot4c_i32_i8_e32 v1, v184, v117
	;; [unrolled: 1-line block ×4, first 2 shown]
	s_nop 2
	v_mad_u64_u32 v[212:213], s[22:23], v1, v189, v[212:213]
	v_cvt_f32_i32_e32 v211, v212
	v_mul_f32_e32 v1, v183, v6
	v_fmac_f32_e32 v57, v1, v211
	v_mov_b32_e32 v1, 0
	v_dot4c_i32_i8_e32 v1, v188, v2
	v_dot4c_i32_i8_e32 v1, v190, v3
	;; [unrolled: 1-line block ×4, first 2 shown]
	s_nop 2
	v_mul_lo_u32 v212, v1, v198
	v_mov_b32_e32 v1, 0
	v_dot4c_i32_i8_e32 v1, v193, v116
	v_dot4c_i32_i8_e32 v1, v195, v117
	;; [unrolled: 1-line block ×4, first 2 shown]
	s_nop 2
	v_mad_u64_u32 v[212:213], s[22:23], v1, v200, v[212:213]
	v_cvt_f32_i32_e32 v211, v212
	v_mul_f32_e32 v1, v194, v6
	v_fmac_f32_e32 v55, v1, v211
	v_mov_b32_e32 v1, 0
	v_dot4c_i32_i8_e32 v1, v199, v2
	v_dot4c_i32_i8_e32 v1, v201, v3
	;; [unrolled: 1-line block ×4, first 2 shown]
                                        ; kill: def $vgpr3 killed $sgpr0 killed $exec
	s_nop 2
	v_mul_lo_u32 v2, v1, v209
	v_mov_b32_e32 v1, 0
	v_dot4c_i32_i8_e32 v1, v204, v116
	v_dot4c_i32_i8_e32 v1, v206, v117
	;; [unrolled: 1-line block ×4, first 2 shown]
	s_nop 2
	v_mad_u64_u32 v[2:3], s[22:23], v1, v210, v[2:3]
	v_cvt_f32_i32_e32 v2, v2
	v_mul_f32_e32 v1, v205, v6
	v_fmac_f32_e32 v53, v1, v2
	ds_read_b128 v[2:5], v165 offset:28416
	ds_read_b128 v[116:119], v165 offset:28432
	v_mov_b32_e32 v1, 0
	s_waitcnt lgkmcnt(1)
	v_dot4c_i32_i8_e32 v1, v167, v2
	v_dot4c_i32_i8_e32 v1, v168, v3
	;; [unrolled: 1-line block ×4, first 2 shown]
	s_nop 2
	v_mul_lo_u32 v6, v1, v176
	v_mov_b32_e32 v1, 0
	s_waitcnt lgkmcnt(0)
	v_dot4c_i32_i8_e32 v1, v172, v116
	v_dot4c_i32_i8_e32 v1, v173, v117
	v_dot4c_i32_i8_e32 v1, v174, v118
	v_dot4c_i32_i8_e32 v1, v175, v119
	s_nop 2
	v_mad_u64_u32 v[212:213], s[22:23], v1, v178, v[6:7]
	v_cvt_f32_i32_e32 v6, v212
	v_mul_f32_e32 v1, v171, v7
	v_fmac_f32_e32 v51, v1, v6
	v_mov_b32_e32 v1, 0
	v_dot4c_i32_i8_e32 v1, v177, v2
	v_dot4c_i32_i8_e32 v1, v179, v3
	v_dot4c_i32_i8_e32 v1, v180, v4
	v_dot4c_i32_i8_e32 v1, v181, v5
	s_nop 2
	v_mul_lo_u32 v6, v1, v187
	v_mov_b32_e32 v1, 0
	v_dot4c_i32_i8_e32 v1, v182, v116
	v_dot4c_i32_i8_e32 v1, v184, v117
	v_dot4c_i32_i8_e32 v1, v185, v118
	v_dot4c_i32_i8_e32 v1, v186, v119
	s_nop 2
	v_mad_u64_u32 v[212:213], s[22:23], v1, v189, v[6:7]
	v_cvt_f32_i32_e32 v6, v212
	v_mul_f32_e32 v1, v183, v7
	v_fmac_f32_e32 v49, v1, v6
	v_mov_b32_e32 v1, 0
	v_dot4c_i32_i8_e32 v1, v188, v2
	v_dot4c_i32_i8_e32 v1, v190, v3
	;; [unrolled: 1-line block ×4, first 2 shown]
	s_nop 2
	v_mul_lo_u32 v6, v1, v198
	v_mov_b32_e32 v1, 0
	v_dot4c_i32_i8_e32 v1, v193, v116
	v_dot4c_i32_i8_e32 v1, v195, v117
	;; [unrolled: 1-line block ×4, first 2 shown]
	s_nop 2
	v_mad_u64_u32 v[212:213], s[22:23], v1, v200, v[6:7]
	v_cvt_f32_i32_e32 v6, v212
	v_mul_f32_e32 v1, v194, v7
	v_fmac_f32_e32 v47, v1, v6
	v_mov_b32_e32 v1, 0
	v_dot4c_i32_i8_e32 v1, v199, v2
	v_dot4c_i32_i8_e32 v1, v201, v3
	;; [unrolled: 1-line block ×4, first 2 shown]
                                        ; kill: def $vgpr3 killed $sgpr0 killed $exec
	s_nop 2
	v_mul_lo_u32 v2, v1, v209
	v_mov_b32_e32 v1, 0
	v_dot4c_i32_i8_e32 v1, v204, v116
	v_dot4c_i32_i8_e32 v1, v206, v117
	;; [unrolled: 1-line block ×4, first 2 shown]
	s_nop 2
	v_mad_u64_u32 v[2:3], s[22:23], v1, v210, v[2:3]
	v_cvt_f32_i32_e32 v2, v2
	v_mul_f32_e32 v1, v205, v7
	v_fmac_f32_e32 v45, v1, v2
	ds_read2_b32 v[6:7], v0 offset0:104 offset1:136
	ds_read_b128 v[2:5], v165 offset:29440
	ds_read_b128 v[116:119], v165 offset:29456
	v_mov_b32_e32 v1, 0
	s_waitcnt lgkmcnt(1)
	v_dot4c_i32_i8_e32 v1, v167, v2
	v_dot4c_i32_i8_e32 v1, v168, v3
	v_dot4c_i32_i8_e32 v1, v169, v4
	v_dot4c_i32_i8_e32 v1, v170, v5
	s_nop 2
	v_mul_lo_u32 v212, v1, v176
	v_mov_b32_e32 v1, 0
	s_waitcnt lgkmcnt(0)
	v_dot4c_i32_i8_e32 v1, v172, v116
	v_dot4c_i32_i8_e32 v1, v173, v117
	;; [unrolled: 1-line block ×4, first 2 shown]
	s_nop 2
	v_mad_u64_u32 v[212:213], s[22:23], v1, v178, v[212:213]
	v_cvt_f32_i32_e32 v211, v212
	v_mul_f32_e32 v1, v171, v6
	v_fmac_f32_e32 v43, v1, v211
	v_mov_b32_e32 v1, 0
	v_dot4c_i32_i8_e32 v1, v177, v2
	v_dot4c_i32_i8_e32 v1, v179, v3
	;; [unrolled: 1-line block ×4, first 2 shown]
	s_nop 2
	v_mul_lo_u32 v212, v1, v187
	v_mov_b32_e32 v1, 0
	v_dot4c_i32_i8_e32 v1, v182, v116
	v_dot4c_i32_i8_e32 v1, v184, v117
	;; [unrolled: 1-line block ×4, first 2 shown]
	s_nop 2
	v_mad_u64_u32 v[212:213], s[22:23], v1, v189, v[212:213]
	v_cvt_f32_i32_e32 v211, v212
	v_mul_f32_e32 v1, v183, v6
	v_fmac_f32_e32 v39, v1, v211
	v_mov_b32_e32 v1, 0
	v_dot4c_i32_i8_e32 v1, v188, v2
	v_dot4c_i32_i8_e32 v1, v190, v3
	;; [unrolled: 1-line block ×4, first 2 shown]
	s_nop 2
	v_mul_lo_u32 v212, v1, v198
	v_mov_b32_e32 v1, 0
	v_dot4c_i32_i8_e32 v1, v193, v116
	v_dot4c_i32_i8_e32 v1, v195, v117
	;; [unrolled: 1-line block ×4, first 2 shown]
	s_nop 2
	v_mad_u64_u32 v[212:213], s[22:23], v1, v200, v[212:213]
	v_cvt_f32_i32_e32 v211, v212
	v_mul_f32_e32 v1, v194, v6
	v_fmac_f32_e32 v35, v1, v211
	v_mov_b32_e32 v1, 0
	v_dot4c_i32_i8_e32 v1, v199, v2
	v_dot4c_i32_i8_e32 v1, v201, v3
	;; [unrolled: 1-line block ×4, first 2 shown]
                                        ; kill: def $vgpr3 killed $sgpr0 killed $exec
	s_nop 2
	v_mul_lo_u32 v2, v1, v209
	v_mov_b32_e32 v1, 0
	v_dot4c_i32_i8_e32 v1, v204, v116
	v_dot4c_i32_i8_e32 v1, v206, v117
	;; [unrolled: 1-line block ×4, first 2 shown]
	s_nop 2
	v_mad_u64_u32 v[2:3], s[22:23], v1, v210, v[2:3]
	v_cvt_f32_i32_e32 v2, v2
	v_mul_f32_e32 v1, v205, v6
	v_fmac_f32_e32 v33, v1, v2
	ds_read_b128 v[2:5], v165 offset:30464
	ds_read_b128 v[116:119], v165 offset:30480
	v_mov_b32_e32 v1, 0
	s_waitcnt lgkmcnt(1)
	v_dot4c_i32_i8_e32 v1, v167, v2
	v_dot4c_i32_i8_e32 v1, v168, v3
	;; [unrolled: 1-line block ×4, first 2 shown]
	s_nop 2
	v_mul_lo_u32 v6, v1, v176
	v_mov_b32_e32 v1, 0
	s_waitcnt lgkmcnt(0)
	v_dot4c_i32_i8_e32 v1, v172, v116
	v_dot4c_i32_i8_e32 v1, v173, v117
	;; [unrolled: 1-line block ×4, first 2 shown]
	s_nop 2
	v_mad_u64_u32 v[212:213], s[22:23], v1, v178, v[6:7]
	v_cvt_f32_i32_e32 v6, v212
	v_mul_f32_e32 v1, v171, v7
	v_fmac_f32_e32 v31, v1, v6
	v_mov_b32_e32 v1, 0
	v_dot4c_i32_i8_e32 v1, v177, v2
	v_dot4c_i32_i8_e32 v1, v179, v3
	v_dot4c_i32_i8_e32 v1, v180, v4
	v_dot4c_i32_i8_e32 v1, v181, v5
	s_nop 2
	v_mul_lo_u32 v6, v1, v187
	v_mov_b32_e32 v1, 0
	v_dot4c_i32_i8_e32 v1, v182, v116
	v_dot4c_i32_i8_e32 v1, v184, v117
	;; [unrolled: 1-line block ×4, first 2 shown]
	s_nop 2
	v_mad_u64_u32 v[212:213], s[22:23], v1, v189, v[6:7]
	v_cvt_f32_i32_e32 v6, v212
	v_mul_f32_e32 v1, v183, v7
	v_fmac_f32_e32 v29, v1, v6
	v_mov_b32_e32 v1, 0
	v_dot4c_i32_i8_e32 v1, v188, v2
	v_dot4c_i32_i8_e32 v1, v190, v3
	;; [unrolled: 1-line block ×4, first 2 shown]
	s_nop 2
	v_mul_lo_u32 v6, v1, v198
	v_mov_b32_e32 v1, 0
	v_dot4c_i32_i8_e32 v1, v193, v116
	v_dot4c_i32_i8_e32 v1, v195, v117
	;; [unrolled: 1-line block ×4, first 2 shown]
	s_nop 2
	v_mad_u64_u32 v[212:213], s[22:23], v1, v200, v[6:7]
	v_cvt_f32_i32_e32 v6, v212
	v_mul_f32_e32 v1, v194, v7
	v_fmac_f32_e32 v27, v1, v6
	v_mov_b32_e32 v1, 0
	v_dot4c_i32_i8_e32 v1, v199, v2
	v_dot4c_i32_i8_e32 v1, v201, v3
	;; [unrolled: 1-line block ×4, first 2 shown]
                                        ; kill: def $vgpr3 killed $sgpr0 killed $exec
	s_nop 2
	v_mul_lo_u32 v2, v1, v209
	v_mov_b32_e32 v1, 0
	v_dot4c_i32_i8_e32 v1, v204, v116
	v_dot4c_i32_i8_e32 v1, v206, v117
	v_dot4c_i32_i8_e32 v1, v207, v118
	v_dot4c_i32_i8_e32 v1, v208, v119
	v_mov_b32_e32 v118, 0
	v_mov_b32_e32 v119, 0
	s_nop 0
	v_mad_u64_u32 v[2:3], s[22:23], v1, v210, v[2:3]
	v_cvt_f32_i32_e32 v2, v2
	v_mul_f32_e32 v1, v205, v7
	v_fmac_f32_e32 v25, v1, v2
	ds_read2_b32 v[116:117], v0 offset0:168 offset1:200
	ds_read_b128 v[4:7], v165 offset:31488
	ds_read_b128 v[0:3], v165 offset:31504
	s_waitcnt lgkmcnt(1)
	v_dot4c_i32_i8_e32 v118, v167, v4
	v_dot4c_i32_i8_e32 v118, v168, v5
	s_waitcnt lgkmcnt(0)
	v_dot4c_i32_i8_e32 v119, v172, v0
	v_dot4c_i32_i8_e32 v118, v169, v6
	;; [unrolled: 1-line block ×6, first 2 shown]
	s_nop 0
	v_mul_lo_u32 v118, v118, v176
	s_nop 0
	v_mad_u64_u32 v[118:119], s[22:23], v119, v178, v[118:119]
	v_cvt_f32_i32_e32 v118, v118
	v_mul_f32_e32 v119, v171, v116
	v_fmac_f32_e32 v23, v119, v118
	v_mov_b32_e32 v118, 0
	v_dot4c_i32_i8_e32 v118, v177, v4
	v_mov_b32_e32 v119, 0
	v_dot4c_i32_i8_e32 v118, v179, v5
	v_dot4c_i32_i8_e32 v119, v182, v0
	;; [unrolled: 1-line block ×7, first 2 shown]
	s_nop 0
	v_mul_lo_u32 v118, v118, v187
	s_nop 0
	v_mad_u64_u32 v[118:119], s[22:23], v119, v189, v[118:119]
	v_cvt_f32_i32_e32 v118, v118
	v_mul_f32_e32 v119, v183, v116
	v_fmac_f32_e32 v21, v119, v118
	v_mov_b32_e32 v118, 0
	v_dot4c_i32_i8_e32 v118, v188, v4
	v_mov_b32_e32 v119, 0
	v_dot4c_i32_i8_e32 v118, v190, v5
	v_dot4c_i32_i8_e32 v119, v193, v0
	;; [unrolled: 1-line block ×7, first 2 shown]
	s_nop 0
	v_mul_lo_u32 v118, v118, v198
	s_nop 0
	v_mad_u64_u32 v[118:119], s[22:23], v119, v200, v[118:119]
	v_cvt_f32_i32_e32 v118, v118
	v_mul_f32_e32 v119, v194, v116
	v_fmac_f32_e32 v19, v119, v118
	v_mov_b32_e32 v118, 0
	v_dot4c_i32_i8_e32 v118, v199, v4
	v_dot4c_i32_i8_e32 v118, v201, v5
	v_mov_b32_e32 v5, 0
	v_dot4c_i32_i8_e32 v5, v204, v0
	v_dot4c_i32_i8_e32 v118, v202, v6
	;; [unrolled: 1-line block ×6, first 2 shown]
	s_nop 0
	v_mul_lo_u32 v4, v118, v209
	v_mov_b32_e32 v118, 0
	v_mad_u64_u32 v[0:1], s[22:23], v5, v210, v[4:5]
	v_cvt_f32_i32_e32 v0, v0
	v_mul_f32_e32 v1, v205, v116
	v_mov_b32_e32 v116, 0
	v_fmac_f32_e32 v17, v1, v0
	ds_read_b128 v[0:3], v165 offset:32512
	ds_read_b128 v[4:7], v165 offset:32528
	v_add_u32_e32 v165, 32, v165
	s_waitcnt lgkmcnt(1)
	v_dot4c_i32_i8_e32 v116, v167, v0
	v_dot4c_i32_i8_e32 v116, v168, v1
	s_waitcnt lgkmcnt(0)
	v_dot4c_i32_i8_e32 v118, v172, v4
	v_dot4c_i32_i8_e32 v116, v169, v2
	;; [unrolled: 1-line block ×6, first 2 shown]
	s_nop 0
	v_mul_lo_u32 v116, v116, v176
	s_nop 0
	v_mad_u64_u32 v[118:119], s[22:23], v118, v178, v[116:117]
	v_cvt_f32_i32_e32 v118, v118
	v_mul_f32_e32 v116, v171, v117
	v_fmac_f32_e32 v15, v116, v118
	v_mov_b32_e32 v116, 0
	v_dot4c_i32_i8_e32 v116, v177, v0
	v_mov_b32_e32 v118, 0
	v_dot4c_i32_i8_e32 v116, v179, v1
	v_dot4c_i32_i8_e32 v118, v182, v4
	v_dot4c_i32_i8_e32 v116, v180, v2
	v_dot4c_i32_i8_e32 v118, v184, v5
	v_dot4c_i32_i8_e32 v116, v181, v3
	v_dot4c_i32_i8_e32 v118, v185, v6
	v_dot4c_i32_i8_e32 v118, v186, v7
	s_nop 0
	v_mul_lo_u32 v116, v116, v187
	s_nop 0
	v_mad_u64_u32 v[118:119], s[22:23], v118, v189, v[116:117]
	v_cvt_f32_i32_e32 v118, v118
	v_mul_f32_e32 v116, v183, v117
	v_fmac_f32_e32 v13, v116, v118
	v_mov_b32_e32 v116, 0
	v_dot4c_i32_i8_e32 v116, v188, v0
	v_mov_b32_e32 v118, 0
	v_dot4c_i32_i8_e32 v116, v190, v1
	v_dot4c_i32_i8_e32 v118, v193, v4
	;; [unrolled: 1-line block ×7, first 2 shown]
	s_nop 0
	v_mul_lo_u32 v116, v116, v198
	s_nop 0
	v_mad_u64_u32 v[118:119], s[22:23], v118, v200, v[116:117]
	v_cvt_f32_i32_e32 v118, v118
	v_mul_f32_e32 v116, v194, v117
	v_fmac_f32_e32 v11, v116, v118
	v_mov_b32_e32 v116, 0
	v_dot4c_i32_i8_e32 v116, v199, v0
	v_dot4c_i32_i8_e32 v116, v201, v1
	v_mov_b32_e32 v1, 0
	v_dot4c_i32_i8_e32 v1, v204, v4
	v_dot4c_i32_i8_e32 v116, v202, v2
	;; [unrolled: 1-line block ×6, first 2 shown]
	s_nop 0
	v_mul_lo_u32 v0, v116, v209
	s_nop 0
	v_mad_u64_u32 v[0:1], s[22:23], v1, v210, v[0:1]
	v_cvt_f32_i32_e32 v0, v0
	v_mul_f32_e32 v1, v205, v117
	v_fmac_f32_e32 v9, v1, v0
	s_cbranch_scc1 .LBB130_7
; %bb.8:                                ;   in Loop: Header=BB130_6 Depth=1
	v_add_u32_e32 v165, s17, v137
	v_add_u32_e32 v0, v165, v87
	;; [unrolled: 1-line block ×9, first 2 shown]
	v_mad_i64_i32 v[168:169], s[18:19], v165, 36, v[112:113]
	v_add_u32_e32 v165, 4, v164
	v_mad_i64_i32 v[0:1], s[18:19], v0, 36, v[112:113]
	v_mad_i64_i32 v[2:3], s[18:19], v2, 36, v[112:113]
	;; [unrolled: 1-line block ×4, first 2 shown]
	v_mad_u64_u32 v[170:171], s[18:19], v165, 36, s[2:3]
	s_barrier
	v_mad_i64_i32 v[116:117], s[18:19], v116, 36, v[112:113]
	v_mad_i64_i32 v[118:119], s[18:19], v118, 36, v[112:113]
	;; [unrolled: 1-line block ×3, first 2 shown]
	global_load_dword v170, v[170:171], off
	s_nop 0
	global_load_dword v0, v[0:1], off offset:4
	s_nop 0
	global_load_dword v1, v[2:3], off offset:4
	s_nop 0
	global_load_dword v2, v[4:5], off offset:4
	global_load_dword v3, v[6:7], off offset:4
	s_nop 0
	global_load_dword v4, v[116:117], off offset:4
	global_load_dword v5, v[118:119], off offset:4
	;; [unrolled: 1-line block ×4, first 2 shown]
	s_mov_b32 s18, 4
	s_mov_b32 s19, 8
	;; [unrolled: 1-line block ×3, first 2 shown]
	v_mov_b32_e32 v165, v89
	v_mov_b32_e32 v166, v59
	s_waitcnt vmcnt(8)
	v_cvt_f32_f16_e32 v116, v170
	s_waitcnt vmcnt(7)
	ds_write_b32 v91, v0
	s_waitcnt vmcnt(6)
	ds_write_b32 v97, v1
	s_waitcnt vmcnt(5)
	ds_write_b32 v101, v2
	s_waitcnt vmcnt(4)
	ds_write_b32 v105, v3
	s_waitcnt vmcnt(3)
	ds_write_b32 v109, v4
	s_waitcnt vmcnt(2)
	ds_write_b32 v115, v5
	s_waitcnt vmcnt(1)
	ds_write_b32 v121, v6
	s_waitcnt vmcnt(0)
	ds_write_b32 v123, v7
	ds_write_b32 v85, v116
	s_waitcnt lgkmcnt(0)
	s_barrier
.LBB130_9:                              ;   Parent Loop BB130_6 Depth=1
                                        ; =>  This Inner Loop Header: Depth=2
	s_and_b32 s20, s19, -16
	v_add_u32_e32 v118, s20, v124
	s_add_i32 s20, s21, 2
	s_lshr_b32 s25, s20, 4
	s_and_b32 s24, s20, 0x3ffffff8
	s_lshl_b32 s23, s25, 3
	s_lshl_b32 s24, s24, 2
	v_add_lshl_u32 v176, v125, s23, 2
	v_add_u32_e32 v0, 0x9600, v166
	v_add_u32_e32 v119, s24, v126
	;; [unrolled: 1-line block ×3, first 2 shown]
	ds_read2_b32 v[116:117], v0 offset0:104 offset1:136
	ds_read_b128 v[4:7], v165 offset:25344
	ds_read_b128 v[0:3], v165 offset:25360
	ds_read2_b32 v[168:169], v119 offset1:1
	ds_read2_b32 v[170:171], v170 offset1:1
	s_add_i32 s22, s21, -6
	s_lshl_b32 s25, s25, 2
	v_add_lshl_u32 v198, v131, s23, 2
	s_waitcnt lgkmcnt(1)
	v_ashrrev_i32_e32 v167, s22, v168
	s_waitcnt lgkmcnt(0)
	v_ashrrev_i32_e32 v170, s18, v170
	v_lshlrev_b32_e32 v170, 2, v170
	v_and_b32_e32 v168, 0x3030303, v167
	v_bfe_u32 v167, v167, 24, 2
	v_and_b32_e32 v170, 0x4040404, v170
	v_sub_u16_e32 v172, v168, v170
	v_sub_u16_sdwa v173, v168, v170 dst_sel:BYTE_1 dst_unused:UNUSED_PAD src0_sel:BYTE_1 src1_sel:BYTE_1
	v_sub_u16_sdwa v167, v167, v170 dst_sel:BYTE_1 dst_unused:UNUSED_PAD src0_sel:DWORD src1_sel:BYTE_3
	v_sub_u16_sdwa v168, v168, v170 dst_sel:DWORD dst_unused:UNUSED_PAD src0_sel:WORD_1 src1_sel:WORD_1
	v_ashrrev_i32_e32 v170, s18, v171
	v_or_b32_sdwa v167, v168, v167 dst_sel:WORD_1 dst_unused:UNUSED_PAD src0_sel:BYTE_0 src1_sel:DWORD
	v_ashrrev_i32_e32 v168, s22, v169
	v_lshlrev_b32_e32 v170, 2, v170
	v_or_b32_sdwa v172, v172, v173 dst_sel:DWORD dst_unused:UNUSED_PAD src0_sel:BYTE_0 src1_sel:DWORD
	v_and_b32_e32 v169, 0x3030303, v168
	v_bfe_u32 v168, v168, 24, 2
	v_and_b32_e32 v170, 0x4040404, v170
	v_or_b32_sdwa v167, v172, v167 dst_sel:DWORD dst_unused:UNUSED_PAD src0_sel:WORD_0 src1_sel:DWORD
	v_sub_u16_e32 v171, v169, v170
	v_sub_u16_sdwa v172, v169, v170 dst_sel:BYTE_1 dst_unused:UNUSED_PAD src0_sel:BYTE_1 src1_sel:BYTE_1
	v_sub_u16_sdwa v168, v168, v170 dst_sel:BYTE_1 dst_unused:UNUSED_PAD src0_sel:DWORD src1_sel:BYTE_3
	v_sub_u16_sdwa v169, v169, v170 dst_sel:DWORD dst_unused:UNUSED_PAD src0_sel:WORD_1 src1_sel:WORD_1
	v_or_b32_sdwa v171, v171, v172 dst_sel:DWORD dst_unused:UNUSED_PAD src0_sel:BYTE_0 src1_sel:DWORD
	v_or_b32_sdwa v168, v169, v168 dst_sel:WORD_1 dst_unused:UNUSED_PAD src0_sel:BYTE_0 src1_sel:DWORD
	v_add_u32_e32 v172, 0x4208, v176
	v_or_b32_sdwa v168, v171, v168 dst_sel:DWORD dst_unused:UNUSED_PAD src0_sel:WORD_0 src1_sel:DWORD
	ds_read2_b32 v[170:171], v119 offset0:2 offset1:3
	ds_read2_b32 v[172:173], v172 offset1:1
	v_add_lshl_u32 v188, v128, s23, 2
	v_add_u32_e32 v192, 0x4200, v198
	v_add_lshl_u32 v210, v134, s23, 2
	s_waitcnt lgkmcnt(1)
	v_ashrrev_i32_e32 v169, s22, v170
	s_waitcnt lgkmcnt(0)
	v_ashrrev_i32_e32 v172, s18, v172
	v_lshlrev_b32_e32 v172, 2, v172
	v_and_b32_e32 v170, 0x3030303, v169
	v_bfe_u32 v169, v169, 24, 2
	v_and_b32_e32 v172, 0x4040404, v172
	v_sub_u16_e32 v174, v170, v172
	v_sub_u16_sdwa v175, v170, v172 dst_sel:BYTE_1 dst_unused:UNUSED_PAD src0_sel:BYTE_1 src1_sel:BYTE_1
	v_sub_u16_sdwa v169, v169, v172 dst_sel:BYTE_1 dst_unused:UNUSED_PAD src0_sel:DWORD src1_sel:BYTE_3
	v_sub_u16_sdwa v170, v170, v172 dst_sel:DWORD dst_unused:UNUSED_PAD src0_sel:WORD_1 src1_sel:WORD_1
	v_ashrrev_i32_e32 v172, s18, v173
	v_or_b32_sdwa v169, v170, v169 dst_sel:WORD_1 dst_unused:UNUSED_PAD src0_sel:BYTE_0 src1_sel:DWORD
	v_ashrrev_i32_e32 v170, s22, v171
	v_lshlrev_b32_e32 v172, 2, v172
	v_or_b32_sdwa v174, v174, v175 dst_sel:DWORD dst_unused:UNUSED_PAD src0_sel:BYTE_0 src1_sel:DWORD
	v_and_b32_e32 v171, 0x3030303, v170
	v_bfe_u32 v170, v170, 24, 2
	v_and_b32_e32 v172, 0x4040404, v172
	v_or_b32_sdwa v169, v174, v169 dst_sel:DWORD dst_unused:UNUSED_PAD src0_sel:WORD_0 src1_sel:DWORD
	v_sub_u16_e32 v173, v171, v172
	v_sub_u16_sdwa v174, v171, v172 dst_sel:BYTE_1 dst_unused:UNUSED_PAD src0_sel:BYTE_1 src1_sel:BYTE_1
	v_sub_u16_sdwa v170, v170, v172 dst_sel:BYTE_1 dst_unused:UNUSED_PAD src0_sel:DWORD src1_sel:BYTE_3
	v_sub_u16_sdwa v171, v171, v172 dst_sel:DWORD dst_unused:UNUSED_PAD src0_sel:WORD_1 src1_sel:WORD_1
	v_or_b32_sdwa v173, v173, v174 dst_sel:DWORD dst_unused:UNUSED_PAD src0_sel:BYTE_0 src1_sel:DWORD
	v_or_b32_sdwa v170, v171, v170 dst_sel:WORD_1 dst_unused:UNUSED_PAD src0_sel:BYTE_0 src1_sel:DWORD
	v_add_u32_e32 v174, 0x4210, v176
	v_or_b32_sdwa v170, v173, v170 dst_sel:DWORD dst_unused:UNUSED_PAD src0_sel:WORD_0 src1_sel:DWORD
	ds_read2_b32 v[172:173], v119 offset0:4 offset1:5
	ds_read2_b32 v[174:175], v174 offset1:1
	s_add_i32 s19, s19, 2
	ds_read2_b32 v[192:193], v192 offset1:1
	s_waitcnt lgkmcnt(2)
	v_ashrrev_i32_e32 v171, s22, v172
	s_waitcnt lgkmcnt(1)
	v_ashrrev_i32_e32 v174, s18, v174
	v_lshlrev_b32_e32 v174, 2, v174
	v_and_b32_e32 v172, 0x3030303, v171
	v_bfe_u32 v171, v171, 24, 2
	v_and_b32_e32 v174, 0x4040404, v174
	v_sub_u16_e32 v177, v172, v174
	v_sub_u16_sdwa v178, v172, v174 dst_sel:BYTE_1 dst_unused:UNUSED_PAD src0_sel:BYTE_1 src1_sel:BYTE_1
	v_sub_u16_sdwa v171, v171, v174 dst_sel:BYTE_1 dst_unused:UNUSED_PAD src0_sel:DWORD src1_sel:BYTE_3
	v_sub_u16_sdwa v172, v172, v174 dst_sel:DWORD dst_unused:UNUSED_PAD src0_sel:WORD_1 src1_sel:WORD_1
	v_or_b32_sdwa v177, v177, v178 dst_sel:DWORD dst_unused:UNUSED_PAD src0_sel:BYTE_0 src1_sel:DWORD
	v_or_b32_sdwa v171, v172, v171 dst_sel:WORD_1 dst_unused:UNUSED_PAD src0_sel:BYTE_0 src1_sel:DWORD
	v_ashrrev_i32_e32 v174, s18, v175
	v_or_b32_sdwa v172, v177, v171 dst_sel:DWORD dst_unused:UNUSED_PAD src0_sel:WORD_0 src1_sel:DWORD
	v_ashrrev_i32_e32 v171, s22, v173
	v_lshlrev_b32_e32 v174, 2, v174
	v_and_b32_e32 v173, 0x3030303, v171
	v_bfe_u32 v171, v171, 24, 2
	v_and_b32_e32 v174, 0x4040404, v174
	v_sub_u16_e32 v175, v173, v174
	v_sub_u16_sdwa v177, v173, v174 dst_sel:BYTE_1 dst_unused:UNUSED_PAD src0_sel:BYTE_1 src1_sel:BYTE_1
	v_sub_u16_sdwa v171, v171, v174 dst_sel:BYTE_1 dst_unused:UNUSED_PAD src0_sel:DWORD src1_sel:BYTE_3
	v_sub_u16_sdwa v173, v173, v174 dst_sel:DWORD dst_unused:UNUSED_PAD src0_sel:WORD_1 src1_sel:WORD_1
	v_or_b32_sdwa v175, v175, v177 dst_sel:DWORD dst_unused:UNUSED_PAD src0_sel:BYTE_0 src1_sel:DWORD
	v_or_b32_sdwa v171, v173, v171 dst_sel:WORD_1 dst_unused:UNUSED_PAD src0_sel:BYTE_0 src1_sel:DWORD
	v_or_b32_sdwa v173, v175, v171 dst_sel:DWORD dst_unused:UNUSED_PAD src0_sel:WORD_0 src1_sel:DWORD
	ds_read2_b32 v[174:175], v119 offset0:6 offset1:7
	s_waitcnt lgkmcnt(1)
	v_ashrrev_i32_e32 v192, s18, v192
	v_lshlrev_b32_e32 v192, 2, v192
	v_and_b32_e32 v192, 0x4040404, v192
	s_waitcnt lgkmcnt(0)
	v_ashrrev_i32_e32 v119, s22, v174
	v_add_u32_e32 v174, 0x4218, v176
	ds_read2_b32 v[176:177], v174 offset1:1
	v_and_b32_e32 v171, 0x3030303, v119
	v_bfe_u32 v119, v119, 24, 2
	s_waitcnt lgkmcnt(0)
	v_ashrrev_i32_e32 v174, s18, v176
	v_lshlrev_b32_e32 v174, 2, v174
	v_and_b32_e32 v174, 0x4040404, v174
	v_sub_u16_e32 v176, v171, v174
	v_sub_u16_sdwa v178, v171, v174 dst_sel:BYTE_1 dst_unused:UNUSED_PAD src0_sel:BYTE_1 src1_sel:BYTE_1
	v_sub_u16_sdwa v119, v119, v174 dst_sel:BYTE_1 dst_unused:UNUSED_PAD src0_sel:DWORD src1_sel:BYTE_3
	v_sub_u16_sdwa v171, v171, v174 dst_sel:DWORD dst_unused:UNUSED_PAD src0_sel:WORD_1 src1_sel:WORD_1
	v_or_b32_sdwa v176, v176, v178 dst_sel:DWORD dst_unused:UNUSED_PAD src0_sel:BYTE_0 src1_sel:DWORD
	v_or_b32_sdwa v119, v171, v119 dst_sel:WORD_1 dst_unused:UNUSED_PAD src0_sel:BYTE_0 src1_sel:DWORD
	v_or_b32_sdwa v174, v176, v119 dst_sel:DWORD dst_unused:UNUSED_PAD src0_sel:WORD_0 src1_sel:DWORD
	v_ashrrev_i32_e32 v119, s22, v175
	v_ashrrev_i32_e32 v175, s18, v177
	v_lshlrev_b32_e32 v175, 2, v175
	v_and_b32_e32 v171, 0x3030303, v119
	v_bfe_u32 v119, v119, 24, 2
	v_and_b32_e32 v175, 0x4040404, v175
	v_sub_u16_e32 v176, v171, v175
	v_sub_u16_sdwa v177, v171, v175 dst_sel:BYTE_1 dst_unused:UNUSED_PAD src0_sel:BYTE_1 src1_sel:BYTE_1
	v_sub_u16_sdwa v119, v119, v175 dst_sel:BYTE_1 dst_unused:UNUSED_PAD src0_sel:DWORD src1_sel:BYTE_3
	v_sub_u16_sdwa v171, v171, v175 dst_sel:DWORD dst_unused:UNUSED_PAD src0_sel:WORD_1 src1_sel:WORD_1
	v_or_b32_sdwa v176, v176, v177 dst_sel:DWORD dst_unused:UNUSED_PAD src0_sel:BYTE_0 src1_sel:DWORD
	v_or_b32_sdwa v119, v171, v119 dst_sel:WORD_1 dst_unused:UNUSED_PAD src0_sel:BYTE_0 src1_sel:DWORD
	v_or_b32_sdwa v175, v176, v119 dst_sel:DWORD dst_unused:UNUSED_PAD src0_sel:WORD_0 src1_sel:DWORD
	v_add3_u32 v119, v141, s21, v118
	v_add_u32_e32 v171, s25, v127
	ds_read_b32 v171, v171
	ds_read_u16 v119, v119 offset:8194
	v_mov_b32_e32 v177, 0
	v_dot4c_i32_i8_e32 v177, v167, v4
	v_dot4c_i32_i8_e32 v177, v168, v5
	;; [unrolled: 1-line block ×3, first 2 shown]
	s_waitcnt lgkmcnt(0)
	v_lshrrev_b16_e32 v178, 8, v119
	v_bfe_i32 v176, v119, 0, 8
	v_mov_b32_e32 v119, 0
	v_dot4c_i32_i8_e32 v119, v172, v0
	v_dot4c_i32_i8_e32 v119, v173, v1
	;; [unrolled: 1-line block ×5, first 2 shown]
	v_bfe_i32 v178, v178, 0, 8
	v_mul_lo_u32 v180, v177, v176
	s_nop 0
	v_mad_u64_u32 v[180:181], s[26:27], v119, v178, v[180:181]
	v_cvt_f32_i32_e32 v177, v180
	v_mul_f32_e32 v119, v116, v171
	v_fmac_f32_e32 v93, v119, v177
	v_add_u32_e32 v119, s24, v129
	ds_read2_b32 v[180:181], v119 offset1:1
	s_waitcnt lgkmcnt(0)
	v_ashrrev_i32_e32 v177, s22, v180
	v_add_u32_e32 v180, 0x4200, v188
	ds_read2_b32 v[182:183], v180 offset1:1
	v_and_b32_e32 v179, 0x3030303, v177
	v_bfe_u32 v177, v177, 24, 2
	s_waitcnt lgkmcnt(0)
	v_ashrrev_i32_e32 v180, s18, v182
	v_lshlrev_b32_e32 v180, 2, v180
	v_and_b32_e32 v180, 0x4040404, v180
	v_sub_u16_e32 v182, v179, v180
	v_sub_u16_sdwa v184, v179, v180 dst_sel:BYTE_1 dst_unused:UNUSED_PAD src0_sel:BYTE_1 src1_sel:BYTE_1
	v_sub_u16_sdwa v177, v177, v180 dst_sel:BYTE_1 dst_unused:UNUSED_PAD src0_sel:DWORD src1_sel:BYTE_3
	v_sub_u16_sdwa v179, v179, v180 dst_sel:DWORD dst_unused:UNUSED_PAD src0_sel:WORD_1 src1_sel:WORD_1
	v_or_b32_sdwa v177, v179, v177 dst_sel:WORD_1 dst_unused:UNUSED_PAD src0_sel:BYTE_0 src1_sel:DWORD
	v_ashrrev_i32_e32 v179, s22, v181
	v_ashrrev_i32_e32 v181, s18, v183
	v_lshlrev_b32_e32 v181, 2, v181
	v_or_b32_sdwa v182, v182, v184 dst_sel:DWORD dst_unused:UNUSED_PAD src0_sel:BYTE_0 src1_sel:DWORD
	v_and_b32_e32 v180, 0x3030303, v179
	v_bfe_u32 v179, v179, 24, 2
	v_and_b32_e32 v181, 0x4040404, v181
	v_or_b32_sdwa v177, v182, v177 dst_sel:DWORD dst_unused:UNUSED_PAD src0_sel:WORD_0 src1_sel:DWORD
	v_sub_u16_e32 v182, v180, v181
	v_sub_u16_sdwa v183, v180, v181 dst_sel:BYTE_1 dst_unused:UNUSED_PAD src0_sel:BYTE_1 src1_sel:BYTE_1
	v_sub_u16_sdwa v179, v179, v181 dst_sel:BYTE_1 dst_unused:UNUSED_PAD src0_sel:DWORD src1_sel:BYTE_3
	v_sub_u16_sdwa v180, v180, v181 dst_sel:DWORD dst_unused:UNUSED_PAD src0_sel:WORD_1 src1_sel:WORD_1
	v_or_b32_sdwa v182, v182, v183 dst_sel:DWORD dst_unused:UNUSED_PAD src0_sel:BYTE_0 src1_sel:DWORD
	v_or_b32_sdwa v179, v180, v179 dst_sel:WORD_1 dst_unused:UNUSED_PAD src0_sel:BYTE_0 src1_sel:DWORD
	v_or_b32_sdwa v179, v182, v179 dst_sel:DWORD dst_unused:UNUSED_PAD src0_sel:WORD_0 src1_sel:DWORD
	v_add_u32_e32 v182, 0x4208, v188
	ds_read2_b32 v[180:181], v119 offset0:2 offset1:3
	ds_read2_b32 v[182:183], v182 offset1:1
	s_waitcnt lgkmcnt(1)
	v_ashrrev_i32_e32 v180, s22, v180
	s_waitcnt lgkmcnt(0)
	v_ashrrev_i32_e32 v182, s18, v182
	v_lshlrev_b32_e32 v182, 2, v182
	v_and_b32_e32 v184, 0x3030303, v180
	v_bfe_u32 v180, v180, 24, 2
	v_and_b32_e32 v182, 0x4040404, v182
	v_ashrrev_i32_e32 v183, s18, v183
	v_sub_u16_e32 v185, v184, v182
	v_sub_u16_sdwa v186, v184, v182 dst_sel:BYTE_1 dst_unused:UNUSED_PAD src0_sel:BYTE_1 src1_sel:BYTE_1
	v_sub_u16_sdwa v180, v180, v182 dst_sel:BYTE_1 dst_unused:UNUSED_PAD src0_sel:DWORD src1_sel:BYTE_3
	v_sub_u16_sdwa v182, v184, v182 dst_sel:DWORD dst_unused:UNUSED_PAD src0_sel:WORD_1 src1_sel:WORD_1
	v_ashrrev_i32_e32 v181, s22, v181
	v_lshlrev_b32_e32 v183, 2, v183
	v_or_b32_sdwa v185, v185, v186 dst_sel:DWORD dst_unused:UNUSED_PAD src0_sel:BYTE_0 src1_sel:DWORD
	v_or_b32_sdwa v180, v182, v180 dst_sel:WORD_1 dst_unused:UNUSED_PAD src0_sel:BYTE_0 src1_sel:DWORD
	v_and_b32_e32 v182, 0x3030303, v181
	v_bfe_u32 v181, v181, 24, 2
	v_and_b32_e32 v183, 0x4040404, v183
	v_or_b32_sdwa v180, v185, v180 dst_sel:DWORD dst_unused:UNUSED_PAD src0_sel:WORD_0 src1_sel:DWORD
	v_sub_u16_e32 v184, v182, v183
	v_sub_u16_sdwa v185, v182, v183 dst_sel:BYTE_1 dst_unused:UNUSED_PAD src0_sel:BYTE_1 src1_sel:BYTE_1
	v_sub_u16_sdwa v181, v181, v183 dst_sel:BYTE_1 dst_unused:UNUSED_PAD src0_sel:DWORD src1_sel:BYTE_3
	v_sub_u16_sdwa v182, v182, v183 dst_sel:DWORD dst_unused:UNUSED_PAD src0_sel:WORD_1 src1_sel:WORD_1
	v_or_b32_sdwa v184, v184, v185 dst_sel:DWORD dst_unused:UNUSED_PAD src0_sel:BYTE_0 src1_sel:DWORD
	v_or_b32_sdwa v181, v182, v181 dst_sel:WORD_1 dst_unused:UNUSED_PAD src0_sel:BYTE_0 src1_sel:DWORD
	v_or_b32_sdwa v181, v184, v181 dst_sel:DWORD dst_unused:UNUSED_PAD src0_sel:WORD_0 src1_sel:DWORD
	v_add_u32_e32 v184, 0x4210, v188
	ds_read2_b32 v[182:183], v119 offset0:4 offset1:5
	ds_read2_b32 v[184:185], v184 offset1:1
	s_waitcnt lgkmcnt(1)
	v_ashrrev_i32_e32 v182, s22, v182
	s_waitcnt lgkmcnt(0)
	v_ashrrev_i32_e32 v184, s18, v184
	v_lshlrev_b32_e32 v184, 2, v184
	v_and_b32_e32 v186, 0x3030303, v182
	v_bfe_u32 v182, v182, 24, 2
	v_and_b32_e32 v184, 0x4040404, v184
	v_ashrrev_i32_e32 v185, s18, v185
	v_sub_u16_e32 v187, v186, v184
	v_sub_u16_sdwa v189, v186, v184 dst_sel:BYTE_1 dst_unused:UNUSED_PAD src0_sel:BYTE_1 src1_sel:BYTE_1
	v_sub_u16_sdwa v182, v182, v184 dst_sel:BYTE_1 dst_unused:UNUSED_PAD src0_sel:DWORD src1_sel:BYTE_3
	v_sub_u16_sdwa v184, v186, v184 dst_sel:DWORD dst_unused:UNUSED_PAD src0_sel:WORD_1 src1_sel:WORD_1
	v_ashrrev_i32_e32 v183, s22, v183
	v_lshlrev_b32_e32 v185, 2, v185
	v_or_b32_sdwa v187, v187, v189 dst_sel:DWORD dst_unused:UNUSED_PAD src0_sel:BYTE_0 src1_sel:DWORD
	v_or_b32_sdwa v182, v184, v182 dst_sel:WORD_1 dst_unused:UNUSED_PAD src0_sel:BYTE_0 src1_sel:DWORD
	v_and_b32_e32 v184, 0x3030303, v183
	v_bfe_u32 v183, v183, 24, 2
	v_and_b32_e32 v185, 0x4040404, v185
	v_or_b32_sdwa v182, v187, v182 dst_sel:DWORD dst_unused:UNUSED_PAD src0_sel:WORD_0 src1_sel:DWORD
	v_sub_u16_e32 v186, v184, v185
	v_sub_u16_sdwa v187, v184, v185 dst_sel:BYTE_1 dst_unused:UNUSED_PAD src0_sel:BYTE_1 src1_sel:BYTE_1
	v_sub_u16_sdwa v183, v183, v185 dst_sel:BYTE_1 dst_unused:UNUSED_PAD src0_sel:DWORD src1_sel:BYTE_3
	v_sub_u16_sdwa v184, v184, v185 dst_sel:DWORD dst_unused:UNUSED_PAD src0_sel:WORD_1 src1_sel:WORD_1
	v_or_b32_sdwa v186, v186, v187 dst_sel:DWORD dst_unused:UNUSED_PAD src0_sel:BYTE_0 src1_sel:DWORD
	v_or_b32_sdwa v183, v184, v183 dst_sel:WORD_1 dst_unused:UNUSED_PAD src0_sel:BYTE_0 src1_sel:DWORD
	v_add_u32_e32 v185, 0x4218, v188
	v_or_b32_sdwa v184, v186, v183 dst_sel:DWORD dst_unused:UNUSED_PAD src0_sel:WORD_0 src1_sel:DWORD
	ds_read2_b32 v[186:187], v119 offset0:6 offset1:7
	ds_read2_b32 v[188:189], v185 offset1:1
	s_waitcnt lgkmcnt(1)
	v_ashrrev_i32_e32 v119, s22, v186
	s_waitcnt lgkmcnt(0)
	v_ashrrev_i32_e32 v185, s18, v188
	v_lshlrev_b32_e32 v185, 2, v185
	v_and_b32_e32 v183, 0x3030303, v119
	v_bfe_u32 v119, v119, 24, 2
	v_and_b32_e32 v185, 0x4040404, v185
	v_sub_u16_e32 v186, v183, v185
	v_sub_u16_sdwa v188, v183, v185 dst_sel:BYTE_1 dst_unused:UNUSED_PAD src0_sel:BYTE_1 src1_sel:BYTE_1
	v_sub_u16_sdwa v119, v119, v185 dst_sel:BYTE_1 dst_unused:UNUSED_PAD src0_sel:DWORD src1_sel:BYTE_3
	v_sub_u16_sdwa v183, v183, v185 dst_sel:DWORD dst_unused:UNUSED_PAD src0_sel:WORD_1 src1_sel:WORD_1
	v_or_b32_sdwa v186, v186, v188 dst_sel:DWORD dst_unused:UNUSED_PAD src0_sel:BYTE_0 src1_sel:DWORD
	v_or_b32_sdwa v119, v183, v119 dst_sel:WORD_1 dst_unused:UNUSED_PAD src0_sel:BYTE_0 src1_sel:DWORD
	v_or_b32_sdwa v185, v186, v119 dst_sel:DWORD dst_unused:UNUSED_PAD src0_sel:WORD_0 src1_sel:DWORD
	v_ashrrev_i32_e32 v186, s18, v189
	v_ashrrev_i32_e32 v119, s22, v187
	v_lshlrev_b32_e32 v186, 2, v186
	v_and_b32_e32 v183, 0x3030303, v119
	v_bfe_u32 v119, v119, 24, 2
	v_and_b32_e32 v186, 0x4040404, v186
	v_sub_u16_e32 v187, v183, v186
	v_sub_u16_sdwa v188, v183, v186 dst_sel:BYTE_1 dst_unused:UNUSED_PAD src0_sel:BYTE_1 src1_sel:BYTE_1
	v_sub_u16_sdwa v119, v119, v186 dst_sel:BYTE_1 dst_unused:UNUSED_PAD src0_sel:DWORD src1_sel:BYTE_3
	v_sub_u16_sdwa v183, v183, v186 dst_sel:DWORD dst_unused:UNUSED_PAD src0_sel:WORD_1 src1_sel:WORD_1
	v_or_b32_sdwa v187, v187, v188 dst_sel:DWORD dst_unused:UNUSED_PAD src0_sel:BYTE_0 src1_sel:DWORD
	v_or_b32_sdwa v119, v183, v119 dst_sel:WORD_1 dst_unused:UNUSED_PAD src0_sel:BYTE_0 src1_sel:DWORD
	v_or_b32_sdwa v186, v187, v119 dst_sel:DWORD dst_unused:UNUSED_PAD src0_sel:WORD_0 src1_sel:DWORD
	v_add3_u32 v119, v143, s21, v118
	v_add_u32_e32 v183, s25, v130
	ds_read_b32 v183, v183
	ds_read_u16 v119, v119 offset:9218
	v_mov_b32_e32 v188, 0
	v_dot4c_i32_i8_e32 v188, v177, v4
	v_dot4c_i32_i8_e32 v188, v179, v5
	;; [unrolled: 1-line block ×3, first 2 shown]
	s_waitcnt lgkmcnt(0)
	v_lshrrev_b16_e32 v189, 8, v119
	v_bfe_i32 v187, v119, 0, 8
	v_mov_b32_e32 v119, 0
	v_dot4c_i32_i8_e32 v119, v182, v0
	v_dot4c_i32_i8_e32 v119, v184, v1
	;; [unrolled: 1-line block ×5, first 2 shown]
	v_bfe_i32 v189, v189, 0, 8
	v_mul_lo_u32 v188, v188, v187
	s_nop 0
	v_mad_u64_u32 v[190:191], s[26:27], v119, v189, v[188:189]
	v_cvt_f32_i32_e32 v188, v190
	v_mul_f32_e32 v119, v116, v183
	v_fmac_f32_e32 v83, v119, v188
	v_add_u32_e32 v119, s24, v132
	ds_read2_b32 v[190:191], v119 offset1:1
	s_waitcnt lgkmcnt(0)
	v_ashrrev_i32_e32 v188, s22, v190
	v_and_b32_e32 v190, 0x3030303, v188
	v_bfe_u32 v188, v188, 24, 2
	v_sub_u16_e32 v194, v190, v192
	v_sub_u16_sdwa v195, v190, v192 dst_sel:BYTE_1 dst_unused:UNUSED_PAD src0_sel:BYTE_1 src1_sel:BYTE_1
	v_sub_u16_sdwa v188, v188, v192 dst_sel:BYTE_1 dst_unused:UNUSED_PAD src0_sel:DWORD src1_sel:BYTE_3
	v_sub_u16_sdwa v190, v190, v192 dst_sel:DWORD dst_unused:UNUSED_PAD src0_sel:WORD_1 src1_sel:WORD_1
	v_ashrrev_i32_e32 v192, s18, v193
	v_or_b32_sdwa v188, v190, v188 dst_sel:WORD_1 dst_unused:UNUSED_PAD src0_sel:BYTE_0 src1_sel:DWORD
	v_ashrrev_i32_e32 v190, s22, v191
	v_lshlrev_b32_e32 v192, 2, v192
	v_or_b32_sdwa v194, v194, v195 dst_sel:DWORD dst_unused:UNUSED_PAD src0_sel:BYTE_0 src1_sel:DWORD
	v_and_b32_e32 v191, 0x3030303, v190
	v_bfe_u32 v190, v190, 24, 2
	v_and_b32_e32 v192, 0x4040404, v192
	v_or_b32_sdwa v188, v194, v188 dst_sel:DWORD dst_unused:UNUSED_PAD src0_sel:WORD_0 src1_sel:DWORD
	v_sub_u16_e32 v193, v191, v192
	v_sub_u16_sdwa v194, v191, v192 dst_sel:BYTE_1 dst_unused:UNUSED_PAD src0_sel:BYTE_1 src1_sel:BYTE_1
	v_sub_u16_sdwa v190, v190, v192 dst_sel:BYTE_1 dst_unused:UNUSED_PAD src0_sel:DWORD src1_sel:BYTE_3
	v_sub_u16_sdwa v191, v191, v192 dst_sel:DWORD dst_unused:UNUSED_PAD src0_sel:WORD_1 src1_sel:WORD_1
	v_or_b32_sdwa v193, v193, v194 dst_sel:DWORD dst_unused:UNUSED_PAD src0_sel:BYTE_0 src1_sel:DWORD
	v_or_b32_sdwa v190, v191, v190 dst_sel:WORD_1 dst_unused:UNUSED_PAD src0_sel:BYTE_0 src1_sel:DWORD
	v_add_u32_e32 v194, 0x4208, v198
	v_or_b32_sdwa v190, v193, v190 dst_sel:DWORD dst_unused:UNUSED_PAD src0_sel:WORD_0 src1_sel:DWORD
	ds_read2_b32 v[192:193], v119 offset0:2 offset1:3
	ds_read2_b32 v[194:195], v194 offset1:1
	s_waitcnt lgkmcnt(1)
	v_ashrrev_i32_e32 v191, s22, v192
	s_waitcnt lgkmcnt(0)
	v_ashrrev_i32_e32 v194, s18, v194
	v_lshlrev_b32_e32 v194, 2, v194
	v_and_b32_e32 v192, 0x3030303, v191
	v_bfe_u32 v191, v191, 24, 2
	v_and_b32_e32 v194, 0x4040404, v194
	v_sub_u16_e32 v196, v192, v194
	v_sub_u16_sdwa v197, v192, v194 dst_sel:BYTE_1 dst_unused:UNUSED_PAD src0_sel:BYTE_1 src1_sel:BYTE_1
	v_sub_u16_sdwa v191, v191, v194 dst_sel:BYTE_1 dst_unused:UNUSED_PAD src0_sel:DWORD src1_sel:BYTE_3
	v_sub_u16_sdwa v192, v192, v194 dst_sel:DWORD dst_unused:UNUSED_PAD src0_sel:WORD_1 src1_sel:WORD_1
	v_ashrrev_i32_e32 v194, s18, v195
	v_or_b32_sdwa v191, v192, v191 dst_sel:WORD_1 dst_unused:UNUSED_PAD src0_sel:BYTE_0 src1_sel:DWORD
	v_ashrrev_i32_e32 v192, s22, v193
	v_lshlrev_b32_e32 v194, 2, v194
	v_or_b32_sdwa v196, v196, v197 dst_sel:DWORD dst_unused:UNUSED_PAD src0_sel:BYTE_0 src1_sel:DWORD
	v_and_b32_e32 v193, 0x3030303, v192
	v_bfe_u32 v192, v192, 24, 2
	v_and_b32_e32 v194, 0x4040404, v194
	v_or_b32_sdwa v191, v196, v191 dst_sel:DWORD dst_unused:UNUSED_PAD src0_sel:WORD_0 src1_sel:DWORD
	v_sub_u16_e32 v195, v193, v194
	v_sub_u16_sdwa v196, v193, v194 dst_sel:BYTE_1 dst_unused:UNUSED_PAD src0_sel:BYTE_1 src1_sel:BYTE_1
	v_sub_u16_sdwa v192, v192, v194 dst_sel:BYTE_1 dst_unused:UNUSED_PAD src0_sel:DWORD src1_sel:BYTE_3
	v_sub_u16_sdwa v193, v193, v194 dst_sel:DWORD dst_unused:UNUSED_PAD src0_sel:WORD_1 src1_sel:WORD_1
	v_or_b32_sdwa v195, v195, v196 dst_sel:DWORD dst_unused:UNUSED_PAD src0_sel:BYTE_0 src1_sel:DWORD
	v_or_b32_sdwa v192, v193, v192 dst_sel:WORD_1 dst_unused:UNUSED_PAD src0_sel:BYTE_0 src1_sel:DWORD
	v_add_u32_e32 v196, 0x4210, v198
	v_or_b32_sdwa v192, v195, v192 dst_sel:DWORD dst_unused:UNUSED_PAD src0_sel:WORD_0 src1_sel:DWORD
	ds_read2_b32 v[194:195], v119 offset0:4 offset1:5
	ds_read2_b32 v[196:197], v196 offset1:1
	s_waitcnt lgkmcnt(1)
	v_ashrrev_i32_e32 v193, s22, v194
	s_waitcnt lgkmcnt(0)
	v_ashrrev_i32_e32 v196, s18, v196
	v_lshlrev_b32_e32 v196, 2, v196
	v_and_b32_e32 v194, 0x3030303, v193
	v_bfe_u32 v193, v193, 24, 2
	v_and_b32_e32 v196, 0x4040404, v196
	v_sub_u16_e32 v199, v194, v196
	v_sub_u16_sdwa v200, v194, v196 dst_sel:BYTE_1 dst_unused:UNUSED_PAD src0_sel:BYTE_1 src1_sel:BYTE_1
	v_sub_u16_sdwa v193, v193, v196 dst_sel:BYTE_1 dst_unused:UNUSED_PAD src0_sel:DWORD src1_sel:BYTE_3
	v_sub_u16_sdwa v194, v194, v196 dst_sel:DWORD dst_unused:UNUSED_PAD src0_sel:WORD_1 src1_sel:WORD_1
	v_ashrrev_i32_e32 v196, s18, v197
	v_or_b32_sdwa v193, v194, v193 dst_sel:WORD_1 dst_unused:UNUSED_PAD src0_sel:BYTE_0 src1_sel:DWORD
	v_ashrrev_i32_e32 v194, s22, v195
	v_lshlrev_b32_e32 v196, 2, v196
	v_or_b32_sdwa v199, v199, v200 dst_sel:DWORD dst_unused:UNUSED_PAD src0_sel:BYTE_0 src1_sel:DWORD
	v_and_b32_e32 v195, 0x3030303, v194
	v_bfe_u32 v194, v194, 24, 2
	v_and_b32_e32 v196, 0x4040404, v196
	v_or_b32_sdwa v193, v199, v193 dst_sel:DWORD dst_unused:UNUSED_PAD src0_sel:WORD_0 src1_sel:DWORD
	v_sub_u16_e32 v197, v195, v196
	v_sub_u16_sdwa v199, v195, v196 dst_sel:BYTE_1 dst_unused:UNUSED_PAD src0_sel:BYTE_1 src1_sel:BYTE_1
	v_sub_u16_sdwa v194, v194, v196 dst_sel:BYTE_1 dst_unused:UNUSED_PAD src0_sel:DWORD src1_sel:BYTE_3
	v_sub_u16_sdwa v195, v195, v196 dst_sel:DWORD dst_unused:UNUSED_PAD src0_sel:WORD_1 src1_sel:WORD_1
	v_or_b32_sdwa v197, v197, v199 dst_sel:DWORD dst_unused:UNUSED_PAD src0_sel:BYTE_0 src1_sel:DWORD
	v_or_b32_sdwa v194, v195, v194 dst_sel:WORD_1 dst_unused:UNUSED_PAD src0_sel:BYTE_0 src1_sel:DWORD
	v_or_b32_sdwa v195, v197, v194 dst_sel:DWORD dst_unused:UNUSED_PAD src0_sel:WORD_0 src1_sel:DWORD
	ds_read2_b32 v[196:197], v119 offset0:6 offset1:7
	s_waitcnt lgkmcnt(0)
	v_ashrrev_i32_e32 v119, s22, v196
	v_add_u32_e32 v196, 0x4218, v198
	ds_read2_b32 v[198:199], v196 offset1:1
	v_and_b32_e32 v194, 0x3030303, v119
	v_bfe_u32 v119, v119, 24, 2
	s_waitcnt lgkmcnt(0)
	v_ashrrev_i32_e32 v196, s18, v198
	v_lshlrev_b32_e32 v196, 2, v196
	v_and_b32_e32 v196, 0x4040404, v196
	v_sub_u16_e32 v198, v194, v196
	v_sub_u16_sdwa v200, v194, v196 dst_sel:BYTE_1 dst_unused:UNUSED_PAD src0_sel:BYTE_1 src1_sel:BYTE_1
	v_sub_u16_sdwa v119, v119, v196 dst_sel:BYTE_1 dst_unused:UNUSED_PAD src0_sel:DWORD src1_sel:BYTE_3
	v_sub_u16_sdwa v194, v194, v196 dst_sel:DWORD dst_unused:UNUSED_PAD src0_sel:WORD_1 src1_sel:WORD_1
	v_or_b32_sdwa v198, v198, v200 dst_sel:DWORD dst_unused:UNUSED_PAD src0_sel:BYTE_0 src1_sel:DWORD
	v_or_b32_sdwa v119, v194, v119 dst_sel:WORD_1 dst_unused:UNUSED_PAD src0_sel:BYTE_0 src1_sel:DWORD
	v_or_b32_sdwa v196, v198, v119 dst_sel:DWORD dst_unused:UNUSED_PAD src0_sel:WORD_0 src1_sel:DWORD
	v_ashrrev_i32_e32 v119, s22, v197
	v_ashrrev_i32_e32 v197, s18, v199
	v_lshlrev_b32_e32 v197, 2, v197
	v_and_b32_e32 v194, 0x3030303, v119
	v_bfe_u32 v119, v119, 24, 2
	v_and_b32_e32 v197, 0x4040404, v197
	v_sub_u16_e32 v198, v194, v197
	v_sub_u16_sdwa v199, v194, v197 dst_sel:BYTE_1 dst_unused:UNUSED_PAD src0_sel:BYTE_1 src1_sel:BYTE_1
	v_sub_u16_sdwa v119, v119, v197 dst_sel:BYTE_1 dst_unused:UNUSED_PAD src0_sel:DWORD src1_sel:BYTE_3
	v_sub_u16_sdwa v194, v194, v197 dst_sel:DWORD dst_unused:UNUSED_PAD src0_sel:WORD_1 src1_sel:WORD_1
	v_or_b32_sdwa v198, v198, v199 dst_sel:DWORD dst_unused:UNUSED_PAD src0_sel:BYTE_0 src1_sel:DWORD
	v_or_b32_sdwa v119, v194, v119 dst_sel:WORD_1 dst_unused:UNUSED_PAD src0_sel:BYTE_0 src1_sel:DWORD
	v_or_b32_sdwa v197, v198, v119 dst_sel:DWORD dst_unused:UNUSED_PAD src0_sel:WORD_0 src1_sel:DWORD
	v_add3_u32 v119, v145, s21, v118
	v_add_u32_e32 v194, s25, v133
	ds_read_b32 v194, v194
	ds_read_u16 v119, v119 offset:10242
	v_mov_b32_e32 v199, 0
	v_dot4c_i32_i8_e32 v199, v188, v4
	v_dot4c_i32_i8_e32 v199, v190, v5
	;; [unrolled: 1-line block ×3, first 2 shown]
	s_waitcnt lgkmcnt(0)
	v_lshrrev_b16_e32 v200, 8, v119
	v_bfe_i32 v198, v119, 0, 8
	v_mov_b32_e32 v119, 0
	v_dot4c_i32_i8_e32 v119, v193, v0
	v_dot4c_i32_i8_e32 v119, v195, v1
	;; [unrolled: 1-line block ×5, first 2 shown]
	v_bfe_i32 v200, v200, 0, 8
	v_mul_lo_u32 v202, v199, v198
	v_add3_u32 v118, v147, s21, v118
	v_mad_u64_u32 v[202:203], s[26:27], v119, v200, v[202:203]
	v_cvt_f32_i32_e32 v199, v202
	v_mul_f32_e32 v119, v116, v194
	s_mov_b32 s21, s20
	v_fmac_f32_e32 v81, v119, v199
	v_add_u32_e32 v119, s24, v135
	ds_read2_b32 v[202:203], v119 offset1:1
	s_waitcnt lgkmcnt(0)
	v_ashrrev_i32_e32 v199, s22, v202
	v_add_u32_e32 v202, 0x4200, v210
	ds_read2_b32 v[204:205], v202 offset1:1
	v_and_b32_e32 v201, 0x3030303, v199
	v_bfe_u32 v199, v199, 24, 2
	s_waitcnt lgkmcnt(0)
	v_ashrrev_i32_e32 v202, s18, v204
	v_lshlrev_b32_e32 v202, 2, v202
	v_and_b32_e32 v202, 0x4040404, v202
	v_sub_u16_e32 v204, v201, v202
	v_sub_u16_sdwa v206, v201, v202 dst_sel:BYTE_1 dst_unused:UNUSED_PAD src0_sel:BYTE_1 src1_sel:BYTE_1
	v_sub_u16_sdwa v199, v199, v202 dst_sel:BYTE_1 dst_unused:UNUSED_PAD src0_sel:DWORD src1_sel:BYTE_3
	v_sub_u16_sdwa v201, v201, v202 dst_sel:DWORD dst_unused:UNUSED_PAD src0_sel:WORD_1 src1_sel:WORD_1
	v_or_b32_sdwa v199, v201, v199 dst_sel:WORD_1 dst_unused:UNUSED_PAD src0_sel:BYTE_0 src1_sel:DWORD
	v_ashrrev_i32_e32 v201, s22, v203
	v_ashrrev_i32_e32 v203, s18, v205
	v_lshlrev_b32_e32 v203, 2, v203
	v_or_b32_sdwa v204, v204, v206 dst_sel:DWORD dst_unused:UNUSED_PAD src0_sel:BYTE_0 src1_sel:DWORD
	v_and_b32_e32 v202, 0x3030303, v201
	v_bfe_u32 v201, v201, 24, 2
	v_and_b32_e32 v203, 0x4040404, v203
	v_or_b32_sdwa v199, v204, v199 dst_sel:DWORD dst_unused:UNUSED_PAD src0_sel:WORD_0 src1_sel:DWORD
	v_sub_u16_e32 v204, v202, v203
	v_sub_u16_sdwa v205, v202, v203 dst_sel:BYTE_1 dst_unused:UNUSED_PAD src0_sel:BYTE_1 src1_sel:BYTE_1
	v_sub_u16_sdwa v201, v201, v203 dst_sel:BYTE_1 dst_unused:UNUSED_PAD src0_sel:DWORD src1_sel:BYTE_3
	v_sub_u16_sdwa v202, v202, v203 dst_sel:DWORD dst_unused:UNUSED_PAD src0_sel:WORD_1 src1_sel:WORD_1
	v_or_b32_sdwa v204, v204, v205 dst_sel:DWORD dst_unused:UNUSED_PAD src0_sel:BYTE_0 src1_sel:DWORD
	v_or_b32_sdwa v201, v202, v201 dst_sel:WORD_1 dst_unused:UNUSED_PAD src0_sel:BYTE_0 src1_sel:DWORD
	v_or_b32_sdwa v201, v204, v201 dst_sel:DWORD dst_unused:UNUSED_PAD src0_sel:WORD_0 src1_sel:DWORD
	v_add_u32_e32 v204, 0x4208, v210
	ds_read2_b32 v[202:203], v119 offset0:2 offset1:3
	ds_read2_b32 v[204:205], v204 offset1:1
	s_waitcnt lgkmcnt(1)
	v_ashrrev_i32_e32 v202, s22, v202
	s_waitcnt lgkmcnt(0)
	v_ashrrev_i32_e32 v204, s18, v204
	v_lshlrev_b32_e32 v204, 2, v204
	v_and_b32_e32 v206, 0x3030303, v202
	v_bfe_u32 v202, v202, 24, 2
	v_and_b32_e32 v204, 0x4040404, v204
	v_ashrrev_i32_e32 v205, s18, v205
	v_sub_u16_e32 v207, v206, v204
	v_sub_u16_sdwa v208, v206, v204 dst_sel:BYTE_1 dst_unused:UNUSED_PAD src0_sel:BYTE_1 src1_sel:BYTE_1
	v_sub_u16_sdwa v202, v202, v204 dst_sel:BYTE_1 dst_unused:UNUSED_PAD src0_sel:DWORD src1_sel:BYTE_3
	v_sub_u16_sdwa v204, v206, v204 dst_sel:DWORD dst_unused:UNUSED_PAD src0_sel:WORD_1 src1_sel:WORD_1
	v_ashrrev_i32_e32 v203, s22, v203
	v_lshlrev_b32_e32 v205, 2, v205
	v_or_b32_sdwa v207, v207, v208 dst_sel:DWORD dst_unused:UNUSED_PAD src0_sel:BYTE_0 src1_sel:DWORD
	v_or_b32_sdwa v202, v204, v202 dst_sel:WORD_1 dst_unused:UNUSED_PAD src0_sel:BYTE_0 src1_sel:DWORD
	v_and_b32_e32 v204, 0x3030303, v203
	v_bfe_u32 v203, v203, 24, 2
	v_and_b32_e32 v205, 0x4040404, v205
	v_or_b32_sdwa v202, v207, v202 dst_sel:DWORD dst_unused:UNUSED_PAD src0_sel:WORD_0 src1_sel:DWORD
	v_sub_u16_e32 v206, v204, v205
	v_sub_u16_sdwa v207, v204, v205 dst_sel:BYTE_1 dst_unused:UNUSED_PAD src0_sel:BYTE_1 src1_sel:BYTE_1
	v_sub_u16_sdwa v203, v203, v205 dst_sel:BYTE_1 dst_unused:UNUSED_PAD src0_sel:DWORD src1_sel:BYTE_3
	v_sub_u16_sdwa v204, v204, v205 dst_sel:DWORD dst_unused:UNUSED_PAD src0_sel:WORD_1 src1_sel:WORD_1
	v_or_b32_sdwa v206, v206, v207 dst_sel:DWORD dst_unused:UNUSED_PAD src0_sel:BYTE_0 src1_sel:DWORD
	v_or_b32_sdwa v203, v204, v203 dst_sel:WORD_1 dst_unused:UNUSED_PAD src0_sel:BYTE_0 src1_sel:DWORD
	v_or_b32_sdwa v203, v206, v203 dst_sel:DWORD dst_unused:UNUSED_PAD src0_sel:WORD_0 src1_sel:DWORD
	v_add_u32_e32 v206, 0x4210, v210
	ds_read2_b32 v[204:205], v119 offset0:4 offset1:5
	ds_read2_b32 v[206:207], v206 offset1:1
	s_waitcnt lgkmcnt(1)
	v_ashrrev_i32_e32 v204, s22, v204
	s_waitcnt lgkmcnt(0)
	v_ashrrev_i32_e32 v206, s18, v206
	v_lshlrev_b32_e32 v206, 2, v206
	v_and_b32_e32 v208, 0x3030303, v204
	v_bfe_u32 v204, v204, 24, 2
	v_and_b32_e32 v206, 0x4040404, v206
	v_ashrrev_i32_e32 v207, s18, v207
	v_sub_u16_e32 v209, v208, v206
	v_sub_u16_sdwa v211, v208, v206 dst_sel:BYTE_1 dst_unused:UNUSED_PAD src0_sel:BYTE_1 src1_sel:BYTE_1
	v_sub_u16_sdwa v204, v204, v206 dst_sel:BYTE_1 dst_unused:UNUSED_PAD src0_sel:DWORD src1_sel:BYTE_3
	v_sub_u16_sdwa v206, v208, v206 dst_sel:DWORD dst_unused:UNUSED_PAD src0_sel:WORD_1 src1_sel:WORD_1
	v_ashrrev_i32_e32 v205, s22, v205
	v_lshlrev_b32_e32 v207, 2, v207
	v_or_b32_sdwa v209, v209, v211 dst_sel:DWORD dst_unused:UNUSED_PAD src0_sel:BYTE_0 src1_sel:DWORD
	v_or_b32_sdwa v204, v206, v204 dst_sel:WORD_1 dst_unused:UNUSED_PAD src0_sel:BYTE_0 src1_sel:DWORD
	v_and_b32_e32 v206, 0x3030303, v205
	v_bfe_u32 v205, v205, 24, 2
	v_and_b32_e32 v207, 0x4040404, v207
	v_or_b32_sdwa v204, v209, v204 dst_sel:DWORD dst_unused:UNUSED_PAD src0_sel:WORD_0 src1_sel:DWORD
	v_sub_u16_e32 v208, v206, v207
	v_sub_u16_sdwa v209, v206, v207 dst_sel:BYTE_1 dst_unused:UNUSED_PAD src0_sel:BYTE_1 src1_sel:BYTE_1
	v_sub_u16_sdwa v205, v205, v207 dst_sel:BYTE_1 dst_unused:UNUSED_PAD src0_sel:DWORD src1_sel:BYTE_3
	v_sub_u16_sdwa v206, v206, v207 dst_sel:DWORD dst_unused:UNUSED_PAD src0_sel:WORD_1 src1_sel:WORD_1
	v_or_b32_sdwa v208, v208, v209 dst_sel:DWORD dst_unused:UNUSED_PAD src0_sel:BYTE_0 src1_sel:DWORD
	v_or_b32_sdwa v205, v206, v205 dst_sel:WORD_1 dst_unused:UNUSED_PAD src0_sel:BYTE_0 src1_sel:DWORD
	v_add_u32_e32 v207, 0x4218, v210
	v_or_b32_sdwa v206, v208, v205 dst_sel:DWORD dst_unused:UNUSED_PAD src0_sel:WORD_0 src1_sel:DWORD
	ds_read2_b32 v[208:209], v119 offset0:6 offset1:7
	ds_read2_b32 v[210:211], v207 offset1:1
	s_waitcnt lgkmcnt(1)
	v_ashrrev_i32_e32 v119, s22, v208
	s_waitcnt lgkmcnt(0)
	v_ashrrev_i32_e32 v207, s18, v210
	v_lshlrev_b32_e32 v207, 2, v207
	v_and_b32_e32 v205, 0x3030303, v119
	v_bfe_u32 v119, v119, 24, 2
	v_and_b32_e32 v207, 0x4040404, v207
	v_sub_u16_e32 v208, v205, v207
	v_sub_u16_sdwa v210, v205, v207 dst_sel:BYTE_1 dst_unused:UNUSED_PAD src0_sel:BYTE_1 src1_sel:BYTE_1
	v_sub_u16_sdwa v119, v119, v207 dst_sel:BYTE_1 dst_unused:UNUSED_PAD src0_sel:DWORD src1_sel:BYTE_3
	v_sub_u16_sdwa v205, v205, v207 dst_sel:DWORD dst_unused:UNUSED_PAD src0_sel:WORD_1 src1_sel:WORD_1
	v_or_b32_sdwa v208, v208, v210 dst_sel:DWORD dst_unused:UNUSED_PAD src0_sel:BYTE_0 src1_sel:DWORD
	v_or_b32_sdwa v119, v205, v119 dst_sel:WORD_1 dst_unused:UNUSED_PAD src0_sel:BYTE_0 src1_sel:DWORD
	v_or_b32_sdwa v207, v208, v119 dst_sel:DWORD dst_unused:UNUSED_PAD src0_sel:WORD_0 src1_sel:DWORD
	v_ashrrev_i32_e32 v208, s18, v211
	v_ashrrev_i32_e32 v119, s22, v209
	v_lshlrev_b32_e32 v208, 2, v208
	v_and_b32_e32 v205, 0x3030303, v119
	v_bfe_u32 v119, v119, 24, 2
	v_and_b32_e32 v208, 0x4040404, v208
	v_sub_u16_e32 v209, v205, v208
	v_sub_u16_sdwa v210, v205, v208 dst_sel:BYTE_1 dst_unused:UNUSED_PAD src0_sel:BYTE_1 src1_sel:BYTE_1
	v_sub_u16_sdwa v119, v119, v208 dst_sel:BYTE_1 dst_unused:UNUSED_PAD src0_sel:DWORD src1_sel:BYTE_3
	v_sub_u16_sdwa v205, v205, v208 dst_sel:DWORD dst_unused:UNUSED_PAD src0_sel:WORD_1 src1_sel:WORD_1
	v_or_b32_sdwa v209, v209, v210 dst_sel:DWORD dst_unused:UNUSED_PAD src0_sel:BYTE_0 src1_sel:DWORD
	v_or_b32_sdwa v119, v205, v119 dst_sel:WORD_1 dst_unused:UNUSED_PAD src0_sel:BYTE_0 src1_sel:DWORD
	v_or_b32_sdwa v208, v209, v119 dst_sel:DWORD dst_unused:UNUSED_PAD src0_sel:WORD_0 src1_sel:DWORD
	v_add_u32_e32 v119, s25, v136
	ds_read_b32 v205, v119
	v_mov_b32_e32 v119, 0
	v_dot4c_i32_i8_e32 v119, v199, v4
	ds_read_u16 v4, v118 offset:11266
	v_dot4c_i32_i8_e32 v119, v201, v5
	v_dot4c_i32_i8_e32 v119, v202, v6
	v_mov_b32_e32 v6, 0
	v_dot4c_i32_i8_e32 v6, v204, v0
	v_dot4c_i32_i8_e32 v6, v206, v1
	;; [unrolled: 1-line block ×3, first 2 shown]
	s_waitcnt lgkmcnt(0)
	v_lshrrev_b16_e32 v5, 8, v4
	v_bfe_i32 v209, v4, 0, 8
	v_dot4c_i32_i8_e32 v6, v207, v2
	v_mul_lo_u32 v4, v119, v209
	v_dot4c_i32_i8_e32 v6, v208, v3
	v_bfe_i32 v210, v5, 0, 8
	v_mov_b32_e32 v118, 0
	s_add_i32 s18, s18, 1
	v_mad_u64_u32 v[0:1], s[22:23], v6, v210, v[4:5]
	v_cvt_f32_i32_e32 v0, v0
	v_mul_f32_e32 v1, v116, v205
	v_mov_b32_e32 v116, 0
	s_cmp_lt_u32 s20, 14
	v_fmac_f32_e32 v79, v1, v0
	ds_read_b128 v[0:3], v165 offset:26368
	ds_read_b128 v[4:7], v165 offset:26384
	s_waitcnt lgkmcnt(1)
	v_dot4c_i32_i8_e32 v116, v167, v0
	v_dot4c_i32_i8_e32 v116, v168, v1
	s_waitcnt lgkmcnt(0)
	v_dot4c_i32_i8_e32 v118, v172, v4
	v_dot4c_i32_i8_e32 v116, v169, v2
	;; [unrolled: 1-line block ×6, first 2 shown]
	s_nop 0
	v_mul_lo_u32 v116, v116, v176
	s_nop 0
	v_mad_u64_u32 v[118:119], s[22:23], v118, v178, v[116:117]
	v_cvt_f32_i32_e32 v118, v118
	v_mul_f32_e32 v116, v171, v117
	v_fmac_f32_e32 v71, v116, v118
	v_mov_b32_e32 v116, 0
	v_dot4c_i32_i8_e32 v116, v177, v0
	v_mov_b32_e32 v118, 0
	v_dot4c_i32_i8_e32 v116, v179, v1
	v_dot4c_i32_i8_e32 v118, v182, v4
	;; [unrolled: 1-line block ×7, first 2 shown]
	s_nop 0
	v_mul_lo_u32 v116, v116, v187
	s_nop 0
	v_mad_u64_u32 v[118:119], s[22:23], v118, v189, v[116:117]
	v_cvt_f32_i32_e32 v118, v118
	v_mul_f32_e32 v116, v183, v117
	v_fmac_f32_e32 v69, v116, v118
	v_mov_b32_e32 v116, 0
	v_dot4c_i32_i8_e32 v116, v188, v0
	v_mov_b32_e32 v118, 0
	v_dot4c_i32_i8_e32 v116, v190, v1
	v_dot4c_i32_i8_e32 v118, v193, v4
	;; [unrolled: 1-line block ×7, first 2 shown]
	s_nop 0
	v_mul_lo_u32 v116, v116, v198
	s_nop 0
	v_mad_u64_u32 v[118:119], s[22:23], v118, v200, v[116:117]
	v_cvt_f32_i32_e32 v118, v118
	v_mul_f32_e32 v116, v194, v117
	v_fmac_f32_e32 v67, v116, v118
	v_mov_b32_e32 v116, 0
	v_dot4c_i32_i8_e32 v116, v199, v0
	v_dot4c_i32_i8_e32 v116, v201, v1
	v_mov_b32_e32 v1, 0
	v_dot4c_i32_i8_e32 v1, v204, v4
	v_dot4c_i32_i8_e32 v116, v202, v2
	;; [unrolled: 1-line block ×6, first 2 shown]
	s_nop 0
	v_mul_lo_u32 v0, v116, v209
	s_nop 0
	v_mad_u64_u32 v[0:1], s[22:23], v1, v210, v[0:1]
	v_cvt_f32_i32_e32 v0, v0
	v_mul_f32_e32 v1, v205, v117
	v_fmac_f32_e32 v65, v1, v0
	v_add_u32_e32 v0, 0x9800, v166
	ds_read2_b32 v[6:7], v0 offset0:40 offset1:72
	ds_read_b128 v[2:5], v165 offset:27392
	ds_read_b128 v[116:119], v165 offset:27408
	v_mov_b32_e32 v1, 0
	v_add_u32_e32 v166, 4, v166
	s_waitcnt lgkmcnt(1)
	v_dot4c_i32_i8_e32 v1, v167, v2
	v_dot4c_i32_i8_e32 v1, v168, v3
	;; [unrolled: 1-line block ×4, first 2 shown]
	s_nop 2
	v_mul_lo_u32 v212, v1, v176
	v_mov_b32_e32 v1, 0
	s_waitcnt lgkmcnt(0)
	v_dot4c_i32_i8_e32 v1, v172, v116
	v_dot4c_i32_i8_e32 v1, v173, v117
	;; [unrolled: 1-line block ×4, first 2 shown]
	s_nop 2
	v_mad_u64_u32 v[212:213], s[22:23], v1, v178, v[212:213]
	v_cvt_f32_i32_e32 v211, v212
	v_mul_f32_e32 v1, v171, v6
	v_fmac_f32_e32 v61, v1, v211
	v_mov_b32_e32 v1, 0
	v_dot4c_i32_i8_e32 v1, v177, v2
	v_dot4c_i32_i8_e32 v1, v179, v3
	;; [unrolled: 1-line block ×4, first 2 shown]
	s_nop 2
	v_mul_lo_u32 v212, v1, v187
	v_mov_b32_e32 v1, 0
	v_dot4c_i32_i8_e32 v1, v182, v116
	v_dot4c_i32_i8_e32 v1, v184, v117
	;; [unrolled: 1-line block ×4, first 2 shown]
	s_nop 2
	v_mad_u64_u32 v[212:213], s[22:23], v1, v189, v[212:213]
	v_cvt_f32_i32_e32 v211, v212
	v_mul_f32_e32 v1, v183, v6
	v_fmac_f32_e32 v57, v1, v211
	v_mov_b32_e32 v1, 0
	v_dot4c_i32_i8_e32 v1, v188, v2
	v_dot4c_i32_i8_e32 v1, v190, v3
	;; [unrolled: 1-line block ×4, first 2 shown]
	s_nop 2
	v_mul_lo_u32 v212, v1, v198
	v_mov_b32_e32 v1, 0
	v_dot4c_i32_i8_e32 v1, v193, v116
	v_dot4c_i32_i8_e32 v1, v195, v117
	;; [unrolled: 1-line block ×4, first 2 shown]
	s_nop 2
	v_mad_u64_u32 v[212:213], s[22:23], v1, v200, v[212:213]
	v_cvt_f32_i32_e32 v211, v212
	v_mul_f32_e32 v1, v194, v6
	v_fmac_f32_e32 v55, v1, v211
	v_mov_b32_e32 v1, 0
	v_dot4c_i32_i8_e32 v1, v199, v2
	v_dot4c_i32_i8_e32 v1, v201, v3
	;; [unrolled: 1-line block ×4, first 2 shown]
                                        ; kill: def $vgpr3 killed $sgpr0 killed $exec
	s_nop 2
	v_mul_lo_u32 v2, v1, v209
	v_mov_b32_e32 v1, 0
	v_dot4c_i32_i8_e32 v1, v204, v116
	v_dot4c_i32_i8_e32 v1, v206, v117
	;; [unrolled: 1-line block ×4, first 2 shown]
	s_nop 2
	v_mad_u64_u32 v[2:3], s[22:23], v1, v210, v[2:3]
	v_cvt_f32_i32_e32 v2, v2
	v_mul_f32_e32 v1, v205, v6
	v_fmac_f32_e32 v53, v1, v2
	ds_read_b128 v[2:5], v165 offset:28416
	ds_read_b128 v[116:119], v165 offset:28432
	v_mov_b32_e32 v1, 0
	s_waitcnt lgkmcnt(1)
	v_dot4c_i32_i8_e32 v1, v167, v2
	v_dot4c_i32_i8_e32 v1, v168, v3
	;; [unrolled: 1-line block ×4, first 2 shown]
	s_nop 2
	v_mul_lo_u32 v6, v1, v176
	v_mov_b32_e32 v1, 0
	s_waitcnt lgkmcnt(0)
	v_dot4c_i32_i8_e32 v1, v172, v116
	v_dot4c_i32_i8_e32 v1, v173, v117
	;; [unrolled: 1-line block ×4, first 2 shown]
	s_nop 2
	v_mad_u64_u32 v[212:213], s[22:23], v1, v178, v[6:7]
	v_cvt_f32_i32_e32 v6, v212
	v_mul_f32_e32 v1, v171, v7
	v_fmac_f32_e32 v51, v1, v6
	v_mov_b32_e32 v1, 0
	v_dot4c_i32_i8_e32 v1, v177, v2
	v_dot4c_i32_i8_e32 v1, v179, v3
	;; [unrolled: 1-line block ×4, first 2 shown]
	s_nop 2
	v_mul_lo_u32 v6, v1, v187
	v_mov_b32_e32 v1, 0
	v_dot4c_i32_i8_e32 v1, v182, v116
	v_dot4c_i32_i8_e32 v1, v184, v117
	;; [unrolled: 1-line block ×4, first 2 shown]
	s_nop 2
	v_mad_u64_u32 v[212:213], s[22:23], v1, v189, v[6:7]
	v_cvt_f32_i32_e32 v6, v212
	v_mul_f32_e32 v1, v183, v7
	v_fmac_f32_e32 v49, v1, v6
	v_mov_b32_e32 v1, 0
	v_dot4c_i32_i8_e32 v1, v188, v2
	v_dot4c_i32_i8_e32 v1, v190, v3
	;; [unrolled: 1-line block ×4, first 2 shown]
	s_nop 2
	v_mul_lo_u32 v6, v1, v198
	v_mov_b32_e32 v1, 0
	v_dot4c_i32_i8_e32 v1, v193, v116
	v_dot4c_i32_i8_e32 v1, v195, v117
	;; [unrolled: 1-line block ×4, first 2 shown]
	s_nop 2
	v_mad_u64_u32 v[212:213], s[22:23], v1, v200, v[6:7]
	v_cvt_f32_i32_e32 v6, v212
	v_mul_f32_e32 v1, v194, v7
	v_fmac_f32_e32 v47, v1, v6
	v_mov_b32_e32 v1, 0
	v_dot4c_i32_i8_e32 v1, v199, v2
	v_dot4c_i32_i8_e32 v1, v201, v3
	;; [unrolled: 1-line block ×4, first 2 shown]
                                        ; kill: def $vgpr3 killed $sgpr0 killed $exec
	s_nop 2
	v_mul_lo_u32 v2, v1, v209
	v_mov_b32_e32 v1, 0
	v_dot4c_i32_i8_e32 v1, v204, v116
	v_dot4c_i32_i8_e32 v1, v206, v117
	;; [unrolled: 1-line block ×4, first 2 shown]
	s_nop 2
	v_mad_u64_u32 v[2:3], s[22:23], v1, v210, v[2:3]
	v_cvt_f32_i32_e32 v2, v2
	v_mul_f32_e32 v1, v205, v7
	v_fmac_f32_e32 v45, v1, v2
	ds_read2_b32 v[6:7], v0 offset0:104 offset1:136
	ds_read_b128 v[2:5], v165 offset:29440
	ds_read_b128 v[116:119], v165 offset:29456
	v_mov_b32_e32 v1, 0
	s_waitcnt lgkmcnt(1)
	v_dot4c_i32_i8_e32 v1, v167, v2
	v_dot4c_i32_i8_e32 v1, v168, v3
	;; [unrolled: 1-line block ×4, first 2 shown]
	s_nop 2
	v_mul_lo_u32 v212, v1, v176
	v_mov_b32_e32 v1, 0
	s_waitcnt lgkmcnt(0)
	v_dot4c_i32_i8_e32 v1, v172, v116
	v_dot4c_i32_i8_e32 v1, v173, v117
	;; [unrolled: 1-line block ×4, first 2 shown]
	s_nop 2
	v_mad_u64_u32 v[212:213], s[22:23], v1, v178, v[212:213]
	v_cvt_f32_i32_e32 v211, v212
	v_mul_f32_e32 v1, v171, v6
	v_fmac_f32_e32 v43, v1, v211
	v_mov_b32_e32 v1, 0
	v_dot4c_i32_i8_e32 v1, v177, v2
	v_dot4c_i32_i8_e32 v1, v179, v3
	;; [unrolled: 1-line block ×4, first 2 shown]
	s_nop 2
	v_mul_lo_u32 v212, v1, v187
	v_mov_b32_e32 v1, 0
	v_dot4c_i32_i8_e32 v1, v182, v116
	v_dot4c_i32_i8_e32 v1, v184, v117
	;; [unrolled: 1-line block ×4, first 2 shown]
	s_nop 2
	v_mad_u64_u32 v[212:213], s[22:23], v1, v189, v[212:213]
	v_cvt_f32_i32_e32 v211, v212
	v_mul_f32_e32 v1, v183, v6
	v_fmac_f32_e32 v39, v1, v211
	v_mov_b32_e32 v1, 0
	v_dot4c_i32_i8_e32 v1, v188, v2
	v_dot4c_i32_i8_e32 v1, v190, v3
	;; [unrolled: 1-line block ×4, first 2 shown]
	s_nop 2
	v_mul_lo_u32 v212, v1, v198
	v_mov_b32_e32 v1, 0
	v_dot4c_i32_i8_e32 v1, v193, v116
	v_dot4c_i32_i8_e32 v1, v195, v117
	;; [unrolled: 1-line block ×4, first 2 shown]
	s_nop 2
	v_mad_u64_u32 v[212:213], s[22:23], v1, v200, v[212:213]
	v_cvt_f32_i32_e32 v211, v212
	v_mul_f32_e32 v1, v194, v6
	v_fmac_f32_e32 v35, v1, v211
	v_mov_b32_e32 v1, 0
	v_dot4c_i32_i8_e32 v1, v199, v2
	v_dot4c_i32_i8_e32 v1, v201, v3
	;; [unrolled: 1-line block ×4, first 2 shown]
                                        ; kill: def $vgpr3 killed $sgpr0 killed $exec
	s_nop 2
	v_mul_lo_u32 v2, v1, v209
	v_mov_b32_e32 v1, 0
	v_dot4c_i32_i8_e32 v1, v204, v116
	v_dot4c_i32_i8_e32 v1, v206, v117
	;; [unrolled: 1-line block ×4, first 2 shown]
	s_nop 2
	v_mad_u64_u32 v[2:3], s[22:23], v1, v210, v[2:3]
	v_cvt_f32_i32_e32 v2, v2
	v_mul_f32_e32 v1, v205, v6
	v_fmac_f32_e32 v33, v1, v2
	ds_read_b128 v[2:5], v165 offset:30464
	ds_read_b128 v[116:119], v165 offset:30480
	v_mov_b32_e32 v1, 0
	s_waitcnt lgkmcnt(1)
	v_dot4c_i32_i8_e32 v1, v167, v2
	v_dot4c_i32_i8_e32 v1, v168, v3
	;; [unrolled: 1-line block ×4, first 2 shown]
	s_nop 2
	v_mul_lo_u32 v6, v1, v176
	v_mov_b32_e32 v1, 0
	s_waitcnt lgkmcnt(0)
	v_dot4c_i32_i8_e32 v1, v172, v116
	v_dot4c_i32_i8_e32 v1, v173, v117
	;; [unrolled: 1-line block ×4, first 2 shown]
	s_nop 2
	v_mad_u64_u32 v[212:213], s[22:23], v1, v178, v[6:7]
	v_cvt_f32_i32_e32 v6, v212
	v_mul_f32_e32 v1, v171, v7
	v_fmac_f32_e32 v31, v1, v6
	v_mov_b32_e32 v1, 0
	v_dot4c_i32_i8_e32 v1, v177, v2
	v_dot4c_i32_i8_e32 v1, v179, v3
	;; [unrolled: 1-line block ×4, first 2 shown]
	s_nop 2
	v_mul_lo_u32 v6, v1, v187
	v_mov_b32_e32 v1, 0
	v_dot4c_i32_i8_e32 v1, v182, v116
	v_dot4c_i32_i8_e32 v1, v184, v117
	;; [unrolled: 1-line block ×4, first 2 shown]
	s_nop 2
	v_mad_u64_u32 v[212:213], s[22:23], v1, v189, v[6:7]
	v_cvt_f32_i32_e32 v6, v212
	v_mul_f32_e32 v1, v183, v7
	v_fmac_f32_e32 v29, v1, v6
	v_mov_b32_e32 v1, 0
	v_dot4c_i32_i8_e32 v1, v188, v2
	v_dot4c_i32_i8_e32 v1, v190, v3
	;; [unrolled: 1-line block ×4, first 2 shown]
	s_nop 2
	v_mul_lo_u32 v6, v1, v198
	v_mov_b32_e32 v1, 0
	v_dot4c_i32_i8_e32 v1, v193, v116
	v_dot4c_i32_i8_e32 v1, v195, v117
	;; [unrolled: 1-line block ×4, first 2 shown]
	s_nop 2
	v_mad_u64_u32 v[212:213], s[22:23], v1, v200, v[6:7]
	v_cvt_f32_i32_e32 v6, v212
	v_mul_f32_e32 v1, v194, v7
	v_fmac_f32_e32 v27, v1, v6
	v_mov_b32_e32 v1, 0
	v_dot4c_i32_i8_e32 v1, v199, v2
	v_dot4c_i32_i8_e32 v1, v201, v3
	;; [unrolled: 1-line block ×4, first 2 shown]
                                        ; kill: def $vgpr3 killed $sgpr0 killed $exec
	s_nop 2
	v_mul_lo_u32 v2, v1, v209
	v_mov_b32_e32 v1, 0
	v_dot4c_i32_i8_e32 v1, v204, v116
	v_dot4c_i32_i8_e32 v1, v206, v117
	v_dot4c_i32_i8_e32 v1, v207, v118
	v_dot4c_i32_i8_e32 v1, v208, v119
	v_mov_b32_e32 v118, 0
	v_mov_b32_e32 v119, 0
	s_nop 0
	v_mad_u64_u32 v[2:3], s[22:23], v1, v210, v[2:3]
	v_cvt_f32_i32_e32 v2, v2
	v_mul_f32_e32 v1, v205, v7
	v_fmac_f32_e32 v25, v1, v2
	ds_read2_b32 v[116:117], v0 offset0:168 offset1:200
	ds_read_b128 v[4:7], v165 offset:31488
	ds_read_b128 v[0:3], v165 offset:31504
	s_waitcnt lgkmcnt(1)
	v_dot4c_i32_i8_e32 v118, v167, v4
	v_dot4c_i32_i8_e32 v118, v168, v5
	s_waitcnt lgkmcnt(0)
	v_dot4c_i32_i8_e32 v119, v172, v0
	v_dot4c_i32_i8_e32 v118, v169, v6
	;; [unrolled: 1-line block ×6, first 2 shown]
	s_nop 0
	v_mul_lo_u32 v118, v118, v176
	s_nop 0
	v_mad_u64_u32 v[118:119], s[22:23], v119, v178, v[118:119]
	v_cvt_f32_i32_e32 v118, v118
	v_mul_f32_e32 v119, v171, v116
	v_fmac_f32_e32 v23, v119, v118
	v_mov_b32_e32 v118, 0
	v_dot4c_i32_i8_e32 v118, v177, v4
	v_mov_b32_e32 v119, 0
	v_dot4c_i32_i8_e32 v118, v179, v5
	v_dot4c_i32_i8_e32 v119, v182, v0
	;; [unrolled: 1-line block ×7, first 2 shown]
	s_nop 0
	v_mul_lo_u32 v118, v118, v187
	s_nop 0
	v_mad_u64_u32 v[118:119], s[22:23], v119, v189, v[118:119]
	v_cvt_f32_i32_e32 v118, v118
	v_mul_f32_e32 v119, v183, v116
	v_fmac_f32_e32 v21, v119, v118
	v_mov_b32_e32 v118, 0
	v_dot4c_i32_i8_e32 v118, v188, v4
	v_mov_b32_e32 v119, 0
	v_dot4c_i32_i8_e32 v118, v190, v5
	v_dot4c_i32_i8_e32 v119, v193, v0
	;; [unrolled: 1-line block ×7, first 2 shown]
	s_nop 0
	v_mul_lo_u32 v118, v118, v198
	s_nop 0
	v_mad_u64_u32 v[118:119], s[22:23], v119, v200, v[118:119]
	v_cvt_f32_i32_e32 v118, v118
	v_mul_f32_e32 v119, v194, v116
	v_fmac_f32_e32 v19, v119, v118
	v_mov_b32_e32 v118, 0
	v_dot4c_i32_i8_e32 v118, v199, v4
	v_dot4c_i32_i8_e32 v118, v201, v5
	v_mov_b32_e32 v5, 0
	v_dot4c_i32_i8_e32 v5, v204, v0
	v_dot4c_i32_i8_e32 v118, v202, v6
	;; [unrolled: 1-line block ×6, first 2 shown]
	s_nop 0
	v_mul_lo_u32 v4, v118, v209
	v_mov_b32_e32 v118, 0
	v_mad_u64_u32 v[0:1], s[22:23], v5, v210, v[4:5]
	v_cvt_f32_i32_e32 v0, v0
	v_mul_f32_e32 v1, v205, v116
	v_mov_b32_e32 v116, 0
	v_fmac_f32_e32 v17, v1, v0
	ds_read_b128 v[0:3], v165 offset:32512
	ds_read_b128 v[4:7], v165 offset:32528
	v_add_u32_e32 v165, 32, v165
	s_waitcnt lgkmcnt(1)
	v_dot4c_i32_i8_e32 v116, v167, v0
	v_dot4c_i32_i8_e32 v116, v168, v1
	s_waitcnt lgkmcnt(0)
	v_dot4c_i32_i8_e32 v118, v172, v4
	v_dot4c_i32_i8_e32 v116, v169, v2
	v_dot4c_i32_i8_e32 v118, v173, v5
	v_dot4c_i32_i8_e32 v116, v170, v3
	v_dot4c_i32_i8_e32 v118, v174, v6
	v_dot4c_i32_i8_e32 v118, v175, v7
	s_nop 0
	v_mul_lo_u32 v116, v116, v176
	s_nop 0
	v_mad_u64_u32 v[118:119], s[22:23], v118, v178, v[116:117]
	v_cvt_f32_i32_e32 v118, v118
	v_mul_f32_e32 v116, v171, v117
	v_fmac_f32_e32 v15, v116, v118
	v_mov_b32_e32 v116, 0
	v_dot4c_i32_i8_e32 v116, v177, v0
	v_mov_b32_e32 v118, 0
	v_dot4c_i32_i8_e32 v116, v179, v1
	v_dot4c_i32_i8_e32 v118, v182, v4
	;; [unrolled: 1-line block ×7, first 2 shown]
	s_nop 0
	v_mul_lo_u32 v116, v116, v187
	s_nop 0
	v_mad_u64_u32 v[118:119], s[22:23], v118, v189, v[116:117]
	v_cvt_f32_i32_e32 v118, v118
	v_mul_f32_e32 v116, v183, v117
	v_fmac_f32_e32 v13, v116, v118
	v_mov_b32_e32 v116, 0
	v_dot4c_i32_i8_e32 v116, v188, v0
	v_mov_b32_e32 v118, 0
	v_dot4c_i32_i8_e32 v116, v190, v1
	v_dot4c_i32_i8_e32 v118, v193, v4
	;; [unrolled: 1-line block ×7, first 2 shown]
	s_nop 0
	v_mul_lo_u32 v116, v116, v198
	s_nop 0
	v_mad_u64_u32 v[118:119], s[22:23], v118, v200, v[116:117]
	v_cvt_f32_i32_e32 v118, v118
	v_mul_f32_e32 v116, v194, v117
	v_fmac_f32_e32 v11, v116, v118
	v_mov_b32_e32 v116, 0
	v_dot4c_i32_i8_e32 v116, v199, v0
	v_dot4c_i32_i8_e32 v116, v201, v1
	v_mov_b32_e32 v1, 0
	v_dot4c_i32_i8_e32 v1, v204, v4
	v_dot4c_i32_i8_e32 v116, v202, v2
	;; [unrolled: 1-line block ×6, first 2 shown]
	s_nop 0
	v_mul_lo_u32 v0, v116, v209
	s_nop 0
	v_mad_u64_u32 v[0:1], s[22:23], v1, v210, v[0:1]
	v_cvt_f32_i32_e32 v0, v0
	v_mul_f32_e32 v1, v205, v117
	v_fmac_f32_e32 v9, v1, v0
	s_cbranch_scc1 .LBB130_9
; %bb.10:                               ;   in Loop: Header=BB130_6 Depth=1
	s_or_b32 s18, s7, 1
	s_cmp_ge_i32 s18, s4
	s_barrier
	s_cbranch_scc1 .LBB130_5
; %bb.11:                               ;   in Loop: Header=BB130_6 Depth=1
	v_add_u32_e32 v165, s17, v138
	v_add_u32_e32 v0, v165, v87
	;; [unrolled: 1-line block ×9, first 2 shown]
	v_mad_i64_i32 v[168:169], s[18:19], v165, 36, v[112:113]
	v_add_u32_e32 v165, 8, v164
	v_mad_i64_i32 v[0:1], s[18:19], v0, 36, v[112:113]
	v_mad_i64_i32 v[2:3], s[18:19], v2, 36, v[112:113]
	;; [unrolled: 1-line block ×4, first 2 shown]
	v_mad_u64_u32 v[170:171], s[18:19], v165, 36, s[2:3]
	v_mad_i64_i32 v[116:117], s[18:19], v116, 36, v[112:113]
	v_mad_i64_i32 v[118:119], s[18:19], v118, 36, v[112:113]
	;; [unrolled: 1-line block ×3, first 2 shown]
	global_load_dword v170, v[170:171], off
	s_nop 0
	global_load_dword v0, v[0:1], off offset:4
	s_nop 0
	global_load_dword v1, v[2:3], off offset:4
	;; [unrolled: 2-line block ×3, first 2 shown]
	global_load_dword v3, v[6:7], off offset:4
	s_nop 0
	global_load_dword v4, v[116:117], off offset:4
	global_load_dword v5, v[118:119], off offset:4
	;; [unrolled: 1-line block ×4, first 2 shown]
	s_mov_b32 s18, 16
	s_mov_b32 s21, 14
	;; [unrolled: 1-line block ×3, first 2 shown]
	v_mov_b32_e32 v165, v149
	v_mov_b32_e32 v166, v148
	s_waitcnt vmcnt(8)
	v_cvt_f32_f16_e32 v116, v170
	s_waitcnt vmcnt(7)
	ds_write_b32 v91, v0
	s_waitcnt vmcnt(6)
	ds_write_b32 v97, v1
	;; [unrolled: 2-line block ×8, first 2 shown]
	ds_write_b32 v85, v116
	s_waitcnt lgkmcnt(0)
	s_barrier
.LBB130_12:                             ;   Parent Loop BB130_6 Depth=1
                                        ; =>  This Inner Loop Header: Depth=2
	s_add_i32 s20, s21, 2
	s_lshr_b32 s25, s20, 4
	s_and_b32 s24, s20, 0x3ffffff8
	s_lshl_b32 s23, s25, 3
	s_lshl_b32 s24, s24, 2
	v_add_lshl_u32 v176, v125, s23, 2
	v_add_u32_e32 v119, s24, v126
	v_add_u32_e32 v170, 0x4200, v176
	ds_read2_b32 v[116:117], v166 offset1:32
	ds_read_b128 v[4:7], v165
	ds_read_b128 v[0:3], v165 offset:16
	ds_read2_b32 v[168:169], v119 offset1:1
	ds_read2_b32 v[170:171], v170 offset1:1
	s_and_b32 s22, s18, -16
	v_add_u32_e32 v118, s22, v124
	s_add_i32 s22, s21, -14
	s_waitcnt lgkmcnt(1)
	v_ashrrev_i32_e32 v167, s22, v168
	s_waitcnt lgkmcnt(0)
	v_ashrrev_i32_e32 v170, s19, v170
	v_lshlrev_b32_e32 v170, 2, v170
	v_and_b32_e32 v168, 0x3030303, v167
	v_bfe_u32 v167, v167, 24, 2
	v_and_b32_e32 v170, 0x4040404, v170
	v_sub_u16_e32 v172, v168, v170
	v_sub_u16_sdwa v173, v168, v170 dst_sel:BYTE_1 dst_unused:UNUSED_PAD src0_sel:BYTE_1 src1_sel:BYTE_1
	v_sub_u16_sdwa v167, v167, v170 dst_sel:BYTE_1 dst_unused:UNUSED_PAD src0_sel:DWORD src1_sel:BYTE_3
	v_sub_u16_sdwa v168, v168, v170 dst_sel:DWORD dst_unused:UNUSED_PAD src0_sel:WORD_1 src1_sel:WORD_1
	v_ashrrev_i32_e32 v170, s19, v171
	v_or_b32_sdwa v167, v168, v167 dst_sel:WORD_1 dst_unused:UNUSED_PAD src0_sel:BYTE_0 src1_sel:DWORD
	v_ashrrev_i32_e32 v168, s22, v169
	v_lshlrev_b32_e32 v170, 2, v170
	v_or_b32_sdwa v172, v172, v173 dst_sel:DWORD dst_unused:UNUSED_PAD src0_sel:BYTE_0 src1_sel:DWORD
	v_and_b32_e32 v169, 0x3030303, v168
	v_bfe_u32 v168, v168, 24, 2
	v_and_b32_e32 v170, 0x4040404, v170
	v_or_b32_sdwa v167, v172, v167 dst_sel:DWORD dst_unused:UNUSED_PAD src0_sel:WORD_0 src1_sel:DWORD
	v_sub_u16_e32 v171, v169, v170
	v_sub_u16_sdwa v172, v169, v170 dst_sel:BYTE_1 dst_unused:UNUSED_PAD src0_sel:BYTE_1 src1_sel:BYTE_1
	v_sub_u16_sdwa v168, v168, v170 dst_sel:BYTE_1 dst_unused:UNUSED_PAD src0_sel:DWORD src1_sel:BYTE_3
	v_sub_u16_sdwa v169, v169, v170 dst_sel:DWORD dst_unused:UNUSED_PAD src0_sel:WORD_1 src1_sel:WORD_1
	v_or_b32_sdwa v171, v171, v172 dst_sel:DWORD dst_unused:UNUSED_PAD src0_sel:BYTE_0 src1_sel:DWORD
	v_or_b32_sdwa v168, v169, v168 dst_sel:WORD_1 dst_unused:UNUSED_PAD src0_sel:BYTE_0 src1_sel:DWORD
	v_add_u32_e32 v172, 0x4208, v176
	v_or_b32_sdwa v168, v171, v168 dst_sel:DWORD dst_unused:UNUSED_PAD src0_sel:WORD_0 src1_sel:DWORD
	ds_read2_b32 v[170:171], v119 offset0:2 offset1:3
	ds_read2_b32 v[172:173], v172 offset1:1
	s_lshl_b32 s25, s25, 2
	v_add_lshl_u32 v198, v131, s23, 2
	v_add_lshl_u32 v188, v128, s23, 2
	s_waitcnt lgkmcnt(1)
	v_ashrrev_i32_e32 v169, s22, v170
	s_waitcnt lgkmcnt(0)
	v_ashrrev_i32_e32 v172, s19, v172
	v_lshlrev_b32_e32 v172, 2, v172
	v_and_b32_e32 v170, 0x3030303, v169
	v_bfe_u32 v169, v169, 24, 2
	v_and_b32_e32 v172, 0x4040404, v172
	v_sub_u16_e32 v174, v170, v172
	v_sub_u16_sdwa v175, v170, v172 dst_sel:BYTE_1 dst_unused:UNUSED_PAD src0_sel:BYTE_1 src1_sel:BYTE_1
	v_sub_u16_sdwa v169, v169, v172 dst_sel:BYTE_1 dst_unused:UNUSED_PAD src0_sel:DWORD src1_sel:BYTE_3
	v_sub_u16_sdwa v170, v170, v172 dst_sel:DWORD dst_unused:UNUSED_PAD src0_sel:WORD_1 src1_sel:WORD_1
	v_ashrrev_i32_e32 v172, s19, v173
	v_or_b32_sdwa v169, v170, v169 dst_sel:WORD_1 dst_unused:UNUSED_PAD src0_sel:BYTE_0 src1_sel:DWORD
	v_ashrrev_i32_e32 v170, s22, v171
	v_lshlrev_b32_e32 v172, 2, v172
	v_or_b32_sdwa v174, v174, v175 dst_sel:DWORD dst_unused:UNUSED_PAD src0_sel:BYTE_0 src1_sel:DWORD
	v_and_b32_e32 v171, 0x3030303, v170
	v_bfe_u32 v170, v170, 24, 2
	v_and_b32_e32 v172, 0x4040404, v172
	v_or_b32_sdwa v169, v174, v169 dst_sel:DWORD dst_unused:UNUSED_PAD src0_sel:WORD_0 src1_sel:DWORD
	v_sub_u16_e32 v173, v171, v172
	v_sub_u16_sdwa v174, v171, v172 dst_sel:BYTE_1 dst_unused:UNUSED_PAD src0_sel:BYTE_1 src1_sel:BYTE_1
	v_sub_u16_sdwa v170, v170, v172 dst_sel:BYTE_1 dst_unused:UNUSED_PAD src0_sel:DWORD src1_sel:BYTE_3
	v_sub_u16_sdwa v171, v171, v172 dst_sel:DWORD dst_unused:UNUSED_PAD src0_sel:WORD_1 src1_sel:WORD_1
	v_or_b32_sdwa v173, v173, v174 dst_sel:DWORD dst_unused:UNUSED_PAD src0_sel:BYTE_0 src1_sel:DWORD
	v_or_b32_sdwa v170, v171, v170 dst_sel:WORD_1 dst_unused:UNUSED_PAD src0_sel:BYTE_0 src1_sel:DWORD
	v_add_u32_e32 v174, 0x4210, v176
	v_or_b32_sdwa v170, v173, v170 dst_sel:DWORD dst_unused:UNUSED_PAD src0_sel:WORD_0 src1_sel:DWORD
	ds_read2_b32 v[172:173], v119 offset0:4 offset1:5
	ds_read2_b32 v[174:175], v174 offset1:1
	v_add_u32_e32 v192, 0x4200, v198
	v_add_lshl_u32 v210, v134, s23, 2
	s_add_i32 s18, s18, 2
	s_waitcnt lgkmcnt(1)
	v_ashrrev_i32_e32 v171, s22, v172
	s_waitcnt lgkmcnt(0)
	v_ashrrev_i32_e32 v174, s19, v174
	v_lshlrev_b32_e32 v174, 2, v174
	v_and_b32_e32 v172, 0x3030303, v171
	v_bfe_u32 v171, v171, 24, 2
	v_and_b32_e32 v174, 0x4040404, v174
	v_sub_u16_e32 v177, v172, v174
	v_sub_u16_sdwa v178, v172, v174 dst_sel:BYTE_1 dst_unused:UNUSED_PAD src0_sel:BYTE_1 src1_sel:BYTE_1
	v_sub_u16_sdwa v171, v171, v174 dst_sel:BYTE_1 dst_unused:UNUSED_PAD src0_sel:DWORD src1_sel:BYTE_3
	v_sub_u16_sdwa v172, v172, v174 dst_sel:DWORD dst_unused:UNUSED_PAD src0_sel:WORD_1 src1_sel:WORD_1
	v_or_b32_sdwa v177, v177, v178 dst_sel:DWORD dst_unused:UNUSED_PAD src0_sel:BYTE_0 src1_sel:DWORD
	v_or_b32_sdwa v171, v172, v171 dst_sel:WORD_1 dst_unused:UNUSED_PAD src0_sel:BYTE_0 src1_sel:DWORD
	v_ashrrev_i32_e32 v174, s19, v175
	v_or_b32_sdwa v172, v177, v171 dst_sel:DWORD dst_unused:UNUSED_PAD src0_sel:WORD_0 src1_sel:DWORD
	v_ashrrev_i32_e32 v171, s22, v173
	v_lshlrev_b32_e32 v174, 2, v174
	v_and_b32_e32 v173, 0x3030303, v171
	v_bfe_u32 v171, v171, 24, 2
	v_and_b32_e32 v174, 0x4040404, v174
	v_sub_u16_e32 v175, v173, v174
	v_sub_u16_sdwa v177, v173, v174 dst_sel:BYTE_1 dst_unused:UNUSED_PAD src0_sel:BYTE_1 src1_sel:BYTE_1
	v_sub_u16_sdwa v171, v171, v174 dst_sel:BYTE_1 dst_unused:UNUSED_PAD src0_sel:DWORD src1_sel:BYTE_3
	v_sub_u16_sdwa v173, v173, v174 dst_sel:DWORD dst_unused:UNUSED_PAD src0_sel:WORD_1 src1_sel:WORD_1
	v_or_b32_sdwa v175, v175, v177 dst_sel:DWORD dst_unused:UNUSED_PAD src0_sel:BYTE_0 src1_sel:DWORD
	v_or_b32_sdwa v171, v173, v171 dst_sel:WORD_1 dst_unused:UNUSED_PAD src0_sel:BYTE_0 src1_sel:DWORD
	v_or_b32_sdwa v173, v175, v171 dst_sel:DWORD dst_unused:UNUSED_PAD src0_sel:WORD_0 src1_sel:DWORD
	ds_read2_b32 v[174:175], v119 offset0:6 offset1:7
	ds_read2_b32 v[192:193], v192 offset1:1
	s_waitcnt lgkmcnt(1)
	v_ashrrev_i32_e32 v119, s22, v174
	v_add_u32_e32 v174, 0x4218, v176
	ds_read2_b32 v[176:177], v174 offset1:1
	v_and_b32_e32 v171, 0x3030303, v119
	v_bfe_u32 v119, v119, 24, 2
	s_waitcnt lgkmcnt(1)
	v_ashrrev_i32_e32 v192, s19, v192
	v_lshlrev_b32_e32 v192, 2, v192
	s_waitcnt lgkmcnt(0)
	v_ashrrev_i32_e32 v174, s19, v176
	v_lshlrev_b32_e32 v174, 2, v174
	v_and_b32_e32 v174, 0x4040404, v174
	v_sub_u16_e32 v176, v171, v174
	v_sub_u16_sdwa v178, v171, v174 dst_sel:BYTE_1 dst_unused:UNUSED_PAD src0_sel:BYTE_1 src1_sel:BYTE_1
	v_sub_u16_sdwa v119, v119, v174 dst_sel:BYTE_1 dst_unused:UNUSED_PAD src0_sel:DWORD src1_sel:BYTE_3
	v_sub_u16_sdwa v171, v171, v174 dst_sel:DWORD dst_unused:UNUSED_PAD src0_sel:WORD_1 src1_sel:WORD_1
	v_or_b32_sdwa v176, v176, v178 dst_sel:DWORD dst_unused:UNUSED_PAD src0_sel:BYTE_0 src1_sel:DWORD
	v_or_b32_sdwa v119, v171, v119 dst_sel:WORD_1 dst_unused:UNUSED_PAD src0_sel:BYTE_0 src1_sel:DWORD
	v_or_b32_sdwa v174, v176, v119 dst_sel:DWORD dst_unused:UNUSED_PAD src0_sel:WORD_0 src1_sel:DWORD
	v_ashrrev_i32_e32 v119, s22, v175
	v_ashrrev_i32_e32 v175, s19, v177
	v_lshlrev_b32_e32 v175, 2, v175
	v_and_b32_e32 v171, 0x3030303, v119
	v_bfe_u32 v119, v119, 24, 2
	v_and_b32_e32 v175, 0x4040404, v175
	v_sub_u16_e32 v176, v171, v175
	v_sub_u16_sdwa v177, v171, v175 dst_sel:BYTE_1 dst_unused:UNUSED_PAD src0_sel:BYTE_1 src1_sel:BYTE_1
	v_sub_u16_sdwa v119, v119, v175 dst_sel:BYTE_1 dst_unused:UNUSED_PAD src0_sel:DWORD src1_sel:BYTE_3
	v_sub_u16_sdwa v171, v171, v175 dst_sel:DWORD dst_unused:UNUSED_PAD src0_sel:WORD_1 src1_sel:WORD_1
	v_or_b32_sdwa v176, v176, v177 dst_sel:DWORD dst_unused:UNUSED_PAD src0_sel:BYTE_0 src1_sel:DWORD
	v_or_b32_sdwa v119, v171, v119 dst_sel:WORD_1 dst_unused:UNUSED_PAD src0_sel:BYTE_0 src1_sel:DWORD
	v_or_b32_sdwa v175, v176, v119 dst_sel:DWORD dst_unused:UNUSED_PAD src0_sel:WORD_0 src1_sel:DWORD
	v_add3_u32 v119, v140, s21, v118
	v_add_u32_e32 v171, s25, v127
	ds_read_b32 v171, v171
	ds_read_u16 v119, v119 offset:33522
	v_mov_b32_e32 v177, 0
	v_dot4c_i32_i8_e32 v177, v167, v4
	v_dot4c_i32_i8_e32 v177, v168, v5
	;; [unrolled: 1-line block ×3, first 2 shown]
	s_waitcnt lgkmcnt(0)
	v_lshrrev_b16_e32 v178, 8, v119
	v_bfe_i32 v176, v119, 0, 8
	v_mov_b32_e32 v119, 0
	v_dot4c_i32_i8_e32 v119, v172, v0
	v_dot4c_i32_i8_e32 v119, v173, v1
	v_dot4c_i32_i8_e32 v177, v170, v7
	v_dot4c_i32_i8_e32 v119, v174, v2
	v_dot4c_i32_i8_e32 v119, v175, v3
	v_bfe_i32 v178, v178, 0, 8
	v_mul_lo_u32 v180, v177, v176
	v_and_b32_e32 v192, 0x4040404, v192
	v_mad_u64_u32 v[180:181], s[26:27], v119, v178, v[180:181]
	v_cvt_f32_i32_e32 v177, v180
	v_mul_f32_e32 v119, v116, v171
	v_fmac_f32_e32 v93, v119, v177
	v_add_u32_e32 v119, s24, v129
	ds_read2_b32 v[180:181], v119 offset1:1
	s_waitcnt lgkmcnt(0)
	v_ashrrev_i32_e32 v177, s22, v180
	v_add_u32_e32 v180, 0x4200, v188
	ds_read2_b32 v[182:183], v180 offset1:1
	v_and_b32_e32 v179, 0x3030303, v177
	v_bfe_u32 v177, v177, 24, 2
	s_waitcnt lgkmcnt(0)
	v_ashrrev_i32_e32 v180, s19, v182
	v_lshlrev_b32_e32 v180, 2, v180
	v_and_b32_e32 v180, 0x4040404, v180
	v_sub_u16_e32 v182, v179, v180
	v_sub_u16_sdwa v184, v179, v180 dst_sel:BYTE_1 dst_unused:UNUSED_PAD src0_sel:BYTE_1 src1_sel:BYTE_1
	v_sub_u16_sdwa v177, v177, v180 dst_sel:BYTE_1 dst_unused:UNUSED_PAD src0_sel:DWORD src1_sel:BYTE_3
	v_sub_u16_sdwa v179, v179, v180 dst_sel:DWORD dst_unused:UNUSED_PAD src0_sel:WORD_1 src1_sel:WORD_1
	v_or_b32_sdwa v177, v179, v177 dst_sel:WORD_1 dst_unused:UNUSED_PAD src0_sel:BYTE_0 src1_sel:DWORD
	v_ashrrev_i32_e32 v179, s22, v181
	v_ashrrev_i32_e32 v181, s19, v183
	v_lshlrev_b32_e32 v181, 2, v181
	v_or_b32_sdwa v182, v182, v184 dst_sel:DWORD dst_unused:UNUSED_PAD src0_sel:BYTE_0 src1_sel:DWORD
	v_and_b32_e32 v180, 0x3030303, v179
	v_bfe_u32 v179, v179, 24, 2
	v_and_b32_e32 v181, 0x4040404, v181
	v_or_b32_sdwa v177, v182, v177 dst_sel:DWORD dst_unused:UNUSED_PAD src0_sel:WORD_0 src1_sel:DWORD
	v_sub_u16_e32 v182, v180, v181
	v_sub_u16_sdwa v183, v180, v181 dst_sel:BYTE_1 dst_unused:UNUSED_PAD src0_sel:BYTE_1 src1_sel:BYTE_1
	v_sub_u16_sdwa v179, v179, v181 dst_sel:BYTE_1 dst_unused:UNUSED_PAD src0_sel:DWORD src1_sel:BYTE_3
	v_sub_u16_sdwa v180, v180, v181 dst_sel:DWORD dst_unused:UNUSED_PAD src0_sel:WORD_1 src1_sel:WORD_1
	v_or_b32_sdwa v182, v182, v183 dst_sel:DWORD dst_unused:UNUSED_PAD src0_sel:BYTE_0 src1_sel:DWORD
	v_or_b32_sdwa v179, v180, v179 dst_sel:WORD_1 dst_unused:UNUSED_PAD src0_sel:BYTE_0 src1_sel:DWORD
	v_or_b32_sdwa v179, v182, v179 dst_sel:DWORD dst_unused:UNUSED_PAD src0_sel:WORD_0 src1_sel:DWORD
	v_add_u32_e32 v182, 0x4208, v188
	ds_read2_b32 v[180:181], v119 offset0:2 offset1:3
	ds_read2_b32 v[182:183], v182 offset1:1
	s_waitcnt lgkmcnt(1)
	v_ashrrev_i32_e32 v180, s22, v180
	s_waitcnt lgkmcnt(0)
	v_ashrrev_i32_e32 v182, s19, v182
	v_lshlrev_b32_e32 v182, 2, v182
	v_and_b32_e32 v184, 0x3030303, v180
	v_bfe_u32 v180, v180, 24, 2
	v_and_b32_e32 v182, 0x4040404, v182
	v_ashrrev_i32_e32 v183, s19, v183
	v_sub_u16_e32 v185, v184, v182
	v_sub_u16_sdwa v186, v184, v182 dst_sel:BYTE_1 dst_unused:UNUSED_PAD src0_sel:BYTE_1 src1_sel:BYTE_1
	v_sub_u16_sdwa v180, v180, v182 dst_sel:BYTE_1 dst_unused:UNUSED_PAD src0_sel:DWORD src1_sel:BYTE_3
	v_sub_u16_sdwa v182, v184, v182 dst_sel:DWORD dst_unused:UNUSED_PAD src0_sel:WORD_1 src1_sel:WORD_1
	v_ashrrev_i32_e32 v181, s22, v181
	v_lshlrev_b32_e32 v183, 2, v183
	v_or_b32_sdwa v185, v185, v186 dst_sel:DWORD dst_unused:UNUSED_PAD src0_sel:BYTE_0 src1_sel:DWORD
	v_or_b32_sdwa v180, v182, v180 dst_sel:WORD_1 dst_unused:UNUSED_PAD src0_sel:BYTE_0 src1_sel:DWORD
	v_and_b32_e32 v182, 0x3030303, v181
	v_bfe_u32 v181, v181, 24, 2
	v_and_b32_e32 v183, 0x4040404, v183
	v_or_b32_sdwa v180, v185, v180 dst_sel:DWORD dst_unused:UNUSED_PAD src0_sel:WORD_0 src1_sel:DWORD
	v_sub_u16_e32 v184, v182, v183
	v_sub_u16_sdwa v185, v182, v183 dst_sel:BYTE_1 dst_unused:UNUSED_PAD src0_sel:BYTE_1 src1_sel:BYTE_1
	v_sub_u16_sdwa v181, v181, v183 dst_sel:BYTE_1 dst_unused:UNUSED_PAD src0_sel:DWORD src1_sel:BYTE_3
	v_sub_u16_sdwa v182, v182, v183 dst_sel:DWORD dst_unused:UNUSED_PAD src0_sel:WORD_1 src1_sel:WORD_1
	v_or_b32_sdwa v184, v184, v185 dst_sel:DWORD dst_unused:UNUSED_PAD src0_sel:BYTE_0 src1_sel:DWORD
	v_or_b32_sdwa v181, v182, v181 dst_sel:WORD_1 dst_unused:UNUSED_PAD src0_sel:BYTE_0 src1_sel:DWORD
	v_or_b32_sdwa v181, v184, v181 dst_sel:DWORD dst_unused:UNUSED_PAD src0_sel:WORD_0 src1_sel:DWORD
	v_add_u32_e32 v184, 0x4210, v188
	ds_read2_b32 v[182:183], v119 offset0:4 offset1:5
	ds_read2_b32 v[184:185], v184 offset1:1
	s_waitcnt lgkmcnt(1)
	v_ashrrev_i32_e32 v182, s22, v182
	s_waitcnt lgkmcnt(0)
	v_ashrrev_i32_e32 v184, s19, v184
	v_lshlrev_b32_e32 v184, 2, v184
	v_and_b32_e32 v186, 0x3030303, v182
	v_bfe_u32 v182, v182, 24, 2
	v_and_b32_e32 v184, 0x4040404, v184
	v_ashrrev_i32_e32 v185, s19, v185
	v_sub_u16_e32 v187, v186, v184
	v_sub_u16_sdwa v189, v186, v184 dst_sel:BYTE_1 dst_unused:UNUSED_PAD src0_sel:BYTE_1 src1_sel:BYTE_1
	v_sub_u16_sdwa v182, v182, v184 dst_sel:BYTE_1 dst_unused:UNUSED_PAD src0_sel:DWORD src1_sel:BYTE_3
	v_sub_u16_sdwa v184, v186, v184 dst_sel:DWORD dst_unused:UNUSED_PAD src0_sel:WORD_1 src1_sel:WORD_1
	v_ashrrev_i32_e32 v183, s22, v183
	v_lshlrev_b32_e32 v185, 2, v185
	v_or_b32_sdwa v187, v187, v189 dst_sel:DWORD dst_unused:UNUSED_PAD src0_sel:BYTE_0 src1_sel:DWORD
	v_or_b32_sdwa v182, v184, v182 dst_sel:WORD_1 dst_unused:UNUSED_PAD src0_sel:BYTE_0 src1_sel:DWORD
	v_and_b32_e32 v184, 0x3030303, v183
	v_bfe_u32 v183, v183, 24, 2
	v_and_b32_e32 v185, 0x4040404, v185
	v_or_b32_sdwa v182, v187, v182 dst_sel:DWORD dst_unused:UNUSED_PAD src0_sel:WORD_0 src1_sel:DWORD
	v_sub_u16_e32 v186, v184, v185
	v_sub_u16_sdwa v187, v184, v185 dst_sel:BYTE_1 dst_unused:UNUSED_PAD src0_sel:BYTE_1 src1_sel:BYTE_1
	v_sub_u16_sdwa v183, v183, v185 dst_sel:BYTE_1 dst_unused:UNUSED_PAD src0_sel:DWORD src1_sel:BYTE_3
	v_sub_u16_sdwa v184, v184, v185 dst_sel:DWORD dst_unused:UNUSED_PAD src0_sel:WORD_1 src1_sel:WORD_1
	v_or_b32_sdwa v186, v186, v187 dst_sel:DWORD dst_unused:UNUSED_PAD src0_sel:BYTE_0 src1_sel:DWORD
	v_or_b32_sdwa v183, v184, v183 dst_sel:WORD_1 dst_unused:UNUSED_PAD src0_sel:BYTE_0 src1_sel:DWORD
	v_add_u32_e32 v185, 0x4218, v188
	v_or_b32_sdwa v184, v186, v183 dst_sel:DWORD dst_unused:UNUSED_PAD src0_sel:WORD_0 src1_sel:DWORD
	ds_read2_b32 v[186:187], v119 offset0:6 offset1:7
	ds_read2_b32 v[188:189], v185 offset1:1
	s_waitcnt lgkmcnt(1)
	v_ashrrev_i32_e32 v119, s22, v186
	s_waitcnt lgkmcnt(0)
	v_ashrrev_i32_e32 v185, s19, v188
	v_lshlrev_b32_e32 v185, 2, v185
	v_and_b32_e32 v183, 0x3030303, v119
	v_bfe_u32 v119, v119, 24, 2
	v_and_b32_e32 v185, 0x4040404, v185
	v_sub_u16_e32 v186, v183, v185
	v_sub_u16_sdwa v188, v183, v185 dst_sel:BYTE_1 dst_unused:UNUSED_PAD src0_sel:BYTE_1 src1_sel:BYTE_1
	v_sub_u16_sdwa v119, v119, v185 dst_sel:BYTE_1 dst_unused:UNUSED_PAD src0_sel:DWORD src1_sel:BYTE_3
	v_sub_u16_sdwa v183, v183, v185 dst_sel:DWORD dst_unused:UNUSED_PAD src0_sel:WORD_1 src1_sel:WORD_1
	v_or_b32_sdwa v186, v186, v188 dst_sel:DWORD dst_unused:UNUSED_PAD src0_sel:BYTE_0 src1_sel:DWORD
	v_or_b32_sdwa v119, v183, v119 dst_sel:WORD_1 dst_unused:UNUSED_PAD src0_sel:BYTE_0 src1_sel:DWORD
	v_or_b32_sdwa v185, v186, v119 dst_sel:DWORD dst_unused:UNUSED_PAD src0_sel:WORD_0 src1_sel:DWORD
	v_ashrrev_i32_e32 v186, s19, v189
	v_ashrrev_i32_e32 v119, s22, v187
	v_lshlrev_b32_e32 v186, 2, v186
	v_and_b32_e32 v183, 0x3030303, v119
	v_bfe_u32 v119, v119, 24, 2
	v_and_b32_e32 v186, 0x4040404, v186
	v_sub_u16_e32 v187, v183, v186
	v_sub_u16_sdwa v188, v183, v186 dst_sel:BYTE_1 dst_unused:UNUSED_PAD src0_sel:BYTE_1 src1_sel:BYTE_1
	v_sub_u16_sdwa v119, v119, v186 dst_sel:BYTE_1 dst_unused:UNUSED_PAD src0_sel:DWORD src1_sel:BYTE_3
	v_sub_u16_sdwa v183, v183, v186 dst_sel:DWORD dst_unused:UNUSED_PAD src0_sel:WORD_1 src1_sel:WORD_1
	v_or_b32_sdwa v187, v187, v188 dst_sel:DWORD dst_unused:UNUSED_PAD src0_sel:BYTE_0 src1_sel:DWORD
	v_or_b32_sdwa v119, v183, v119 dst_sel:WORD_1 dst_unused:UNUSED_PAD src0_sel:BYTE_0 src1_sel:DWORD
	v_or_b32_sdwa v186, v187, v119 dst_sel:DWORD dst_unused:UNUSED_PAD src0_sel:WORD_0 src1_sel:DWORD
	v_add3_u32 v119, v142, s21, v118
	v_add_u32_e32 v183, s25, v130
	ds_read_b32 v183, v183
	ds_read_u16 v119, v119 offset:34546
	v_mov_b32_e32 v188, 0
	v_dot4c_i32_i8_e32 v188, v177, v4
	v_dot4c_i32_i8_e32 v188, v179, v5
	;; [unrolled: 1-line block ×3, first 2 shown]
	s_waitcnt lgkmcnt(0)
	v_lshrrev_b16_e32 v189, 8, v119
	v_bfe_i32 v187, v119, 0, 8
	v_mov_b32_e32 v119, 0
	v_dot4c_i32_i8_e32 v119, v182, v0
	v_dot4c_i32_i8_e32 v119, v184, v1
	;; [unrolled: 1-line block ×5, first 2 shown]
	v_bfe_i32 v189, v189, 0, 8
	v_mul_lo_u32 v188, v188, v187
	s_nop 0
	v_mad_u64_u32 v[190:191], s[26:27], v119, v189, v[188:189]
	v_cvt_f32_i32_e32 v188, v190
	v_mul_f32_e32 v119, v116, v183
	v_fmac_f32_e32 v83, v119, v188
	v_add_u32_e32 v119, s24, v132
	ds_read2_b32 v[190:191], v119 offset1:1
	s_waitcnt lgkmcnt(0)
	v_ashrrev_i32_e32 v188, s22, v190
	v_and_b32_e32 v190, 0x3030303, v188
	v_bfe_u32 v188, v188, 24, 2
	v_sub_u16_e32 v194, v190, v192
	v_sub_u16_sdwa v195, v190, v192 dst_sel:BYTE_1 dst_unused:UNUSED_PAD src0_sel:BYTE_1 src1_sel:BYTE_1
	v_sub_u16_sdwa v188, v188, v192 dst_sel:BYTE_1 dst_unused:UNUSED_PAD src0_sel:DWORD src1_sel:BYTE_3
	v_sub_u16_sdwa v190, v190, v192 dst_sel:DWORD dst_unused:UNUSED_PAD src0_sel:WORD_1 src1_sel:WORD_1
	v_ashrrev_i32_e32 v192, s19, v193
	v_or_b32_sdwa v188, v190, v188 dst_sel:WORD_1 dst_unused:UNUSED_PAD src0_sel:BYTE_0 src1_sel:DWORD
	v_ashrrev_i32_e32 v190, s22, v191
	v_lshlrev_b32_e32 v192, 2, v192
	v_or_b32_sdwa v194, v194, v195 dst_sel:DWORD dst_unused:UNUSED_PAD src0_sel:BYTE_0 src1_sel:DWORD
	v_and_b32_e32 v191, 0x3030303, v190
	v_bfe_u32 v190, v190, 24, 2
	v_and_b32_e32 v192, 0x4040404, v192
	v_or_b32_sdwa v188, v194, v188 dst_sel:DWORD dst_unused:UNUSED_PAD src0_sel:WORD_0 src1_sel:DWORD
	v_sub_u16_e32 v193, v191, v192
	v_sub_u16_sdwa v194, v191, v192 dst_sel:BYTE_1 dst_unused:UNUSED_PAD src0_sel:BYTE_1 src1_sel:BYTE_1
	v_sub_u16_sdwa v190, v190, v192 dst_sel:BYTE_1 dst_unused:UNUSED_PAD src0_sel:DWORD src1_sel:BYTE_3
	v_sub_u16_sdwa v191, v191, v192 dst_sel:DWORD dst_unused:UNUSED_PAD src0_sel:WORD_1 src1_sel:WORD_1
	v_or_b32_sdwa v193, v193, v194 dst_sel:DWORD dst_unused:UNUSED_PAD src0_sel:BYTE_0 src1_sel:DWORD
	v_or_b32_sdwa v190, v191, v190 dst_sel:WORD_1 dst_unused:UNUSED_PAD src0_sel:BYTE_0 src1_sel:DWORD
	v_add_u32_e32 v194, 0x4208, v198
	v_or_b32_sdwa v190, v193, v190 dst_sel:DWORD dst_unused:UNUSED_PAD src0_sel:WORD_0 src1_sel:DWORD
	ds_read2_b32 v[192:193], v119 offset0:2 offset1:3
	ds_read2_b32 v[194:195], v194 offset1:1
	s_waitcnt lgkmcnt(1)
	v_ashrrev_i32_e32 v191, s22, v192
	s_waitcnt lgkmcnt(0)
	v_ashrrev_i32_e32 v194, s19, v194
	v_lshlrev_b32_e32 v194, 2, v194
	v_and_b32_e32 v192, 0x3030303, v191
	v_bfe_u32 v191, v191, 24, 2
	v_and_b32_e32 v194, 0x4040404, v194
	v_sub_u16_e32 v196, v192, v194
	v_sub_u16_sdwa v197, v192, v194 dst_sel:BYTE_1 dst_unused:UNUSED_PAD src0_sel:BYTE_1 src1_sel:BYTE_1
	v_sub_u16_sdwa v191, v191, v194 dst_sel:BYTE_1 dst_unused:UNUSED_PAD src0_sel:DWORD src1_sel:BYTE_3
	v_sub_u16_sdwa v192, v192, v194 dst_sel:DWORD dst_unused:UNUSED_PAD src0_sel:WORD_1 src1_sel:WORD_1
	v_ashrrev_i32_e32 v194, s19, v195
	v_or_b32_sdwa v191, v192, v191 dst_sel:WORD_1 dst_unused:UNUSED_PAD src0_sel:BYTE_0 src1_sel:DWORD
	v_ashrrev_i32_e32 v192, s22, v193
	v_lshlrev_b32_e32 v194, 2, v194
	v_or_b32_sdwa v196, v196, v197 dst_sel:DWORD dst_unused:UNUSED_PAD src0_sel:BYTE_0 src1_sel:DWORD
	v_and_b32_e32 v193, 0x3030303, v192
	v_bfe_u32 v192, v192, 24, 2
	v_and_b32_e32 v194, 0x4040404, v194
	v_or_b32_sdwa v191, v196, v191 dst_sel:DWORD dst_unused:UNUSED_PAD src0_sel:WORD_0 src1_sel:DWORD
	v_sub_u16_e32 v195, v193, v194
	v_sub_u16_sdwa v196, v193, v194 dst_sel:BYTE_1 dst_unused:UNUSED_PAD src0_sel:BYTE_1 src1_sel:BYTE_1
	v_sub_u16_sdwa v192, v192, v194 dst_sel:BYTE_1 dst_unused:UNUSED_PAD src0_sel:DWORD src1_sel:BYTE_3
	v_sub_u16_sdwa v193, v193, v194 dst_sel:DWORD dst_unused:UNUSED_PAD src0_sel:WORD_1 src1_sel:WORD_1
	v_or_b32_sdwa v195, v195, v196 dst_sel:DWORD dst_unused:UNUSED_PAD src0_sel:BYTE_0 src1_sel:DWORD
	v_or_b32_sdwa v192, v193, v192 dst_sel:WORD_1 dst_unused:UNUSED_PAD src0_sel:BYTE_0 src1_sel:DWORD
	v_add_u32_e32 v196, 0x4210, v198
	v_or_b32_sdwa v192, v195, v192 dst_sel:DWORD dst_unused:UNUSED_PAD src0_sel:WORD_0 src1_sel:DWORD
	ds_read2_b32 v[194:195], v119 offset0:4 offset1:5
	ds_read2_b32 v[196:197], v196 offset1:1
	s_waitcnt lgkmcnt(1)
	v_ashrrev_i32_e32 v193, s22, v194
	s_waitcnt lgkmcnt(0)
	v_ashrrev_i32_e32 v196, s19, v196
	v_lshlrev_b32_e32 v196, 2, v196
	v_and_b32_e32 v194, 0x3030303, v193
	v_bfe_u32 v193, v193, 24, 2
	v_and_b32_e32 v196, 0x4040404, v196
	v_sub_u16_e32 v199, v194, v196
	v_sub_u16_sdwa v200, v194, v196 dst_sel:BYTE_1 dst_unused:UNUSED_PAD src0_sel:BYTE_1 src1_sel:BYTE_1
	v_sub_u16_sdwa v193, v193, v196 dst_sel:BYTE_1 dst_unused:UNUSED_PAD src0_sel:DWORD src1_sel:BYTE_3
	v_sub_u16_sdwa v194, v194, v196 dst_sel:DWORD dst_unused:UNUSED_PAD src0_sel:WORD_1 src1_sel:WORD_1
	v_ashrrev_i32_e32 v196, s19, v197
	v_or_b32_sdwa v193, v194, v193 dst_sel:WORD_1 dst_unused:UNUSED_PAD src0_sel:BYTE_0 src1_sel:DWORD
	v_ashrrev_i32_e32 v194, s22, v195
	v_lshlrev_b32_e32 v196, 2, v196
	v_or_b32_sdwa v199, v199, v200 dst_sel:DWORD dst_unused:UNUSED_PAD src0_sel:BYTE_0 src1_sel:DWORD
	v_and_b32_e32 v195, 0x3030303, v194
	v_bfe_u32 v194, v194, 24, 2
	v_and_b32_e32 v196, 0x4040404, v196
	v_or_b32_sdwa v193, v199, v193 dst_sel:DWORD dst_unused:UNUSED_PAD src0_sel:WORD_0 src1_sel:DWORD
	v_sub_u16_e32 v197, v195, v196
	v_sub_u16_sdwa v199, v195, v196 dst_sel:BYTE_1 dst_unused:UNUSED_PAD src0_sel:BYTE_1 src1_sel:BYTE_1
	v_sub_u16_sdwa v194, v194, v196 dst_sel:BYTE_1 dst_unused:UNUSED_PAD src0_sel:DWORD src1_sel:BYTE_3
	v_sub_u16_sdwa v195, v195, v196 dst_sel:DWORD dst_unused:UNUSED_PAD src0_sel:WORD_1 src1_sel:WORD_1
	v_or_b32_sdwa v197, v197, v199 dst_sel:DWORD dst_unused:UNUSED_PAD src0_sel:BYTE_0 src1_sel:DWORD
	v_or_b32_sdwa v194, v195, v194 dst_sel:WORD_1 dst_unused:UNUSED_PAD src0_sel:BYTE_0 src1_sel:DWORD
	v_or_b32_sdwa v195, v197, v194 dst_sel:DWORD dst_unused:UNUSED_PAD src0_sel:WORD_0 src1_sel:DWORD
	ds_read2_b32 v[196:197], v119 offset0:6 offset1:7
	s_waitcnt lgkmcnt(0)
	v_ashrrev_i32_e32 v119, s22, v196
	v_add_u32_e32 v196, 0x4218, v198
	ds_read2_b32 v[198:199], v196 offset1:1
	v_and_b32_e32 v194, 0x3030303, v119
	v_bfe_u32 v119, v119, 24, 2
	s_waitcnt lgkmcnt(0)
	v_ashrrev_i32_e32 v196, s19, v198
	v_lshlrev_b32_e32 v196, 2, v196
	v_and_b32_e32 v196, 0x4040404, v196
	v_sub_u16_e32 v198, v194, v196
	v_sub_u16_sdwa v200, v194, v196 dst_sel:BYTE_1 dst_unused:UNUSED_PAD src0_sel:BYTE_1 src1_sel:BYTE_1
	v_sub_u16_sdwa v119, v119, v196 dst_sel:BYTE_1 dst_unused:UNUSED_PAD src0_sel:DWORD src1_sel:BYTE_3
	v_sub_u16_sdwa v194, v194, v196 dst_sel:DWORD dst_unused:UNUSED_PAD src0_sel:WORD_1 src1_sel:WORD_1
	v_or_b32_sdwa v198, v198, v200 dst_sel:DWORD dst_unused:UNUSED_PAD src0_sel:BYTE_0 src1_sel:DWORD
	v_or_b32_sdwa v119, v194, v119 dst_sel:WORD_1 dst_unused:UNUSED_PAD src0_sel:BYTE_0 src1_sel:DWORD
	v_or_b32_sdwa v196, v198, v119 dst_sel:DWORD dst_unused:UNUSED_PAD src0_sel:WORD_0 src1_sel:DWORD
	v_ashrrev_i32_e32 v119, s22, v197
	v_ashrrev_i32_e32 v197, s19, v199
	v_lshlrev_b32_e32 v197, 2, v197
	v_and_b32_e32 v194, 0x3030303, v119
	v_bfe_u32 v119, v119, 24, 2
	v_and_b32_e32 v197, 0x4040404, v197
	v_sub_u16_e32 v198, v194, v197
	v_sub_u16_sdwa v199, v194, v197 dst_sel:BYTE_1 dst_unused:UNUSED_PAD src0_sel:BYTE_1 src1_sel:BYTE_1
	v_sub_u16_sdwa v119, v119, v197 dst_sel:BYTE_1 dst_unused:UNUSED_PAD src0_sel:DWORD src1_sel:BYTE_3
	v_sub_u16_sdwa v194, v194, v197 dst_sel:DWORD dst_unused:UNUSED_PAD src0_sel:WORD_1 src1_sel:WORD_1
	v_or_b32_sdwa v198, v198, v199 dst_sel:DWORD dst_unused:UNUSED_PAD src0_sel:BYTE_0 src1_sel:DWORD
	v_or_b32_sdwa v119, v194, v119 dst_sel:WORD_1 dst_unused:UNUSED_PAD src0_sel:BYTE_0 src1_sel:DWORD
	v_or_b32_sdwa v197, v198, v119 dst_sel:DWORD dst_unused:UNUSED_PAD src0_sel:WORD_0 src1_sel:DWORD
	v_add3_u32 v119, v144, s21, v118
	v_add_u32_e32 v194, s25, v133
	ds_read_b32 v194, v194
	ds_read_u16 v119, v119 offset:35570
	v_mov_b32_e32 v199, 0
	v_dot4c_i32_i8_e32 v199, v188, v4
	v_dot4c_i32_i8_e32 v199, v190, v5
	;; [unrolled: 1-line block ×3, first 2 shown]
	s_waitcnt lgkmcnt(0)
	v_lshrrev_b16_e32 v200, 8, v119
	v_bfe_i32 v198, v119, 0, 8
	v_mov_b32_e32 v119, 0
	v_dot4c_i32_i8_e32 v119, v193, v0
	v_dot4c_i32_i8_e32 v119, v195, v1
	;; [unrolled: 1-line block ×5, first 2 shown]
	v_bfe_i32 v200, v200, 0, 8
	v_mul_lo_u32 v202, v199, v198
	v_add3_u32 v118, v146, s21, v118
	v_mad_u64_u32 v[202:203], s[26:27], v119, v200, v[202:203]
	v_cvt_f32_i32_e32 v199, v202
	v_mul_f32_e32 v119, v116, v194
	s_mov_b32 s21, s20
	v_fmac_f32_e32 v81, v119, v199
	v_add_u32_e32 v119, s24, v135
	ds_read2_b32 v[202:203], v119 offset1:1
	s_waitcnt lgkmcnt(0)
	v_ashrrev_i32_e32 v199, s22, v202
	v_add_u32_e32 v202, 0x4200, v210
	ds_read2_b32 v[204:205], v202 offset1:1
	v_and_b32_e32 v201, 0x3030303, v199
	v_bfe_u32 v199, v199, 24, 2
	s_waitcnt lgkmcnt(0)
	v_ashrrev_i32_e32 v202, s19, v204
	v_lshlrev_b32_e32 v202, 2, v202
	v_and_b32_e32 v202, 0x4040404, v202
	v_sub_u16_e32 v204, v201, v202
	v_sub_u16_sdwa v206, v201, v202 dst_sel:BYTE_1 dst_unused:UNUSED_PAD src0_sel:BYTE_1 src1_sel:BYTE_1
	v_sub_u16_sdwa v199, v199, v202 dst_sel:BYTE_1 dst_unused:UNUSED_PAD src0_sel:DWORD src1_sel:BYTE_3
	v_sub_u16_sdwa v201, v201, v202 dst_sel:DWORD dst_unused:UNUSED_PAD src0_sel:WORD_1 src1_sel:WORD_1
	v_or_b32_sdwa v199, v201, v199 dst_sel:WORD_1 dst_unused:UNUSED_PAD src0_sel:BYTE_0 src1_sel:DWORD
	v_ashrrev_i32_e32 v201, s22, v203
	v_ashrrev_i32_e32 v203, s19, v205
	v_lshlrev_b32_e32 v203, 2, v203
	v_or_b32_sdwa v204, v204, v206 dst_sel:DWORD dst_unused:UNUSED_PAD src0_sel:BYTE_0 src1_sel:DWORD
	v_and_b32_e32 v202, 0x3030303, v201
	v_bfe_u32 v201, v201, 24, 2
	v_and_b32_e32 v203, 0x4040404, v203
	v_or_b32_sdwa v199, v204, v199 dst_sel:DWORD dst_unused:UNUSED_PAD src0_sel:WORD_0 src1_sel:DWORD
	v_sub_u16_e32 v204, v202, v203
	v_sub_u16_sdwa v205, v202, v203 dst_sel:BYTE_1 dst_unused:UNUSED_PAD src0_sel:BYTE_1 src1_sel:BYTE_1
	v_sub_u16_sdwa v201, v201, v203 dst_sel:BYTE_1 dst_unused:UNUSED_PAD src0_sel:DWORD src1_sel:BYTE_3
	v_sub_u16_sdwa v202, v202, v203 dst_sel:DWORD dst_unused:UNUSED_PAD src0_sel:WORD_1 src1_sel:WORD_1
	v_or_b32_sdwa v204, v204, v205 dst_sel:DWORD dst_unused:UNUSED_PAD src0_sel:BYTE_0 src1_sel:DWORD
	v_or_b32_sdwa v201, v202, v201 dst_sel:WORD_1 dst_unused:UNUSED_PAD src0_sel:BYTE_0 src1_sel:DWORD
	v_or_b32_sdwa v201, v204, v201 dst_sel:DWORD dst_unused:UNUSED_PAD src0_sel:WORD_0 src1_sel:DWORD
	v_add_u32_e32 v204, 0x4208, v210
	ds_read2_b32 v[202:203], v119 offset0:2 offset1:3
	ds_read2_b32 v[204:205], v204 offset1:1
	s_waitcnt lgkmcnt(1)
	v_ashrrev_i32_e32 v202, s22, v202
	s_waitcnt lgkmcnt(0)
	v_ashrrev_i32_e32 v204, s19, v204
	v_lshlrev_b32_e32 v204, 2, v204
	v_and_b32_e32 v206, 0x3030303, v202
	v_bfe_u32 v202, v202, 24, 2
	v_and_b32_e32 v204, 0x4040404, v204
	v_ashrrev_i32_e32 v205, s19, v205
	v_sub_u16_e32 v207, v206, v204
	v_sub_u16_sdwa v208, v206, v204 dst_sel:BYTE_1 dst_unused:UNUSED_PAD src0_sel:BYTE_1 src1_sel:BYTE_1
	v_sub_u16_sdwa v202, v202, v204 dst_sel:BYTE_1 dst_unused:UNUSED_PAD src0_sel:DWORD src1_sel:BYTE_3
	v_sub_u16_sdwa v204, v206, v204 dst_sel:DWORD dst_unused:UNUSED_PAD src0_sel:WORD_1 src1_sel:WORD_1
	v_ashrrev_i32_e32 v203, s22, v203
	v_lshlrev_b32_e32 v205, 2, v205
	v_or_b32_sdwa v207, v207, v208 dst_sel:DWORD dst_unused:UNUSED_PAD src0_sel:BYTE_0 src1_sel:DWORD
	v_or_b32_sdwa v202, v204, v202 dst_sel:WORD_1 dst_unused:UNUSED_PAD src0_sel:BYTE_0 src1_sel:DWORD
	v_and_b32_e32 v204, 0x3030303, v203
	v_bfe_u32 v203, v203, 24, 2
	v_and_b32_e32 v205, 0x4040404, v205
	v_or_b32_sdwa v202, v207, v202 dst_sel:DWORD dst_unused:UNUSED_PAD src0_sel:WORD_0 src1_sel:DWORD
	v_sub_u16_e32 v206, v204, v205
	v_sub_u16_sdwa v207, v204, v205 dst_sel:BYTE_1 dst_unused:UNUSED_PAD src0_sel:BYTE_1 src1_sel:BYTE_1
	v_sub_u16_sdwa v203, v203, v205 dst_sel:BYTE_1 dst_unused:UNUSED_PAD src0_sel:DWORD src1_sel:BYTE_3
	v_sub_u16_sdwa v204, v204, v205 dst_sel:DWORD dst_unused:UNUSED_PAD src0_sel:WORD_1 src1_sel:WORD_1
	v_or_b32_sdwa v206, v206, v207 dst_sel:DWORD dst_unused:UNUSED_PAD src0_sel:BYTE_0 src1_sel:DWORD
	v_or_b32_sdwa v203, v204, v203 dst_sel:WORD_1 dst_unused:UNUSED_PAD src0_sel:BYTE_0 src1_sel:DWORD
	v_or_b32_sdwa v203, v206, v203 dst_sel:DWORD dst_unused:UNUSED_PAD src0_sel:WORD_0 src1_sel:DWORD
	v_add_u32_e32 v206, 0x4210, v210
	ds_read2_b32 v[204:205], v119 offset0:4 offset1:5
	ds_read2_b32 v[206:207], v206 offset1:1
	s_waitcnt lgkmcnt(1)
	v_ashrrev_i32_e32 v204, s22, v204
	s_waitcnt lgkmcnt(0)
	v_ashrrev_i32_e32 v206, s19, v206
	v_lshlrev_b32_e32 v206, 2, v206
	v_and_b32_e32 v208, 0x3030303, v204
	v_bfe_u32 v204, v204, 24, 2
	v_and_b32_e32 v206, 0x4040404, v206
	v_ashrrev_i32_e32 v207, s19, v207
	v_sub_u16_e32 v209, v208, v206
	v_sub_u16_sdwa v211, v208, v206 dst_sel:BYTE_1 dst_unused:UNUSED_PAD src0_sel:BYTE_1 src1_sel:BYTE_1
	v_sub_u16_sdwa v204, v204, v206 dst_sel:BYTE_1 dst_unused:UNUSED_PAD src0_sel:DWORD src1_sel:BYTE_3
	v_sub_u16_sdwa v206, v208, v206 dst_sel:DWORD dst_unused:UNUSED_PAD src0_sel:WORD_1 src1_sel:WORD_1
	v_ashrrev_i32_e32 v205, s22, v205
	v_lshlrev_b32_e32 v207, 2, v207
	v_or_b32_sdwa v209, v209, v211 dst_sel:DWORD dst_unused:UNUSED_PAD src0_sel:BYTE_0 src1_sel:DWORD
	v_or_b32_sdwa v204, v206, v204 dst_sel:WORD_1 dst_unused:UNUSED_PAD src0_sel:BYTE_0 src1_sel:DWORD
	v_and_b32_e32 v206, 0x3030303, v205
	v_bfe_u32 v205, v205, 24, 2
	v_and_b32_e32 v207, 0x4040404, v207
	v_or_b32_sdwa v204, v209, v204 dst_sel:DWORD dst_unused:UNUSED_PAD src0_sel:WORD_0 src1_sel:DWORD
	v_sub_u16_e32 v208, v206, v207
	v_sub_u16_sdwa v209, v206, v207 dst_sel:BYTE_1 dst_unused:UNUSED_PAD src0_sel:BYTE_1 src1_sel:BYTE_1
	v_sub_u16_sdwa v205, v205, v207 dst_sel:BYTE_1 dst_unused:UNUSED_PAD src0_sel:DWORD src1_sel:BYTE_3
	v_sub_u16_sdwa v206, v206, v207 dst_sel:DWORD dst_unused:UNUSED_PAD src0_sel:WORD_1 src1_sel:WORD_1
	v_or_b32_sdwa v208, v208, v209 dst_sel:DWORD dst_unused:UNUSED_PAD src0_sel:BYTE_0 src1_sel:DWORD
	v_or_b32_sdwa v205, v206, v205 dst_sel:WORD_1 dst_unused:UNUSED_PAD src0_sel:BYTE_0 src1_sel:DWORD
	v_add_u32_e32 v207, 0x4218, v210
	v_or_b32_sdwa v206, v208, v205 dst_sel:DWORD dst_unused:UNUSED_PAD src0_sel:WORD_0 src1_sel:DWORD
	ds_read2_b32 v[208:209], v119 offset0:6 offset1:7
	ds_read2_b32 v[210:211], v207 offset1:1
	s_waitcnt lgkmcnt(1)
	v_ashrrev_i32_e32 v119, s22, v208
	s_waitcnt lgkmcnt(0)
	v_ashrrev_i32_e32 v207, s19, v210
	v_lshlrev_b32_e32 v207, 2, v207
	v_and_b32_e32 v205, 0x3030303, v119
	v_bfe_u32 v119, v119, 24, 2
	v_and_b32_e32 v207, 0x4040404, v207
	v_sub_u16_e32 v208, v205, v207
	v_sub_u16_sdwa v210, v205, v207 dst_sel:BYTE_1 dst_unused:UNUSED_PAD src0_sel:BYTE_1 src1_sel:BYTE_1
	v_sub_u16_sdwa v119, v119, v207 dst_sel:BYTE_1 dst_unused:UNUSED_PAD src0_sel:DWORD src1_sel:BYTE_3
	v_sub_u16_sdwa v205, v205, v207 dst_sel:DWORD dst_unused:UNUSED_PAD src0_sel:WORD_1 src1_sel:WORD_1
	v_or_b32_sdwa v208, v208, v210 dst_sel:DWORD dst_unused:UNUSED_PAD src0_sel:BYTE_0 src1_sel:DWORD
	v_or_b32_sdwa v119, v205, v119 dst_sel:WORD_1 dst_unused:UNUSED_PAD src0_sel:BYTE_0 src1_sel:DWORD
	v_or_b32_sdwa v207, v208, v119 dst_sel:DWORD dst_unused:UNUSED_PAD src0_sel:WORD_0 src1_sel:DWORD
	v_ashrrev_i32_e32 v208, s19, v211
	v_ashrrev_i32_e32 v119, s22, v209
	v_lshlrev_b32_e32 v208, 2, v208
	v_and_b32_e32 v205, 0x3030303, v119
	v_bfe_u32 v119, v119, 24, 2
	v_and_b32_e32 v208, 0x4040404, v208
	v_sub_u16_e32 v209, v205, v208
	v_sub_u16_sdwa v210, v205, v208 dst_sel:BYTE_1 dst_unused:UNUSED_PAD src0_sel:BYTE_1 src1_sel:BYTE_1
	v_sub_u16_sdwa v119, v119, v208 dst_sel:BYTE_1 dst_unused:UNUSED_PAD src0_sel:DWORD src1_sel:BYTE_3
	v_sub_u16_sdwa v205, v205, v208 dst_sel:DWORD dst_unused:UNUSED_PAD src0_sel:WORD_1 src1_sel:WORD_1
	v_or_b32_sdwa v209, v209, v210 dst_sel:DWORD dst_unused:UNUSED_PAD src0_sel:BYTE_0 src1_sel:DWORD
	v_or_b32_sdwa v119, v205, v119 dst_sel:WORD_1 dst_unused:UNUSED_PAD src0_sel:BYTE_0 src1_sel:DWORD
	v_or_b32_sdwa v208, v209, v119 dst_sel:DWORD dst_unused:UNUSED_PAD src0_sel:WORD_0 src1_sel:DWORD
	v_add_u32_e32 v119, s25, v136
	ds_read_b32 v205, v119
	v_mov_b32_e32 v119, 0
	v_dot4c_i32_i8_e32 v119, v199, v4
	ds_read_u16 v4, v118 offset:36594
	v_dot4c_i32_i8_e32 v119, v201, v5
	v_dot4c_i32_i8_e32 v119, v202, v6
	v_mov_b32_e32 v6, 0
	v_dot4c_i32_i8_e32 v6, v204, v0
	v_dot4c_i32_i8_e32 v6, v206, v1
	;; [unrolled: 1-line block ×3, first 2 shown]
	s_waitcnt lgkmcnt(0)
	v_lshrrev_b16_e32 v5, 8, v4
	v_bfe_i32 v209, v4, 0, 8
	v_dot4c_i32_i8_e32 v6, v207, v2
	v_mul_lo_u32 v4, v119, v209
	v_dot4c_i32_i8_e32 v6, v208, v3
	v_bfe_i32 v210, v5, 0, 8
	v_mov_b32_e32 v118, 0
	s_add_i32 s19, s19, 1
	v_mad_u64_u32 v[0:1], s[22:23], v6, v210, v[4:5]
	v_cvt_f32_i32_e32 v0, v0
	v_mul_f32_e32 v1, v116, v205
	v_mov_b32_e32 v116, 0
	s_cmp_lt_u32 s20, 22
	v_fmac_f32_e32 v79, v1, v0
	ds_read_b128 v[0:3], v165 offset:1024
	ds_read_b128 v[4:7], v165 offset:1040
	s_waitcnt lgkmcnt(1)
	v_dot4c_i32_i8_e32 v116, v167, v0
	v_dot4c_i32_i8_e32 v116, v168, v1
	s_waitcnt lgkmcnt(0)
	v_dot4c_i32_i8_e32 v118, v172, v4
	v_dot4c_i32_i8_e32 v116, v169, v2
	;; [unrolled: 1-line block ×6, first 2 shown]
	s_nop 0
	v_mul_lo_u32 v116, v116, v176
	s_nop 0
	v_mad_u64_u32 v[118:119], s[22:23], v118, v178, v[116:117]
	v_cvt_f32_i32_e32 v118, v118
	v_mul_f32_e32 v116, v171, v117
	v_fmac_f32_e32 v71, v116, v118
	v_mov_b32_e32 v116, 0
	v_dot4c_i32_i8_e32 v116, v177, v0
	v_mov_b32_e32 v118, 0
	v_dot4c_i32_i8_e32 v116, v179, v1
	v_dot4c_i32_i8_e32 v118, v182, v4
	;; [unrolled: 1-line block ×7, first 2 shown]
	s_nop 0
	v_mul_lo_u32 v116, v116, v187
	s_nop 0
	v_mad_u64_u32 v[118:119], s[22:23], v118, v189, v[116:117]
	v_cvt_f32_i32_e32 v118, v118
	v_mul_f32_e32 v116, v183, v117
	v_fmac_f32_e32 v69, v116, v118
	v_mov_b32_e32 v116, 0
	v_dot4c_i32_i8_e32 v116, v188, v0
	v_mov_b32_e32 v118, 0
	v_dot4c_i32_i8_e32 v116, v190, v1
	v_dot4c_i32_i8_e32 v118, v193, v4
	v_dot4c_i32_i8_e32 v116, v191, v2
	v_dot4c_i32_i8_e32 v118, v195, v5
	v_dot4c_i32_i8_e32 v116, v192, v3
	v_dot4c_i32_i8_e32 v118, v196, v6
	v_dot4c_i32_i8_e32 v118, v197, v7
	s_nop 0
	v_mul_lo_u32 v116, v116, v198
	s_nop 0
	v_mad_u64_u32 v[118:119], s[22:23], v118, v200, v[116:117]
	v_cvt_f32_i32_e32 v118, v118
	v_mul_f32_e32 v116, v194, v117
	v_mov_b32_e32 v119, 0
	v_fmac_f32_e32 v67, v116, v118
	v_mov_b32_e32 v116, 0
	v_dot4c_i32_i8_e32 v116, v199, v0
	v_dot4c_i32_i8_e32 v116, v201, v1
	v_mov_b32_e32 v1, 0
	v_dot4c_i32_i8_e32 v1, v204, v4
	v_dot4c_i32_i8_e32 v116, v202, v2
	;; [unrolled: 1-line block ×6, first 2 shown]
	v_mov_b32_e32 v118, 0
	v_mul_lo_u32 v0, v116, v209
	s_nop 0
	v_mad_u64_u32 v[0:1], s[22:23], v1, v210, v[0:1]
	v_cvt_f32_i32_e32 v0, v0
	v_mul_f32_e32 v1, v205, v117
	v_fmac_f32_e32 v65, v1, v0
	ds_read2_b32 v[116:117], v166 offset0:64 offset1:96
	ds_read_b128 v[0:3], v165 offset:2048
	ds_read_b128 v[4:7], v165 offset:2064
	s_waitcnt lgkmcnt(1)
	v_dot4c_i32_i8_e32 v118, v167, v0
	v_dot4c_i32_i8_e32 v118, v168, v1
	s_waitcnt lgkmcnt(0)
	v_dot4c_i32_i8_e32 v119, v172, v4
	v_dot4c_i32_i8_e32 v118, v169, v2
	;; [unrolled: 1-line block ×6, first 2 shown]
	s_nop 0
	v_mul_lo_u32 v118, v118, v176
	s_nop 0
	v_mad_u64_u32 v[118:119], s[22:23], v119, v178, v[118:119]
	v_cvt_f32_i32_e32 v118, v118
	v_mul_f32_e32 v119, v171, v116
	v_fmac_f32_e32 v61, v119, v118
	v_mov_b32_e32 v118, 0
	v_dot4c_i32_i8_e32 v118, v177, v0
	v_mov_b32_e32 v119, 0
	v_dot4c_i32_i8_e32 v118, v179, v1
	v_dot4c_i32_i8_e32 v119, v182, v4
	;; [unrolled: 1-line block ×7, first 2 shown]
	s_nop 0
	v_mul_lo_u32 v118, v118, v187
	s_nop 0
	v_mad_u64_u32 v[118:119], s[22:23], v119, v189, v[118:119]
	v_cvt_f32_i32_e32 v118, v118
	v_mul_f32_e32 v119, v183, v116
	v_fmac_f32_e32 v57, v119, v118
	v_mov_b32_e32 v118, 0
	v_dot4c_i32_i8_e32 v118, v188, v0
	v_mov_b32_e32 v119, 0
	v_dot4c_i32_i8_e32 v118, v190, v1
	v_dot4c_i32_i8_e32 v119, v193, v4
	;; [unrolled: 1-line block ×7, first 2 shown]
	s_nop 0
	v_mul_lo_u32 v118, v118, v198
	s_nop 0
	v_mad_u64_u32 v[118:119], s[22:23], v119, v200, v[118:119]
	v_cvt_f32_i32_e32 v118, v118
	v_mul_f32_e32 v119, v194, v116
	v_fmac_f32_e32 v55, v119, v118
	v_mov_b32_e32 v118, 0
	v_dot4c_i32_i8_e32 v118, v199, v0
	v_dot4c_i32_i8_e32 v118, v201, v1
	v_mov_b32_e32 v1, 0
	v_dot4c_i32_i8_e32 v1, v204, v4
	v_dot4c_i32_i8_e32 v118, v202, v2
	;; [unrolled: 1-line block ×6, first 2 shown]
	s_nop 0
	v_mul_lo_u32 v0, v118, v209
	v_mov_b32_e32 v118, 0
	v_mad_u64_u32 v[0:1], s[22:23], v1, v210, v[0:1]
	v_cvt_f32_i32_e32 v0, v0
	v_mul_f32_e32 v1, v205, v116
	v_mov_b32_e32 v116, 0
	v_fmac_f32_e32 v53, v1, v0
	ds_read_b128 v[0:3], v165 offset:3072
	ds_read_b128 v[4:7], v165 offset:3088
	s_waitcnt lgkmcnt(1)
	v_dot4c_i32_i8_e32 v116, v167, v0
	v_dot4c_i32_i8_e32 v116, v168, v1
	s_waitcnt lgkmcnt(0)
	v_dot4c_i32_i8_e32 v118, v172, v4
	v_dot4c_i32_i8_e32 v116, v169, v2
	;; [unrolled: 1-line block ×6, first 2 shown]
	s_nop 0
	v_mul_lo_u32 v116, v116, v176
	s_nop 0
	v_mad_u64_u32 v[118:119], s[22:23], v118, v178, v[116:117]
	v_cvt_f32_i32_e32 v118, v118
	v_mul_f32_e32 v116, v171, v117
	v_fmac_f32_e32 v51, v116, v118
	v_mov_b32_e32 v116, 0
	v_dot4c_i32_i8_e32 v116, v177, v0
	v_mov_b32_e32 v118, 0
	v_dot4c_i32_i8_e32 v116, v179, v1
	v_dot4c_i32_i8_e32 v118, v182, v4
	;; [unrolled: 1-line block ×7, first 2 shown]
	s_nop 0
	v_mul_lo_u32 v116, v116, v187
	s_nop 0
	v_mad_u64_u32 v[118:119], s[22:23], v118, v189, v[116:117]
	v_cvt_f32_i32_e32 v118, v118
	v_mul_f32_e32 v116, v183, v117
	v_fmac_f32_e32 v49, v116, v118
	v_mov_b32_e32 v116, 0
	v_dot4c_i32_i8_e32 v116, v188, v0
	v_mov_b32_e32 v118, 0
	v_dot4c_i32_i8_e32 v116, v190, v1
	v_dot4c_i32_i8_e32 v118, v193, v4
	;; [unrolled: 1-line block ×7, first 2 shown]
	s_nop 0
	v_mul_lo_u32 v116, v116, v198
	s_nop 0
	v_mad_u64_u32 v[118:119], s[22:23], v118, v200, v[116:117]
	v_cvt_f32_i32_e32 v118, v118
	v_mul_f32_e32 v116, v194, v117
	v_mov_b32_e32 v119, 0
	v_fmac_f32_e32 v47, v116, v118
	v_mov_b32_e32 v116, 0
	v_dot4c_i32_i8_e32 v116, v199, v0
	v_dot4c_i32_i8_e32 v116, v201, v1
	v_mov_b32_e32 v1, 0
	v_dot4c_i32_i8_e32 v1, v204, v4
	v_dot4c_i32_i8_e32 v116, v202, v2
	;; [unrolled: 1-line block ×6, first 2 shown]
	v_mov_b32_e32 v118, 0
	v_mul_lo_u32 v0, v116, v209
	s_nop 0
	v_mad_u64_u32 v[0:1], s[22:23], v1, v210, v[0:1]
	v_cvt_f32_i32_e32 v0, v0
	v_mul_f32_e32 v1, v205, v117
	v_fmac_f32_e32 v45, v1, v0
	ds_read2_b32 v[116:117], v166 offset0:128 offset1:160
	ds_read_b128 v[0:3], v165 offset:4096
	ds_read_b128 v[4:7], v165 offset:4112
	s_waitcnt lgkmcnt(1)
	v_dot4c_i32_i8_e32 v118, v167, v0
	v_dot4c_i32_i8_e32 v118, v168, v1
	s_waitcnt lgkmcnt(0)
	v_dot4c_i32_i8_e32 v119, v172, v4
	v_dot4c_i32_i8_e32 v118, v169, v2
	;; [unrolled: 1-line block ×6, first 2 shown]
	s_nop 0
	v_mul_lo_u32 v118, v118, v176
	s_nop 0
	v_mad_u64_u32 v[118:119], s[22:23], v119, v178, v[118:119]
	v_cvt_f32_i32_e32 v118, v118
	v_mul_f32_e32 v119, v171, v116
	v_fmac_f32_e32 v43, v119, v118
	v_mov_b32_e32 v118, 0
	v_dot4c_i32_i8_e32 v118, v177, v0
	v_mov_b32_e32 v119, 0
	v_dot4c_i32_i8_e32 v118, v179, v1
	v_dot4c_i32_i8_e32 v119, v182, v4
	;; [unrolled: 1-line block ×7, first 2 shown]
	s_nop 0
	v_mul_lo_u32 v118, v118, v187
	s_nop 0
	v_mad_u64_u32 v[118:119], s[22:23], v119, v189, v[118:119]
	v_cvt_f32_i32_e32 v118, v118
	v_mul_f32_e32 v119, v183, v116
	v_fmac_f32_e32 v39, v119, v118
	v_mov_b32_e32 v118, 0
	v_dot4c_i32_i8_e32 v118, v188, v0
	v_mov_b32_e32 v119, 0
	v_dot4c_i32_i8_e32 v118, v190, v1
	v_dot4c_i32_i8_e32 v119, v193, v4
	;; [unrolled: 1-line block ×7, first 2 shown]
	s_nop 0
	v_mul_lo_u32 v118, v118, v198
	s_nop 0
	v_mad_u64_u32 v[118:119], s[22:23], v119, v200, v[118:119]
	v_cvt_f32_i32_e32 v118, v118
	v_mul_f32_e32 v119, v194, v116
	v_fmac_f32_e32 v35, v119, v118
	v_mov_b32_e32 v118, 0
	v_dot4c_i32_i8_e32 v118, v199, v0
	v_dot4c_i32_i8_e32 v118, v201, v1
	v_mov_b32_e32 v1, 0
	v_dot4c_i32_i8_e32 v1, v204, v4
	v_dot4c_i32_i8_e32 v118, v202, v2
	;; [unrolled: 1-line block ×6, first 2 shown]
	s_nop 0
	v_mul_lo_u32 v0, v118, v209
	v_mov_b32_e32 v118, 0
	v_mad_u64_u32 v[0:1], s[22:23], v1, v210, v[0:1]
	v_cvt_f32_i32_e32 v0, v0
	v_mul_f32_e32 v1, v205, v116
	v_mov_b32_e32 v116, 0
	v_fmac_f32_e32 v33, v1, v0
	ds_read_b128 v[0:3], v165 offset:5120
	ds_read_b128 v[4:7], v165 offset:5136
	s_waitcnt lgkmcnt(1)
	v_dot4c_i32_i8_e32 v116, v167, v0
	v_dot4c_i32_i8_e32 v116, v168, v1
	s_waitcnt lgkmcnt(0)
	v_dot4c_i32_i8_e32 v118, v172, v4
	v_dot4c_i32_i8_e32 v116, v169, v2
	;; [unrolled: 1-line block ×6, first 2 shown]
	s_nop 0
	v_mul_lo_u32 v116, v116, v176
	s_nop 0
	v_mad_u64_u32 v[118:119], s[22:23], v118, v178, v[116:117]
	v_cvt_f32_i32_e32 v118, v118
	v_mul_f32_e32 v116, v171, v117
	v_fmac_f32_e32 v31, v116, v118
	v_mov_b32_e32 v116, 0
	v_dot4c_i32_i8_e32 v116, v177, v0
	v_mov_b32_e32 v118, 0
	v_dot4c_i32_i8_e32 v116, v179, v1
	v_dot4c_i32_i8_e32 v118, v182, v4
	;; [unrolled: 1-line block ×7, first 2 shown]
	s_nop 0
	v_mul_lo_u32 v116, v116, v187
	s_nop 0
	v_mad_u64_u32 v[118:119], s[22:23], v118, v189, v[116:117]
	v_cvt_f32_i32_e32 v118, v118
	v_mul_f32_e32 v116, v183, v117
	v_fmac_f32_e32 v29, v116, v118
	v_mov_b32_e32 v116, 0
	v_dot4c_i32_i8_e32 v116, v188, v0
	v_mov_b32_e32 v118, 0
	v_dot4c_i32_i8_e32 v116, v190, v1
	v_dot4c_i32_i8_e32 v118, v193, v4
	;; [unrolled: 1-line block ×7, first 2 shown]
	s_nop 0
	v_mul_lo_u32 v116, v116, v198
	s_nop 0
	v_mad_u64_u32 v[118:119], s[22:23], v118, v200, v[116:117]
	v_cvt_f32_i32_e32 v118, v118
	v_mul_f32_e32 v116, v194, v117
	v_mov_b32_e32 v119, 0
	v_fmac_f32_e32 v27, v116, v118
	v_mov_b32_e32 v116, 0
	v_dot4c_i32_i8_e32 v116, v199, v0
	v_dot4c_i32_i8_e32 v116, v201, v1
	v_mov_b32_e32 v1, 0
	v_dot4c_i32_i8_e32 v1, v204, v4
	v_dot4c_i32_i8_e32 v116, v202, v2
	;; [unrolled: 1-line block ×6, first 2 shown]
	v_mov_b32_e32 v118, 0
	v_mul_lo_u32 v0, v116, v209
	s_nop 0
	v_mad_u64_u32 v[0:1], s[22:23], v1, v210, v[0:1]
	v_cvt_f32_i32_e32 v0, v0
	v_mul_f32_e32 v1, v205, v117
	v_fmac_f32_e32 v25, v1, v0
	ds_read2_b32 v[116:117], v166 offset0:192 offset1:224
	ds_read_b128 v[4:7], v165 offset:6144
	ds_read_b128 v[0:3], v165 offset:6160
	v_add_u32_e32 v166, 4, v166
	s_waitcnt lgkmcnt(1)
	v_dot4c_i32_i8_e32 v118, v167, v4
	v_dot4c_i32_i8_e32 v118, v168, v5
	s_waitcnt lgkmcnt(0)
	v_dot4c_i32_i8_e32 v119, v172, v0
	v_dot4c_i32_i8_e32 v118, v169, v6
	;; [unrolled: 1-line block ×6, first 2 shown]
	s_nop 0
	v_mul_lo_u32 v118, v118, v176
	s_nop 0
	v_mad_u64_u32 v[118:119], s[22:23], v119, v178, v[118:119]
	v_cvt_f32_i32_e32 v118, v118
	v_mul_f32_e32 v119, v171, v116
	v_fmac_f32_e32 v23, v119, v118
	v_mov_b32_e32 v118, 0
	v_dot4c_i32_i8_e32 v118, v177, v4
	v_mov_b32_e32 v119, 0
	v_dot4c_i32_i8_e32 v118, v179, v5
	v_dot4c_i32_i8_e32 v119, v182, v0
	;; [unrolled: 1-line block ×7, first 2 shown]
	s_nop 0
	v_mul_lo_u32 v118, v118, v187
	s_nop 0
	v_mad_u64_u32 v[118:119], s[22:23], v119, v189, v[118:119]
	v_cvt_f32_i32_e32 v118, v118
	v_mul_f32_e32 v119, v183, v116
	v_fmac_f32_e32 v21, v119, v118
	v_mov_b32_e32 v118, 0
	v_dot4c_i32_i8_e32 v118, v188, v4
	v_mov_b32_e32 v119, 0
	v_dot4c_i32_i8_e32 v118, v190, v5
	v_dot4c_i32_i8_e32 v119, v193, v0
	v_dot4c_i32_i8_e32 v118, v191, v6
	v_dot4c_i32_i8_e32 v119, v195, v1
	v_dot4c_i32_i8_e32 v118, v192, v7
	v_dot4c_i32_i8_e32 v119, v196, v2
	v_dot4c_i32_i8_e32 v119, v197, v3
	s_nop 0
	v_mul_lo_u32 v118, v118, v198
	s_nop 0
	v_mad_u64_u32 v[118:119], s[22:23], v119, v200, v[118:119]
	v_cvt_f32_i32_e32 v118, v118
	v_mul_f32_e32 v119, v194, v116
	v_fmac_f32_e32 v19, v119, v118
	v_mov_b32_e32 v118, 0
	v_dot4c_i32_i8_e32 v118, v199, v4
	v_dot4c_i32_i8_e32 v118, v201, v5
	v_mov_b32_e32 v5, 0
	v_dot4c_i32_i8_e32 v5, v204, v0
	v_dot4c_i32_i8_e32 v118, v202, v6
	;; [unrolled: 1-line block ×6, first 2 shown]
	s_nop 0
	v_mul_lo_u32 v4, v118, v209
	v_mov_b32_e32 v118, 0
	v_mad_u64_u32 v[0:1], s[22:23], v5, v210, v[4:5]
	v_cvt_f32_i32_e32 v0, v0
	v_mul_f32_e32 v1, v205, v116
	v_mov_b32_e32 v116, 0
	v_fmac_f32_e32 v17, v1, v0
	ds_read_b128 v[0:3], v165 offset:7168
	ds_read_b128 v[4:7], v165 offset:7184
	v_add_u32_e32 v165, 32, v165
	s_waitcnt lgkmcnt(1)
	v_dot4c_i32_i8_e32 v116, v167, v0
	v_dot4c_i32_i8_e32 v116, v168, v1
	s_waitcnt lgkmcnt(0)
	v_dot4c_i32_i8_e32 v118, v172, v4
	v_dot4c_i32_i8_e32 v116, v169, v2
	v_dot4c_i32_i8_e32 v118, v173, v5
	v_dot4c_i32_i8_e32 v116, v170, v3
	v_dot4c_i32_i8_e32 v118, v174, v6
	v_dot4c_i32_i8_e32 v118, v175, v7
	s_nop 0
	v_mul_lo_u32 v116, v116, v176
	s_nop 0
	v_mad_u64_u32 v[118:119], s[22:23], v118, v178, v[116:117]
	v_cvt_f32_i32_e32 v118, v118
	v_mul_f32_e32 v116, v171, v117
	v_fmac_f32_e32 v15, v116, v118
	v_mov_b32_e32 v116, 0
	v_dot4c_i32_i8_e32 v116, v177, v0
	v_mov_b32_e32 v118, 0
	v_dot4c_i32_i8_e32 v116, v179, v1
	v_dot4c_i32_i8_e32 v118, v182, v4
	;; [unrolled: 1-line block ×7, first 2 shown]
	s_nop 0
	v_mul_lo_u32 v116, v116, v187
	s_nop 0
	v_mad_u64_u32 v[118:119], s[22:23], v118, v189, v[116:117]
	v_cvt_f32_i32_e32 v118, v118
	v_mul_f32_e32 v116, v183, v117
	v_fmac_f32_e32 v13, v116, v118
	v_mov_b32_e32 v116, 0
	v_dot4c_i32_i8_e32 v116, v188, v0
	v_mov_b32_e32 v118, 0
	v_dot4c_i32_i8_e32 v116, v190, v1
	v_dot4c_i32_i8_e32 v118, v193, v4
	;; [unrolled: 1-line block ×7, first 2 shown]
	s_nop 0
	v_mul_lo_u32 v116, v116, v198
	s_nop 0
	v_mad_u64_u32 v[118:119], s[22:23], v118, v200, v[116:117]
	v_cvt_f32_i32_e32 v118, v118
	v_mul_f32_e32 v116, v194, v117
	v_fmac_f32_e32 v11, v116, v118
	v_mov_b32_e32 v116, 0
	v_dot4c_i32_i8_e32 v116, v199, v0
	v_dot4c_i32_i8_e32 v116, v201, v1
	v_mov_b32_e32 v1, 0
	v_dot4c_i32_i8_e32 v1, v204, v4
	v_dot4c_i32_i8_e32 v116, v202, v2
	;; [unrolled: 1-line block ×6, first 2 shown]
	s_nop 0
	v_mul_lo_u32 v0, v116, v209
	s_nop 0
	v_mad_u64_u32 v[0:1], s[22:23], v1, v210, v[0:1]
	v_cvt_f32_i32_e32 v0, v0
	v_mul_f32_e32 v1, v205, v117
	v_fmac_f32_e32 v9, v1, v0
	s_cbranch_scc1 .LBB130_12
; %bb.13:                               ;   in Loop: Header=BB130_6 Depth=1
	v_add_u32_e32 v165, s17, v139
	v_add_u32_e32 v0, v165, v87
	v_add_u32_e32 v2, v165, v95
	v_add_u32_e32 v4, v165, v99
	v_add_u32_e32 v6, v165, v103
	v_add_u32_e32 v116, v165, v107
	v_add_u32_e32 v118, v165, v111
	v_add_u32_e32 v166, v165, v120
	v_add_u32_e32 v165, v165, v122
	v_add_u32_e32 v164, 12, v164
	v_mad_i64_i32 v[0:1], s[18:19], v0, 36, v[112:113]
	v_mad_i64_i32 v[2:3], s[18:19], v2, 36, v[112:113]
	;; [unrolled: 1-line block ×5, first 2 shown]
	v_mad_u64_u32 v[164:165], s[18:19], v164, 36, s[2:3]
	s_barrier
	v_mad_i64_i32 v[116:117], s[18:19], v116, 36, v[112:113]
	v_mad_i64_i32 v[118:119], s[18:19], v118, 36, v[112:113]
	;; [unrolled: 1-line block ×3, first 2 shown]
	global_load_dword v165, v[164:165], off
	s_nop 0
	global_load_dword v0, v[0:1], off offset:4
	s_nop 0
	global_load_dword v1, v[2:3], off offset:4
	;; [unrolled: 2-line block ×3, first 2 shown]
	global_load_dword v3, v[6:7], off offset:4
	s_nop 0
	global_load_dword v4, v[116:117], off offset:4
	global_load_dword v5, v[118:119], off offset:4
	global_load_dword v6, v[166:167], off offset:4
	global_load_dword v7, v[168:169], off offset:4
	s_mov_b32 s17, 24
	s_mov_b32 s20, 22
	;; [unrolled: 1-line block ×3, first 2 shown]
	v_mov_b32_e32 v164, v149
	s_waitcnt vmcnt(8)
	v_cvt_f32_f16_e32 v116, v165
	v_mov_b32_e32 v165, v148
	s_waitcnt vmcnt(7)
	ds_write_b32 v91, v0
	s_waitcnt vmcnt(6)
	ds_write_b32 v97, v1
	;; [unrolled: 2-line block ×8, first 2 shown]
	ds_write_b32 v85, v116
	s_waitcnt lgkmcnt(0)
	s_barrier
.LBB130_14:                             ;   Parent Loop BB130_6 Depth=1
                                        ; =>  This Inner Loop Header: Depth=2
	s_add_i32 s19, s20, 2
	s_lshr_b32 s24, s19, 4
	s_and_b32 s23, s19, 0x3ffffff8
	s_lshl_b32 s22, s24, 3
	s_lshl_b32 s23, s23, 2
	v_add_lshl_u32 v176, v125, s22, 2
	v_add_u32_e32 v119, s23, v126
	v_add_u32_e32 v168, 0x4200, v176
	ds_read2_b32 v[116:117], v165 offset1:32
	ds_read_b128 v[4:7], v164
	ds_read_b128 v[0:3], v164 offset:16
	ds_read2_b32 v[166:167], v119 offset1:1
	ds_read2_b32 v[168:169], v168 offset1:1
	s_and_b32 s21, s17, -16
	v_add_u32_e32 v118, s21, v124
	s_sub_i32 s21, s20, 22
	s_waitcnt lgkmcnt(1)
	v_ashrrev_i32_e32 v166, s21, v166
	s_waitcnt lgkmcnt(0)
	v_ashrrev_i32_e32 v168, s18, v168
	v_lshlrev_b32_e32 v168, 2, v168
	v_and_b32_e32 v170, 0x3030303, v166
	v_bfe_u32 v166, v166, 24, 2
	v_and_b32_e32 v168, 0x4040404, v168
	v_ashrrev_i32_e32 v169, s18, v169
	v_sub_u16_e32 v171, v170, v168
	v_sub_u16_sdwa v172, v170, v168 dst_sel:BYTE_1 dst_unused:UNUSED_PAD src0_sel:BYTE_1 src1_sel:BYTE_1
	v_sub_u16_sdwa v166, v166, v168 dst_sel:BYTE_1 dst_unused:UNUSED_PAD src0_sel:DWORD src1_sel:BYTE_3
	v_sub_u16_sdwa v168, v170, v168 dst_sel:DWORD dst_unused:UNUSED_PAD src0_sel:WORD_1 src1_sel:WORD_1
	v_ashrrev_i32_e32 v167, s21, v167
	v_lshlrev_b32_e32 v169, 2, v169
	v_or_b32_sdwa v171, v171, v172 dst_sel:DWORD dst_unused:UNUSED_PAD src0_sel:BYTE_0 src1_sel:DWORD
	v_or_b32_sdwa v166, v168, v166 dst_sel:WORD_1 dst_unused:UNUSED_PAD src0_sel:BYTE_0 src1_sel:DWORD
	v_and_b32_e32 v168, 0x3030303, v167
	v_bfe_u32 v167, v167, 24, 2
	v_and_b32_e32 v169, 0x4040404, v169
	v_or_b32_sdwa v166, v171, v166 dst_sel:DWORD dst_unused:UNUSED_PAD src0_sel:WORD_0 src1_sel:DWORD
	v_sub_u16_e32 v170, v168, v169
	v_sub_u16_sdwa v171, v168, v169 dst_sel:BYTE_1 dst_unused:UNUSED_PAD src0_sel:BYTE_1 src1_sel:BYTE_1
	v_sub_u16_sdwa v167, v167, v169 dst_sel:BYTE_1 dst_unused:UNUSED_PAD src0_sel:DWORD src1_sel:BYTE_3
	v_sub_u16_sdwa v168, v168, v169 dst_sel:DWORD dst_unused:UNUSED_PAD src0_sel:WORD_1 src1_sel:WORD_1
	v_or_b32_sdwa v170, v170, v171 dst_sel:DWORD dst_unused:UNUSED_PAD src0_sel:BYTE_0 src1_sel:DWORD
	v_or_b32_sdwa v167, v168, v167 dst_sel:WORD_1 dst_unused:UNUSED_PAD src0_sel:BYTE_0 src1_sel:DWORD
	v_or_b32_sdwa v167, v170, v167 dst_sel:DWORD dst_unused:UNUSED_PAD src0_sel:WORD_0 src1_sel:DWORD
	v_add_u32_e32 v170, 0x4208, v176
	ds_read2_b32 v[168:169], v119 offset0:2 offset1:3
	ds_read2_b32 v[170:171], v170 offset1:1
	s_lshl_b32 s24, s24, 2
	v_add_lshl_u32 v186, v128, s22, 2
	v_add_u32_e32 v180, 0x4200, v186
	s_waitcnt lgkmcnt(1)
	v_ashrrev_i32_e32 v168, s21, v168
	s_waitcnt lgkmcnt(0)
	v_ashrrev_i32_e32 v170, s18, v170
	v_lshlrev_b32_e32 v170, 2, v170
	v_and_b32_e32 v172, 0x3030303, v168
	v_bfe_u32 v168, v168, 24, 2
	v_and_b32_e32 v170, 0x4040404, v170
	v_ashrrev_i32_e32 v171, s18, v171
	v_sub_u16_e32 v173, v172, v170
	v_sub_u16_sdwa v174, v172, v170 dst_sel:BYTE_1 dst_unused:UNUSED_PAD src0_sel:BYTE_1 src1_sel:BYTE_1
	v_sub_u16_sdwa v168, v168, v170 dst_sel:BYTE_1 dst_unused:UNUSED_PAD src0_sel:DWORD src1_sel:BYTE_3
	v_sub_u16_sdwa v170, v172, v170 dst_sel:DWORD dst_unused:UNUSED_PAD src0_sel:WORD_1 src1_sel:WORD_1
	v_ashrrev_i32_e32 v169, s21, v169
	v_lshlrev_b32_e32 v171, 2, v171
	v_or_b32_sdwa v173, v173, v174 dst_sel:DWORD dst_unused:UNUSED_PAD src0_sel:BYTE_0 src1_sel:DWORD
	v_or_b32_sdwa v168, v170, v168 dst_sel:WORD_1 dst_unused:UNUSED_PAD src0_sel:BYTE_0 src1_sel:DWORD
	v_and_b32_e32 v170, 0x3030303, v169
	v_bfe_u32 v169, v169, 24, 2
	v_and_b32_e32 v171, 0x4040404, v171
	v_or_b32_sdwa v168, v173, v168 dst_sel:DWORD dst_unused:UNUSED_PAD src0_sel:WORD_0 src1_sel:DWORD
	v_sub_u16_e32 v172, v170, v171
	v_sub_u16_sdwa v173, v170, v171 dst_sel:BYTE_1 dst_unused:UNUSED_PAD src0_sel:BYTE_1 src1_sel:BYTE_1
	v_sub_u16_sdwa v169, v169, v171 dst_sel:BYTE_1 dst_unused:UNUSED_PAD src0_sel:DWORD src1_sel:BYTE_3
	v_sub_u16_sdwa v170, v170, v171 dst_sel:DWORD dst_unused:UNUSED_PAD src0_sel:WORD_1 src1_sel:WORD_1
	v_or_b32_sdwa v172, v172, v173 dst_sel:DWORD dst_unused:UNUSED_PAD src0_sel:BYTE_0 src1_sel:DWORD
	v_or_b32_sdwa v169, v170, v169 dst_sel:WORD_1 dst_unused:UNUSED_PAD src0_sel:BYTE_0 src1_sel:DWORD
	v_or_b32_sdwa v169, v172, v169 dst_sel:DWORD dst_unused:UNUSED_PAD src0_sel:WORD_0 src1_sel:DWORD
	ds_read2_b32 v[172:173], v119 offset0:4 offset1:5
	v_add_lshl_u32 v208, v134, s22, 2
	v_add_lshl_u32 v198, v131, s22, 2
	v_add_u32_e32 v202, 0x4200, v208
	s_add_i32 s17, s17, 2
	s_waitcnt lgkmcnt(0)
	v_ashrrev_i32_e32 v170, s21, v172
	v_add_u32_e32 v172, 0x4210, v176
	ds_read2_b32 v[174:175], v172 offset1:1
	v_and_b32_e32 v171, 0x3030303, v170
	v_bfe_u32 v170, v170, 24, 2
	ds_read2_b32 v[180:181], v180 offset1:1
	ds_read2_b32 v[202:203], v202 offset1:1
	s_waitcnt lgkmcnt(2)
	v_ashrrev_i32_e32 v172, s18, v174
	v_lshlrev_b32_e32 v172, 2, v172
	v_and_b32_e32 v172, 0x4040404, v172
	v_sub_u16_e32 v174, v171, v172
	v_sub_u16_sdwa v177, v171, v172 dst_sel:BYTE_1 dst_unused:UNUSED_PAD src0_sel:BYTE_1 src1_sel:BYTE_1
	v_sub_u16_sdwa v170, v170, v172 dst_sel:BYTE_1 dst_unused:UNUSED_PAD src0_sel:DWORD src1_sel:BYTE_3
	v_sub_u16_sdwa v171, v171, v172 dst_sel:DWORD dst_unused:UNUSED_PAD src0_sel:WORD_1 src1_sel:WORD_1
	v_or_b32_sdwa v174, v174, v177 dst_sel:DWORD dst_unused:UNUSED_PAD src0_sel:BYTE_0 src1_sel:DWORD
	v_or_b32_sdwa v170, v171, v170 dst_sel:WORD_1 dst_unused:UNUSED_PAD src0_sel:BYTE_0 src1_sel:DWORD
	v_or_b32_sdwa v171, v174, v170 dst_sel:DWORD dst_unused:UNUSED_PAD src0_sel:WORD_0 src1_sel:DWORD
	v_ashrrev_i32_e32 v170, s21, v173
	v_ashrrev_i32_e32 v173, s18, v175
	v_lshlrev_b32_e32 v173, 2, v173
	v_and_b32_e32 v172, 0x3030303, v170
	v_bfe_u32 v170, v170, 24, 2
	v_and_b32_e32 v173, 0x4040404, v173
	v_sub_u16_e32 v174, v172, v173
	v_sub_u16_sdwa v175, v172, v173 dst_sel:BYTE_1 dst_unused:UNUSED_PAD src0_sel:BYTE_1 src1_sel:BYTE_1
	v_sub_u16_sdwa v170, v170, v173 dst_sel:BYTE_1 dst_unused:UNUSED_PAD src0_sel:DWORD src1_sel:BYTE_3
	v_sub_u16_sdwa v172, v172, v173 dst_sel:DWORD dst_unused:UNUSED_PAD src0_sel:WORD_1 src1_sel:WORD_1
	v_or_b32_sdwa v174, v174, v175 dst_sel:DWORD dst_unused:UNUSED_PAD src0_sel:BYTE_0 src1_sel:DWORD
	v_or_b32_sdwa v170, v172, v170 dst_sel:WORD_1 dst_unused:UNUSED_PAD src0_sel:BYTE_0 src1_sel:DWORD
	v_add_u32_e32 v173, 0x4218, v176
	v_or_b32_sdwa v172, v174, v170 dst_sel:DWORD dst_unused:UNUSED_PAD src0_sel:WORD_0 src1_sel:DWORD
	ds_read2_b32 v[174:175], v119 offset0:6 offset1:7
	ds_read2_b32 v[176:177], v173 offset1:1
	s_waitcnt lgkmcnt(3)
	v_ashrrev_i32_e32 v180, s18, v180
	v_lshlrev_b32_e32 v180, 2, v180
	v_and_b32_e32 v180, 0x4040404, v180
	s_waitcnt lgkmcnt(1)
	v_ashrrev_i32_e32 v119, s21, v174
	s_waitcnt lgkmcnt(0)
	v_ashrrev_i32_e32 v173, s18, v176
	v_lshlrev_b32_e32 v173, 2, v173
	v_and_b32_e32 v170, 0x3030303, v119
	v_bfe_u32 v119, v119, 24, 2
	v_and_b32_e32 v173, 0x4040404, v173
	v_sub_u16_e32 v174, v170, v173
	v_sub_u16_sdwa v176, v170, v173 dst_sel:BYTE_1 dst_unused:UNUSED_PAD src0_sel:BYTE_1 src1_sel:BYTE_1
	v_sub_u16_sdwa v119, v119, v173 dst_sel:BYTE_1 dst_unused:UNUSED_PAD src0_sel:DWORD src1_sel:BYTE_3
	v_sub_u16_sdwa v170, v170, v173 dst_sel:DWORD dst_unused:UNUSED_PAD src0_sel:WORD_1 src1_sel:WORD_1
	v_or_b32_sdwa v174, v174, v176 dst_sel:DWORD dst_unused:UNUSED_PAD src0_sel:BYTE_0 src1_sel:DWORD
	v_or_b32_sdwa v119, v170, v119 dst_sel:WORD_1 dst_unused:UNUSED_PAD src0_sel:BYTE_0 src1_sel:DWORD
	v_or_b32_sdwa v173, v174, v119 dst_sel:DWORD dst_unused:UNUSED_PAD src0_sel:WORD_0 src1_sel:DWORD
	v_ashrrev_i32_e32 v174, s18, v177
	v_ashrrev_i32_e32 v119, s21, v175
	v_lshlrev_b32_e32 v174, 2, v174
	v_and_b32_e32 v170, 0x3030303, v119
	v_bfe_u32 v119, v119, 24, 2
	v_and_b32_e32 v174, 0x4040404, v174
	v_sub_u16_e32 v175, v170, v174
	v_sub_u16_sdwa v176, v170, v174 dst_sel:BYTE_1 dst_unused:UNUSED_PAD src0_sel:BYTE_1 src1_sel:BYTE_1
	v_sub_u16_sdwa v119, v119, v174 dst_sel:BYTE_1 dst_unused:UNUSED_PAD src0_sel:DWORD src1_sel:BYTE_3
	v_sub_u16_sdwa v170, v170, v174 dst_sel:DWORD dst_unused:UNUSED_PAD src0_sel:WORD_1 src1_sel:WORD_1
	v_or_b32_sdwa v175, v175, v176 dst_sel:DWORD dst_unused:UNUSED_PAD src0_sel:BYTE_0 src1_sel:DWORD
	v_or_b32_sdwa v119, v170, v119 dst_sel:WORD_1 dst_unused:UNUSED_PAD src0_sel:BYTE_0 src1_sel:DWORD
	v_or_b32_sdwa v174, v175, v119 dst_sel:DWORD dst_unused:UNUSED_PAD src0_sel:WORD_0 src1_sel:DWORD
	v_add3_u32 v119, v140, s20, v118
	v_add_u32_e32 v170, s24, v127
	ds_read_b32 v170, v170
	ds_read_u16 v119, v119 offset:33522
	v_mov_b32_e32 v176, 0
	v_dot4c_i32_i8_e32 v176, v166, v4
	v_dot4c_i32_i8_e32 v176, v167, v5
	v_dot4c_i32_i8_e32 v176, v168, v6
	s_waitcnt lgkmcnt(0)
	v_lshrrev_b16_e32 v177, 8, v119
	v_bfe_i32 v175, v119, 0, 8
	v_mov_b32_e32 v119, 0
	v_dot4c_i32_i8_e32 v119, v171, v0
	v_dot4c_i32_i8_e32 v119, v172, v1
	;; [unrolled: 1-line block ×5, first 2 shown]
	v_bfe_i32 v177, v177, 0, 8
	v_mul_lo_u32 v176, v176, v175
	v_ashrrev_i32_e32 v202, s18, v202
	v_mad_u64_u32 v[178:179], s[26:27], v119, v177, v[176:177]
	v_cvt_f32_i32_e32 v176, v178
	v_mul_f32_e32 v119, v116, v170
	v_lshlrev_b32_e32 v202, 2, v202
	v_and_b32_e32 v202, 0x4040404, v202
	v_fmac_f32_e32 v93, v119, v176
	v_add_u32_e32 v119, s23, v129
	ds_read2_b32 v[178:179], v119 offset1:1
	s_waitcnt lgkmcnt(0)
	v_ashrrev_i32_e32 v176, s21, v178
	v_and_b32_e32 v178, 0x3030303, v176
	v_bfe_u32 v176, v176, 24, 2
	v_sub_u16_e32 v182, v178, v180
	v_sub_u16_sdwa v183, v178, v180 dst_sel:BYTE_1 dst_unused:UNUSED_PAD src0_sel:BYTE_1 src1_sel:BYTE_1
	v_sub_u16_sdwa v176, v176, v180 dst_sel:BYTE_1 dst_unused:UNUSED_PAD src0_sel:DWORD src1_sel:BYTE_3
	v_sub_u16_sdwa v178, v178, v180 dst_sel:DWORD dst_unused:UNUSED_PAD src0_sel:WORD_1 src1_sel:WORD_1
	v_ashrrev_i32_e32 v180, s18, v181
	v_or_b32_sdwa v176, v178, v176 dst_sel:WORD_1 dst_unused:UNUSED_PAD src0_sel:BYTE_0 src1_sel:DWORD
	v_ashrrev_i32_e32 v178, s21, v179
	v_lshlrev_b32_e32 v180, 2, v180
	v_or_b32_sdwa v182, v182, v183 dst_sel:DWORD dst_unused:UNUSED_PAD src0_sel:BYTE_0 src1_sel:DWORD
	v_and_b32_e32 v179, 0x3030303, v178
	v_bfe_u32 v178, v178, 24, 2
	v_and_b32_e32 v180, 0x4040404, v180
	v_or_b32_sdwa v176, v182, v176 dst_sel:DWORD dst_unused:UNUSED_PAD src0_sel:WORD_0 src1_sel:DWORD
	v_sub_u16_e32 v181, v179, v180
	v_sub_u16_sdwa v182, v179, v180 dst_sel:BYTE_1 dst_unused:UNUSED_PAD src0_sel:BYTE_1 src1_sel:BYTE_1
	v_sub_u16_sdwa v178, v178, v180 dst_sel:BYTE_1 dst_unused:UNUSED_PAD src0_sel:DWORD src1_sel:BYTE_3
	v_sub_u16_sdwa v179, v179, v180 dst_sel:DWORD dst_unused:UNUSED_PAD src0_sel:WORD_1 src1_sel:WORD_1
	v_or_b32_sdwa v181, v181, v182 dst_sel:DWORD dst_unused:UNUSED_PAD src0_sel:BYTE_0 src1_sel:DWORD
	v_or_b32_sdwa v178, v179, v178 dst_sel:WORD_1 dst_unused:UNUSED_PAD src0_sel:BYTE_0 src1_sel:DWORD
	v_add_u32_e32 v182, 0x4208, v186
	v_or_b32_sdwa v178, v181, v178 dst_sel:DWORD dst_unused:UNUSED_PAD src0_sel:WORD_0 src1_sel:DWORD
	ds_read2_b32 v[180:181], v119 offset0:2 offset1:3
	ds_read2_b32 v[182:183], v182 offset1:1
	s_waitcnt lgkmcnt(1)
	v_ashrrev_i32_e32 v179, s21, v180
	s_waitcnt lgkmcnt(0)
	v_ashrrev_i32_e32 v182, s18, v182
	v_lshlrev_b32_e32 v182, 2, v182
	v_and_b32_e32 v180, 0x3030303, v179
	v_bfe_u32 v179, v179, 24, 2
	v_and_b32_e32 v182, 0x4040404, v182
	v_sub_u16_e32 v184, v180, v182
	v_sub_u16_sdwa v185, v180, v182 dst_sel:BYTE_1 dst_unused:UNUSED_PAD src0_sel:BYTE_1 src1_sel:BYTE_1
	v_sub_u16_sdwa v179, v179, v182 dst_sel:BYTE_1 dst_unused:UNUSED_PAD src0_sel:DWORD src1_sel:BYTE_3
	v_sub_u16_sdwa v180, v180, v182 dst_sel:DWORD dst_unused:UNUSED_PAD src0_sel:WORD_1 src1_sel:WORD_1
	v_ashrrev_i32_e32 v182, s18, v183
	v_or_b32_sdwa v179, v180, v179 dst_sel:WORD_1 dst_unused:UNUSED_PAD src0_sel:BYTE_0 src1_sel:DWORD
	v_ashrrev_i32_e32 v180, s21, v181
	v_lshlrev_b32_e32 v182, 2, v182
	v_or_b32_sdwa v184, v184, v185 dst_sel:DWORD dst_unused:UNUSED_PAD src0_sel:BYTE_0 src1_sel:DWORD
	v_and_b32_e32 v181, 0x3030303, v180
	v_bfe_u32 v180, v180, 24, 2
	v_and_b32_e32 v182, 0x4040404, v182
	v_or_b32_sdwa v179, v184, v179 dst_sel:DWORD dst_unused:UNUSED_PAD src0_sel:WORD_0 src1_sel:DWORD
	v_sub_u16_e32 v183, v181, v182
	v_sub_u16_sdwa v184, v181, v182 dst_sel:BYTE_1 dst_unused:UNUSED_PAD src0_sel:BYTE_1 src1_sel:BYTE_1
	v_sub_u16_sdwa v180, v180, v182 dst_sel:BYTE_1 dst_unused:UNUSED_PAD src0_sel:DWORD src1_sel:BYTE_3
	v_sub_u16_sdwa v181, v181, v182 dst_sel:DWORD dst_unused:UNUSED_PAD src0_sel:WORD_1 src1_sel:WORD_1
	v_or_b32_sdwa v183, v183, v184 dst_sel:DWORD dst_unused:UNUSED_PAD src0_sel:BYTE_0 src1_sel:DWORD
	v_or_b32_sdwa v180, v181, v180 dst_sel:WORD_1 dst_unused:UNUSED_PAD src0_sel:BYTE_0 src1_sel:DWORD
	v_add_u32_e32 v184, 0x4210, v186
	v_or_b32_sdwa v180, v183, v180 dst_sel:DWORD dst_unused:UNUSED_PAD src0_sel:WORD_0 src1_sel:DWORD
	ds_read2_b32 v[182:183], v119 offset0:4 offset1:5
	ds_read2_b32 v[184:185], v184 offset1:1
	s_waitcnt lgkmcnt(1)
	v_ashrrev_i32_e32 v181, s21, v182
	s_waitcnt lgkmcnt(0)
	v_ashrrev_i32_e32 v184, s18, v184
	v_lshlrev_b32_e32 v184, 2, v184
	v_and_b32_e32 v182, 0x3030303, v181
	v_bfe_u32 v181, v181, 24, 2
	v_and_b32_e32 v184, 0x4040404, v184
	v_sub_u16_e32 v187, v182, v184
	v_sub_u16_sdwa v188, v182, v184 dst_sel:BYTE_1 dst_unused:UNUSED_PAD src0_sel:BYTE_1 src1_sel:BYTE_1
	v_sub_u16_sdwa v181, v181, v184 dst_sel:BYTE_1 dst_unused:UNUSED_PAD src0_sel:DWORD src1_sel:BYTE_3
	v_sub_u16_sdwa v182, v182, v184 dst_sel:DWORD dst_unused:UNUSED_PAD src0_sel:WORD_1 src1_sel:WORD_1
	v_ashrrev_i32_e32 v184, s18, v185
	v_or_b32_sdwa v181, v182, v181 dst_sel:WORD_1 dst_unused:UNUSED_PAD src0_sel:BYTE_0 src1_sel:DWORD
	v_ashrrev_i32_e32 v182, s21, v183
	v_lshlrev_b32_e32 v184, 2, v184
	v_or_b32_sdwa v187, v187, v188 dst_sel:DWORD dst_unused:UNUSED_PAD src0_sel:BYTE_0 src1_sel:DWORD
	v_and_b32_e32 v183, 0x3030303, v182
	v_bfe_u32 v182, v182, 24, 2
	v_and_b32_e32 v184, 0x4040404, v184
	v_or_b32_sdwa v181, v187, v181 dst_sel:DWORD dst_unused:UNUSED_PAD src0_sel:WORD_0 src1_sel:DWORD
	v_sub_u16_e32 v185, v183, v184
	v_sub_u16_sdwa v187, v183, v184 dst_sel:BYTE_1 dst_unused:UNUSED_PAD src0_sel:BYTE_1 src1_sel:BYTE_1
	v_sub_u16_sdwa v182, v182, v184 dst_sel:BYTE_1 dst_unused:UNUSED_PAD src0_sel:DWORD src1_sel:BYTE_3
	v_sub_u16_sdwa v183, v183, v184 dst_sel:DWORD dst_unused:UNUSED_PAD src0_sel:WORD_1 src1_sel:WORD_1
	v_or_b32_sdwa v185, v185, v187 dst_sel:DWORD dst_unused:UNUSED_PAD src0_sel:BYTE_0 src1_sel:DWORD
	v_or_b32_sdwa v182, v183, v182 dst_sel:WORD_1 dst_unused:UNUSED_PAD src0_sel:BYTE_0 src1_sel:DWORD
	v_or_b32_sdwa v183, v185, v182 dst_sel:DWORD dst_unused:UNUSED_PAD src0_sel:WORD_0 src1_sel:DWORD
	ds_read2_b32 v[184:185], v119 offset0:6 offset1:7
	s_waitcnt lgkmcnt(0)
	v_ashrrev_i32_e32 v119, s21, v184
	v_add_u32_e32 v184, 0x4218, v186
	ds_read2_b32 v[186:187], v184 offset1:1
	v_and_b32_e32 v182, 0x3030303, v119
	v_bfe_u32 v119, v119, 24, 2
	s_waitcnt lgkmcnt(0)
	v_ashrrev_i32_e32 v184, s18, v186
	v_lshlrev_b32_e32 v184, 2, v184
	v_and_b32_e32 v184, 0x4040404, v184
	v_sub_u16_e32 v186, v182, v184
	v_sub_u16_sdwa v188, v182, v184 dst_sel:BYTE_1 dst_unused:UNUSED_PAD src0_sel:BYTE_1 src1_sel:BYTE_1
	v_sub_u16_sdwa v119, v119, v184 dst_sel:BYTE_1 dst_unused:UNUSED_PAD src0_sel:DWORD src1_sel:BYTE_3
	v_sub_u16_sdwa v182, v182, v184 dst_sel:DWORD dst_unused:UNUSED_PAD src0_sel:WORD_1 src1_sel:WORD_1
	v_or_b32_sdwa v186, v186, v188 dst_sel:DWORD dst_unused:UNUSED_PAD src0_sel:BYTE_0 src1_sel:DWORD
	v_or_b32_sdwa v119, v182, v119 dst_sel:WORD_1 dst_unused:UNUSED_PAD src0_sel:BYTE_0 src1_sel:DWORD
	v_or_b32_sdwa v184, v186, v119 dst_sel:DWORD dst_unused:UNUSED_PAD src0_sel:WORD_0 src1_sel:DWORD
	v_ashrrev_i32_e32 v119, s21, v185
	v_ashrrev_i32_e32 v185, s18, v187
	v_lshlrev_b32_e32 v185, 2, v185
	v_and_b32_e32 v182, 0x3030303, v119
	v_bfe_u32 v119, v119, 24, 2
	v_and_b32_e32 v185, 0x4040404, v185
	v_sub_u16_e32 v186, v182, v185
	v_sub_u16_sdwa v187, v182, v185 dst_sel:BYTE_1 dst_unused:UNUSED_PAD src0_sel:BYTE_1 src1_sel:BYTE_1
	v_sub_u16_sdwa v119, v119, v185 dst_sel:BYTE_1 dst_unused:UNUSED_PAD src0_sel:DWORD src1_sel:BYTE_3
	v_sub_u16_sdwa v182, v182, v185 dst_sel:DWORD dst_unused:UNUSED_PAD src0_sel:WORD_1 src1_sel:WORD_1
	v_or_b32_sdwa v186, v186, v187 dst_sel:DWORD dst_unused:UNUSED_PAD src0_sel:BYTE_0 src1_sel:DWORD
	v_or_b32_sdwa v119, v182, v119 dst_sel:WORD_1 dst_unused:UNUSED_PAD src0_sel:BYTE_0 src1_sel:DWORD
	v_or_b32_sdwa v185, v186, v119 dst_sel:DWORD dst_unused:UNUSED_PAD src0_sel:WORD_0 src1_sel:DWORD
	v_add3_u32 v119, v142, s20, v118
	v_add_u32_e32 v182, s24, v130
	ds_read_b32 v182, v182
	ds_read_u16 v119, v119 offset:34546
	v_mov_b32_e32 v187, 0
	v_dot4c_i32_i8_e32 v187, v176, v4
	v_dot4c_i32_i8_e32 v187, v178, v5
	;; [unrolled: 1-line block ×3, first 2 shown]
	s_waitcnt lgkmcnt(0)
	v_lshrrev_b16_e32 v188, 8, v119
	v_bfe_i32 v186, v119, 0, 8
	v_mov_b32_e32 v119, 0
	v_dot4c_i32_i8_e32 v119, v181, v0
	v_dot4c_i32_i8_e32 v119, v183, v1
	;; [unrolled: 1-line block ×5, first 2 shown]
	v_bfe_i32 v188, v188, 0, 8
	v_mul_lo_u32 v190, v187, v186
	s_nop 0
	v_mad_u64_u32 v[190:191], s[26:27], v119, v188, v[190:191]
	v_cvt_f32_i32_e32 v187, v190
	v_mul_f32_e32 v119, v116, v182
	v_fmac_f32_e32 v83, v119, v187
	v_add_u32_e32 v119, s23, v132
	ds_read2_b32 v[190:191], v119 offset1:1
	s_waitcnt lgkmcnt(0)
	v_ashrrev_i32_e32 v187, s21, v190
	v_add_u32_e32 v190, 0x4200, v198
	ds_read2_b32 v[192:193], v190 offset1:1
	v_and_b32_e32 v189, 0x3030303, v187
	v_bfe_u32 v187, v187, 24, 2
	s_waitcnt lgkmcnt(0)
	v_ashrrev_i32_e32 v190, s18, v192
	v_lshlrev_b32_e32 v190, 2, v190
	v_and_b32_e32 v190, 0x4040404, v190
	v_sub_u16_e32 v192, v189, v190
	v_sub_u16_sdwa v194, v189, v190 dst_sel:BYTE_1 dst_unused:UNUSED_PAD src0_sel:BYTE_1 src1_sel:BYTE_1
	v_sub_u16_sdwa v187, v187, v190 dst_sel:BYTE_1 dst_unused:UNUSED_PAD src0_sel:DWORD src1_sel:BYTE_3
	v_sub_u16_sdwa v189, v189, v190 dst_sel:DWORD dst_unused:UNUSED_PAD src0_sel:WORD_1 src1_sel:WORD_1
	v_or_b32_sdwa v187, v189, v187 dst_sel:WORD_1 dst_unused:UNUSED_PAD src0_sel:BYTE_0 src1_sel:DWORD
	v_ashrrev_i32_e32 v189, s21, v191
	v_ashrrev_i32_e32 v191, s18, v193
	v_lshlrev_b32_e32 v191, 2, v191
	v_or_b32_sdwa v192, v192, v194 dst_sel:DWORD dst_unused:UNUSED_PAD src0_sel:BYTE_0 src1_sel:DWORD
	v_and_b32_e32 v190, 0x3030303, v189
	v_bfe_u32 v189, v189, 24, 2
	v_and_b32_e32 v191, 0x4040404, v191
	v_or_b32_sdwa v187, v192, v187 dst_sel:DWORD dst_unused:UNUSED_PAD src0_sel:WORD_0 src1_sel:DWORD
	v_sub_u16_e32 v192, v190, v191
	v_sub_u16_sdwa v193, v190, v191 dst_sel:BYTE_1 dst_unused:UNUSED_PAD src0_sel:BYTE_1 src1_sel:BYTE_1
	v_sub_u16_sdwa v189, v189, v191 dst_sel:BYTE_1 dst_unused:UNUSED_PAD src0_sel:DWORD src1_sel:BYTE_3
	v_sub_u16_sdwa v190, v190, v191 dst_sel:DWORD dst_unused:UNUSED_PAD src0_sel:WORD_1 src1_sel:WORD_1
	v_or_b32_sdwa v192, v192, v193 dst_sel:DWORD dst_unused:UNUSED_PAD src0_sel:BYTE_0 src1_sel:DWORD
	v_or_b32_sdwa v189, v190, v189 dst_sel:WORD_1 dst_unused:UNUSED_PAD src0_sel:BYTE_0 src1_sel:DWORD
	v_or_b32_sdwa v189, v192, v189 dst_sel:DWORD dst_unused:UNUSED_PAD src0_sel:WORD_0 src1_sel:DWORD
	v_add_u32_e32 v192, 0x4208, v198
	ds_read2_b32 v[190:191], v119 offset0:2 offset1:3
	ds_read2_b32 v[192:193], v192 offset1:1
	s_waitcnt lgkmcnt(1)
	v_ashrrev_i32_e32 v190, s21, v190
	s_waitcnt lgkmcnt(0)
	v_ashrrev_i32_e32 v192, s18, v192
	v_lshlrev_b32_e32 v192, 2, v192
	v_and_b32_e32 v194, 0x3030303, v190
	v_bfe_u32 v190, v190, 24, 2
	v_and_b32_e32 v192, 0x4040404, v192
	v_ashrrev_i32_e32 v193, s18, v193
	v_sub_u16_e32 v195, v194, v192
	v_sub_u16_sdwa v196, v194, v192 dst_sel:BYTE_1 dst_unused:UNUSED_PAD src0_sel:BYTE_1 src1_sel:BYTE_1
	v_sub_u16_sdwa v190, v190, v192 dst_sel:BYTE_1 dst_unused:UNUSED_PAD src0_sel:DWORD src1_sel:BYTE_3
	v_sub_u16_sdwa v192, v194, v192 dst_sel:DWORD dst_unused:UNUSED_PAD src0_sel:WORD_1 src1_sel:WORD_1
	v_ashrrev_i32_e32 v191, s21, v191
	v_lshlrev_b32_e32 v193, 2, v193
	v_or_b32_sdwa v195, v195, v196 dst_sel:DWORD dst_unused:UNUSED_PAD src0_sel:BYTE_0 src1_sel:DWORD
	v_or_b32_sdwa v190, v192, v190 dst_sel:WORD_1 dst_unused:UNUSED_PAD src0_sel:BYTE_0 src1_sel:DWORD
	v_and_b32_e32 v192, 0x3030303, v191
	v_bfe_u32 v191, v191, 24, 2
	v_and_b32_e32 v193, 0x4040404, v193
	v_or_b32_sdwa v190, v195, v190 dst_sel:DWORD dst_unused:UNUSED_PAD src0_sel:WORD_0 src1_sel:DWORD
	v_sub_u16_e32 v194, v192, v193
	v_sub_u16_sdwa v195, v192, v193 dst_sel:BYTE_1 dst_unused:UNUSED_PAD src0_sel:BYTE_1 src1_sel:BYTE_1
	v_sub_u16_sdwa v191, v191, v193 dst_sel:BYTE_1 dst_unused:UNUSED_PAD src0_sel:DWORD src1_sel:BYTE_3
	v_sub_u16_sdwa v192, v192, v193 dst_sel:DWORD dst_unused:UNUSED_PAD src0_sel:WORD_1 src1_sel:WORD_1
	v_or_b32_sdwa v194, v194, v195 dst_sel:DWORD dst_unused:UNUSED_PAD src0_sel:BYTE_0 src1_sel:DWORD
	v_or_b32_sdwa v191, v192, v191 dst_sel:WORD_1 dst_unused:UNUSED_PAD src0_sel:BYTE_0 src1_sel:DWORD
	v_or_b32_sdwa v191, v194, v191 dst_sel:DWORD dst_unused:UNUSED_PAD src0_sel:WORD_0 src1_sel:DWORD
	v_add_u32_e32 v194, 0x4210, v198
	ds_read2_b32 v[192:193], v119 offset0:4 offset1:5
	ds_read2_b32 v[194:195], v194 offset1:1
	s_waitcnt lgkmcnt(1)
	v_ashrrev_i32_e32 v192, s21, v192
	s_waitcnt lgkmcnt(0)
	v_ashrrev_i32_e32 v194, s18, v194
	v_lshlrev_b32_e32 v194, 2, v194
	v_and_b32_e32 v196, 0x3030303, v192
	v_bfe_u32 v192, v192, 24, 2
	v_and_b32_e32 v194, 0x4040404, v194
	v_ashrrev_i32_e32 v195, s18, v195
	v_sub_u16_e32 v197, v196, v194
	v_sub_u16_sdwa v199, v196, v194 dst_sel:BYTE_1 dst_unused:UNUSED_PAD src0_sel:BYTE_1 src1_sel:BYTE_1
	v_sub_u16_sdwa v192, v192, v194 dst_sel:BYTE_1 dst_unused:UNUSED_PAD src0_sel:DWORD src1_sel:BYTE_3
	v_sub_u16_sdwa v194, v196, v194 dst_sel:DWORD dst_unused:UNUSED_PAD src0_sel:WORD_1 src1_sel:WORD_1
	v_ashrrev_i32_e32 v193, s21, v193
	v_lshlrev_b32_e32 v195, 2, v195
	v_or_b32_sdwa v197, v197, v199 dst_sel:DWORD dst_unused:UNUSED_PAD src0_sel:BYTE_0 src1_sel:DWORD
	v_or_b32_sdwa v192, v194, v192 dst_sel:WORD_1 dst_unused:UNUSED_PAD src0_sel:BYTE_0 src1_sel:DWORD
	v_and_b32_e32 v194, 0x3030303, v193
	v_bfe_u32 v193, v193, 24, 2
	v_and_b32_e32 v195, 0x4040404, v195
	v_or_b32_sdwa v192, v197, v192 dst_sel:DWORD dst_unused:UNUSED_PAD src0_sel:WORD_0 src1_sel:DWORD
	v_sub_u16_e32 v196, v194, v195
	v_sub_u16_sdwa v197, v194, v195 dst_sel:BYTE_1 dst_unused:UNUSED_PAD src0_sel:BYTE_1 src1_sel:BYTE_1
	v_sub_u16_sdwa v193, v193, v195 dst_sel:BYTE_1 dst_unused:UNUSED_PAD src0_sel:DWORD src1_sel:BYTE_3
	v_sub_u16_sdwa v194, v194, v195 dst_sel:DWORD dst_unused:UNUSED_PAD src0_sel:WORD_1 src1_sel:WORD_1
	v_or_b32_sdwa v196, v196, v197 dst_sel:DWORD dst_unused:UNUSED_PAD src0_sel:BYTE_0 src1_sel:DWORD
	v_or_b32_sdwa v193, v194, v193 dst_sel:WORD_1 dst_unused:UNUSED_PAD src0_sel:BYTE_0 src1_sel:DWORD
	v_add_u32_e32 v195, 0x4218, v198
	v_or_b32_sdwa v194, v196, v193 dst_sel:DWORD dst_unused:UNUSED_PAD src0_sel:WORD_0 src1_sel:DWORD
	ds_read2_b32 v[196:197], v119 offset0:6 offset1:7
	ds_read2_b32 v[198:199], v195 offset1:1
	s_waitcnt lgkmcnt(1)
	v_ashrrev_i32_e32 v119, s21, v196
	s_waitcnt lgkmcnt(0)
	v_ashrrev_i32_e32 v195, s18, v198
	v_lshlrev_b32_e32 v195, 2, v195
	v_and_b32_e32 v193, 0x3030303, v119
	v_bfe_u32 v119, v119, 24, 2
	v_and_b32_e32 v195, 0x4040404, v195
	v_sub_u16_e32 v196, v193, v195
	v_sub_u16_sdwa v198, v193, v195 dst_sel:BYTE_1 dst_unused:UNUSED_PAD src0_sel:BYTE_1 src1_sel:BYTE_1
	v_sub_u16_sdwa v119, v119, v195 dst_sel:BYTE_1 dst_unused:UNUSED_PAD src0_sel:DWORD src1_sel:BYTE_3
	v_sub_u16_sdwa v193, v193, v195 dst_sel:DWORD dst_unused:UNUSED_PAD src0_sel:WORD_1 src1_sel:WORD_1
	v_or_b32_sdwa v196, v196, v198 dst_sel:DWORD dst_unused:UNUSED_PAD src0_sel:BYTE_0 src1_sel:DWORD
	v_or_b32_sdwa v119, v193, v119 dst_sel:WORD_1 dst_unused:UNUSED_PAD src0_sel:BYTE_0 src1_sel:DWORD
	v_or_b32_sdwa v195, v196, v119 dst_sel:DWORD dst_unused:UNUSED_PAD src0_sel:WORD_0 src1_sel:DWORD
	v_ashrrev_i32_e32 v196, s18, v199
	v_ashrrev_i32_e32 v119, s21, v197
	v_lshlrev_b32_e32 v196, 2, v196
	v_and_b32_e32 v193, 0x3030303, v119
	v_bfe_u32 v119, v119, 24, 2
	v_and_b32_e32 v196, 0x4040404, v196
	v_sub_u16_e32 v197, v193, v196
	v_sub_u16_sdwa v198, v193, v196 dst_sel:BYTE_1 dst_unused:UNUSED_PAD src0_sel:BYTE_1 src1_sel:BYTE_1
	v_sub_u16_sdwa v119, v119, v196 dst_sel:BYTE_1 dst_unused:UNUSED_PAD src0_sel:DWORD src1_sel:BYTE_3
	v_sub_u16_sdwa v193, v193, v196 dst_sel:DWORD dst_unused:UNUSED_PAD src0_sel:WORD_1 src1_sel:WORD_1
	v_or_b32_sdwa v197, v197, v198 dst_sel:DWORD dst_unused:UNUSED_PAD src0_sel:BYTE_0 src1_sel:DWORD
	v_or_b32_sdwa v119, v193, v119 dst_sel:WORD_1 dst_unused:UNUSED_PAD src0_sel:BYTE_0 src1_sel:DWORD
	v_or_b32_sdwa v196, v197, v119 dst_sel:DWORD dst_unused:UNUSED_PAD src0_sel:WORD_0 src1_sel:DWORD
	v_add3_u32 v119, v144, s20, v118
	v_add_u32_e32 v193, s24, v133
	ds_read_b32 v193, v193
	ds_read_u16 v119, v119 offset:35570
	v_mov_b32_e32 v198, 0
	v_dot4c_i32_i8_e32 v198, v187, v4
	v_dot4c_i32_i8_e32 v198, v189, v5
	v_dot4c_i32_i8_e32 v198, v190, v6
	s_waitcnt lgkmcnt(0)
	v_lshrrev_b16_e32 v199, 8, v119
	v_bfe_i32 v197, v119, 0, 8
	v_mov_b32_e32 v119, 0
	v_dot4c_i32_i8_e32 v119, v192, v0
	v_dot4c_i32_i8_e32 v119, v194, v1
	;; [unrolled: 1-line block ×5, first 2 shown]
	v_bfe_i32 v199, v199, 0, 8
	v_mul_lo_u32 v198, v198, v197
	v_add3_u32 v118, v146, s20, v118
	v_mad_u64_u32 v[200:201], s[26:27], v119, v199, v[198:199]
	v_cvt_f32_i32_e32 v198, v200
	v_mul_f32_e32 v119, v116, v193
	v_fmac_f32_e32 v81, v119, v198
	v_add_u32_e32 v119, s23, v135
	ds_read2_b32 v[200:201], v119 offset1:1
	s_waitcnt lgkmcnt(0)
	v_ashrrev_i32_e32 v198, s21, v200
	v_and_b32_e32 v200, 0x3030303, v198
	v_bfe_u32 v198, v198, 24, 2
	v_sub_u16_e32 v204, v200, v202
	v_sub_u16_sdwa v205, v200, v202 dst_sel:BYTE_1 dst_unused:UNUSED_PAD src0_sel:BYTE_1 src1_sel:BYTE_1
	v_sub_u16_sdwa v198, v198, v202 dst_sel:BYTE_1 dst_unused:UNUSED_PAD src0_sel:DWORD src1_sel:BYTE_3
	v_sub_u16_sdwa v200, v200, v202 dst_sel:DWORD dst_unused:UNUSED_PAD src0_sel:WORD_1 src1_sel:WORD_1
	v_ashrrev_i32_e32 v202, s18, v203
	v_or_b32_sdwa v198, v200, v198 dst_sel:WORD_1 dst_unused:UNUSED_PAD src0_sel:BYTE_0 src1_sel:DWORD
	v_ashrrev_i32_e32 v200, s21, v201
	v_lshlrev_b32_e32 v202, 2, v202
	v_or_b32_sdwa v204, v204, v205 dst_sel:DWORD dst_unused:UNUSED_PAD src0_sel:BYTE_0 src1_sel:DWORD
	v_and_b32_e32 v201, 0x3030303, v200
	v_bfe_u32 v200, v200, 24, 2
	v_and_b32_e32 v202, 0x4040404, v202
	v_or_b32_sdwa v198, v204, v198 dst_sel:DWORD dst_unused:UNUSED_PAD src0_sel:WORD_0 src1_sel:DWORD
	v_sub_u16_e32 v203, v201, v202
	v_sub_u16_sdwa v204, v201, v202 dst_sel:BYTE_1 dst_unused:UNUSED_PAD src0_sel:BYTE_1 src1_sel:BYTE_1
	v_sub_u16_sdwa v200, v200, v202 dst_sel:BYTE_1 dst_unused:UNUSED_PAD src0_sel:DWORD src1_sel:BYTE_3
	v_sub_u16_sdwa v201, v201, v202 dst_sel:DWORD dst_unused:UNUSED_PAD src0_sel:WORD_1 src1_sel:WORD_1
	v_or_b32_sdwa v203, v203, v204 dst_sel:DWORD dst_unused:UNUSED_PAD src0_sel:BYTE_0 src1_sel:DWORD
	v_or_b32_sdwa v200, v201, v200 dst_sel:WORD_1 dst_unused:UNUSED_PAD src0_sel:BYTE_0 src1_sel:DWORD
	v_add_u32_e32 v204, 0x4208, v208
	v_or_b32_sdwa v200, v203, v200 dst_sel:DWORD dst_unused:UNUSED_PAD src0_sel:WORD_0 src1_sel:DWORD
	ds_read2_b32 v[202:203], v119 offset0:2 offset1:3
	ds_read2_b32 v[204:205], v204 offset1:1
	s_waitcnt lgkmcnt(1)
	v_ashrrev_i32_e32 v201, s21, v202
	s_waitcnt lgkmcnt(0)
	v_ashrrev_i32_e32 v204, s18, v204
	v_lshlrev_b32_e32 v204, 2, v204
	v_and_b32_e32 v202, 0x3030303, v201
	v_bfe_u32 v201, v201, 24, 2
	v_and_b32_e32 v204, 0x4040404, v204
	v_sub_u16_e32 v206, v202, v204
	v_sub_u16_sdwa v207, v202, v204 dst_sel:BYTE_1 dst_unused:UNUSED_PAD src0_sel:BYTE_1 src1_sel:BYTE_1
	v_sub_u16_sdwa v201, v201, v204 dst_sel:BYTE_1 dst_unused:UNUSED_PAD src0_sel:DWORD src1_sel:BYTE_3
	v_sub_u16_sdwa v202, v202, v204 dst_sel:DWORD dst_unused:UNUSED_PAD src0_sel:WORD_1 src1_sel:WORD_1
	v_ashrrev_i32_e32 v204, s18, v205
	v_or_b32_sdwa v201, v202, v201 dst_sel:WORD_1 dst_unused:UNUSED_PAD src0_sel:BYTE_0 src1_sel:DWORD
	v_ashrrev_i32_e32 v202, s21, v203
	v_lshlrev_b32_e32 v204, 2, v204
	v_or_b32_sdwa v206, v206, v207 dst_sel:DWORD dst_unused:UNUSED_PAD src0_sel:BYTE_0 src1_sel:DWORD
	v_and_b32_e32 v203, 0x3030303, v202
	v_bfe_u32 v202, v202, 24, 2
	v_and_b32_e32 v204, 0x4040404, v204
	v_or_b32_sdwa v201, v206, v201 dst_sel:DWORD dst_unused:UNUSED_PAD src0_sel:WORD_0 src1_sel:DWORD
	v_sub_u16_e32 v205, v203, v204
	v_sub_u16_sdwa v206, v203, v204 dst_sel:BYTE_1 dst_unused:UNUSED_PAD src0_sel:BYTE_1 src1_sel:BYTE_1
	v_sub_u16_sdwa v202, v202, v204 dst_sel:BYTE_1 dst_unused:UNUSED_PAD src0_sel:DWORD src1_sel:BYTE_3
	v_sub_u16_sdwa v203, v203, v204 dst_sel:DWORD dst_unused:UNUSED_PAD src0_sel:WORD_1 src1_sel:WORD_1
	v_or_b32_sdwa v205, v205, v206 dst_sel:DWORD dst_unused:UNUSED_PAD src0_sel:BYTE_0 src1_sel:DWORD
	v_or_b32_sdwa v202, v203, v202 dst_sel:WORD_1 dst_unused:UNUSED_PAD src0_sel:BYTE_0 src1_sel:DWORD
	v_add_u32_e32 v206, 0x4210, v208
	v_or_b32_sdwa v202, v205, v202 dst_sel:DWORD dst_unused:UNUSED_PAD src0_sel:WORD_0 src1_sel:DWORD
	ds_read2_b32 v[204:205], v119 offset0:4 offset1:5
	ds_read2_b32 v[206:207], v206 offset1:1
	s_waitcnt lgkmcnt(1)
	v_ashrrev_i32_e32 v203, s21, v204
	s_waitcnt lgkmcnt(0)
	v_ashrrev_i32_e32 v206, s18, v206
	v_lshlrev_b32_e32 v206, 2, v206
	v_and_b32_e32 v204, 0x3030303, v203
	v_bfe_u32 v203, v203, 24, 2
	v_and_b32_e32 v206, 0x4040404, v206
	v_sub_u16_e32 v209, v204, v206
	v_sub_u16_sdwa v210, v204, v206 dst_sel:BYTE_1 dst_unused:UNUSED_PAD src0_sel:BYTE_1 src1_sel:BYTE_1
	v_sub_u16_sdwa v203, v203, v206 dst_sel:BYTE_1 dst_unused:UNUSED_PAD src0_sel:DWORD src1_sel:BYTE_3
	v_sub_u16_sdwa v204, v204, v206 dst_sel:DWORD dst_unused:UNUSED_PAD src0_sel:WORD_1 src1_sel:WORD_1
	v_ashrrev_i32_e32 v206, s18, v207
	v_or_b32_sdwa v203, v204, v203 dst_sel:WORD_1 dst_unused:UNUSED_PAD src0_sel:BYTE_0 src1_sel:DWORD
	v_ashrrev_i32_e32 v204, s21, v205
	v_lshlrev_b32_e32 v206, 2, v206
	v_or_b32_sdwa v209, v209, v210 dst_sel:DWORD dst_unused:UNUSED_PAD src0_sel:BYTE_0 src1_sel:DWORD
	v_and_b32_e32 v205, 0x3030303, v204
	v_bfe_u32 v204, v204, 24, 2
	v_and_b32_e32 v206, 0x4040404, v206
	v_or_b32_sdwa v203, v209, v203 dst_sel:DWORD dst_unused:UNUSED_PAD src0_sel:WORD_0 src1_sel:DWORD
	v_sub_u16_e32 v207, v205, v206
	v_sub_u16_sdwa v209, v205, v206 dst_sel:BYTE_1 dst_unused:UNUSED_PAD src0_sel:BYTE_1 src1_sel:BYTE_1
	v_sub_u16_sdwa v204, v204, v206 dst_sel:BYTE_1 dst_unused:UNUSED_PAD src0_sel:DWORD src1_sel:BYTE_3
	v_sub_u16_sdwa v205, v205, v206 dst_sel:DWORD dst_unused:UNUSED_PAD src0_sel:WORD_1 src1_sel:WORD_1
	v_or_b32_sdwa v207, v207, v209 dst_sel:DWORD dst_unused:UNUSED_PAD src0_sel:BYTE_0 src1_sel:DWORD
	v_or_b32_sdwa v204, v205, v204 dst_sel:WORD_1 dst_unused:UNUSED_PAD src0_sel:BYTE_0 src1_sel:DWORD
	v_or_b32_sdwa v205, v207, v204 dst_sel:DWORD dst_unused:UNUSED_PAD src0_sel:WORD_0 src1_sel:DWORD
	ds_read2_b32 v[206:207], v119 offset0:6 offset1:7
	s_waitcnt lgkmcnt(0)
	v_ashrrev_i32_e32 v119, s21, v206
	v_add_u32_e32 v206, 0x4218, v208
	ds_read2_b32 v[208:209], v206 offset1:1
	v_and_b32_e32 v204, 0x3030303, v119
	v_bfe_u32 v119, v119, 24, 2
	s_waitcnt lgkmcnt(0)
	v_ashrrev_i32_e32 v206, s18, v208
	v_lshlrev_b32_e32 v206, 2, v206
	v_and_b32_e32 v206, 0x4040404, v206
	v_sub_u16_e32 v208, v204, v206
	v_sub_u16_sdwa v210, v204, v206 dst_sel:BYTE_1 dst_unused:UNUSED_PAD src0_sel:BYTE_1 src1_sel:BYTE_1
	v_sub_u16_sdwa v119, v119, v206 dst_sel:BYTE_1 dst_unused:UNUSED_PAD src0_sel:DWORD src1_sel:BYTE_3
	v_sub_u16_sdwa v204, v204, v206 dst_sel:DWORD dst_unused:UNUSED_PAD src0_sel:WORD_1 src1_sel:WORD_1
	v_or_b32_sdwa v208, v208, v210 dst_sel:DWORD dst_unused:UNUSED_PAD src0_sel:BYTE_0 src1_sel:DWORD
	v_or_b32_sdwa v119, v204, v119 dst_sel:WORD_1 dst_unused:UNUSED_PAD src0_sel:BYTE_0 src1_sel:DWORD
	v_or_b32_sdwa v206, v208, v119 dst_sel:DWORD dst_unused:UNUSED_PAD src0_sel:WORD_0 src1_sel:DWORD
	v_ashrrev_i32_e32 v119, s21, v207
	v_ashrrev_i32_e32 v207, s18, v209
	v_lshlrev_b32_e32 v207, 2, v207
	v_and_b32_e32 v204, 0x3030303, v119
	v_bfe_u32 v119, v119, 24, 2
	v_and_b32_e32 v207, 0x4040404, v207
	v_sub_u16_e32 v208, v204, v207
	v_sub_u16_sdwa v209, v204, v207 dst_sel:BYTE_1 dst_unused:UNUSED_PAD src0_sel:BYTE_1 src1_sel:BYTE_1
	v_sub_u16_sdwa v119, v119, v207 dst_sel:BYTE_1 dst_unused:UNUSED_PAD src0_sel:DWORD src1_sel:BYTE_3
	v_sub_u16_sdwa v204, v204, v207 dst_sel:DWORD dst_unused:UNUSED_PAD src0_sel:WORD_1 src1_sel:WORD_1
	v_or_b32_sdwa v208, v208, v209 dst_sel:DWORD dst_unused:UNUSED_PAD src0_sel:BYTE_0 src1_sel:DWORD
	v_or_b32_sdwa v119, v204, v119 dst_sel:WORD_1 dst_unused:UNUSED_PAD src0_sel:BYTE_0 src1_sel:DWORD
	v_or_b32_sdwa v207, v208, v119 dst_sel:DWORD dst_unused:UNUSED_PAD src0_sel:WORD_0 src1_sel:DWORD
	v_add_u32_e32 v119, s24, v136
	ds_read_b32 v204, v119
	v_mov_b32_e32 v119, 0
	v_dot4c_i32_i8_e32 v119, v198, v4
	ds_read_u16 v4, v118 offset:36594
	v_dot4c_i32_i8_e32 v119, v200, v5
	v_dot4c_i32_i8_e32 v119, v201, v6
	v_mov_b32_e32 v6, 0
	v_dot4c_i32_i8_e32 v6, v203, v0
	v_dot4c_i32_i8_e32 v6, v205, v1
	;; [unrolled: 1-line block ×3, first 2 shown]
	s_waitcnt lgkmcnt(0)
	v_lshrrev_b16_e32 v5, 8, v4
	v_bfe_i32 v208, v4, 0, 8
	v_dot4c_i32_i8_e32 v6, v206, v2
	v_mul_lo_u32 v4, v119, v208
	v_dot4c_i32_i8_e32 v6, v207, v3
	v_bfe_i32 v209, v5, 0, 8
	v_mov_b32_e32 v118, 0
	s_add_i32 s18, s18, 1
	v_mad_u64_u32 v[0:1], s[20:21], v6, v209, v[4:5]
	v_cvt_f32_i32_e32 v0, v0
	v_mul_f32_e32 v1, v116, v204
	v_mov_b32_e32 v116, 0
	s_cmp_lt_u32 s19, 30
	v_fmac_f32_e32 v79, v1, v0
	ds_read_b128 v[0:3], v164 offset:1024
	ds_read_b128 v[4:7], v164 offset:1040
	s_waitcnt lgkmcnt(1)
	v_dot4c_i32_i8_e32 v116, v166, v0
	v_dot4c_i32_i8_e32 v116, v167, v1
	s_waitcnt lgkmcnt(0)
	v_dot4c_i32_i8_e32 v118, v171, v4
	v_dot4c_i32_i8_e32 v116, v168, v2
	v_dot4c_i32_i8_e32 v118, v172, v5
	v_dot4c_i32_i8_e32 v116, v169, v3
	v_dot4c_i32_i8_e32 v118, v173, v6
	v_dot4c_i32_i8_e32 v118, v174, v7
	s_nop 0
	v_mul_lo_u32 v116, v116, v175
	s_nop 0
	v_mad_u64_u32 v[118:119], s[20:21], v118, v177, v[116:117]
	v_cvt_f32_i32_e32 v118, v118
	v_mul_f32_e32 v116, v170, v117
	v_fmac_f32_e32 v71, v116, v118
	v_mov_b32_e32 v116, 0
	v_dot4c_i32_i8_e32 v116, v176, v0
	v_mov_b32_e32 v118, 0
	v_dot4c_i32_i8_e32 v116, v178, v1
	v_dot4c_i32_i8_e32 v118, v181, v4
	;; [unrolled: 1-line block ×7, first 2 shown]
	s_nop 0
	v_mul_lo_u32 v116, v116, v186
	s_nop 0
	v_mad_u64_u32 v[118:119], s[20:21], v118, v188, v[116:117]
	v_cvt_f32_i32_e32 v118, v118
	v_mul_f32_e32 v116, v182, v117
	v_fmac_f32_e32 v69, v116, v118
	v_mov_b32_e32 v116, 0
	v_dot4c_i32_i8_e32 v116, v187, v0
	v_mov_b32_e32 v118, 0
	v_dot4c_i32_i8_e32 v116, v189, v1
	v_dot4c_i32_i8_e32 v118, v192, v4
	;; [unrolled: 1-line block ×7, first 2 shown]
	s_nop 0
	v_mul_lo_u32 v116, v116, v197
	s_nop 0
	v_mad_u64_u32 v[118:119], s[20:21], v118, v199, v[116:117]
	v_cvt_f32_i32_e32 v118, v118
	v_mul_f32_e32 v116, v193, v117
	v_mov_b32_e32 v119, 0
	v_fmac_f32_e32 v67, v116, v118
	v_mov_b32_e32 v116, 0
	v_dot4c_i32_i8_e32 v116, v198, v0
	v_dot4c_i32_i8_e32 v116, v200, v1
	v_mov_b32_e32 v1, 0
	v_dot4c_i32_i8_e32 v1, v203, v4
	v_dot4c_i32_i8_e32 v116, v201, v2
	;; [unrolled: 1-line block ×6, first 2 shown]
	v_mov_b32_e32 v118, 0
	v_mul_lo_u32 v0, v116, v208
	s_nop 0
	v_mad_u64_u32 v[0:1], s[20:21], v1, v209, v[0:1]
	v_cvt_f32_i32_e32 v0, v0
	v_mul_f32_e32 v1, v204, v117
	v_fmac_f32_e32 v65, v1, v0
	ds_read2_b32 v[116:117], v165 offset0:64 offset1:96
	ds_read_b128 v[0:3], v164 offset:2048
	ds_read_b128 v[4:7], v164 offset:2064
	s_waitcnt lgkmcnt(1)
	v_dot4c_i32_i8_e32 v118, v166, v0
	v_dot4c_i32_i8_e32 v118, v167, v1
	s_waitcnt lgkmcnt(0)
	v_dot4c_i32_i8_e32 v119, v171, v4
	v_dot4c_i32_i8_e32 v118, v168, v2
	;; [unrolled: 1-line block ×6, first 2 shown]
	s_nop 0
	v_mul_lo_u32 v118, v118, v175
	s_nop 0
	v_mad_u64_u32 v[118:119], s[20:21], v119, v177, v[118:119]
	v_cvt_f32_i32_e32 v118, v118
	v_mul_f32_e32 v119, v170, v116
	v_fmac_f32_e32 v61, v119, v118
	v_mov_b32_e32 v118, 0
	v_dot4c_i32_i8_e32 v118, v176, v0
	v_mov_b32_e32 v119, 0
	v_dot4c_i32_i8_e32 v118, v178, v1
	v_dot4c_i32_i8_e32 v119, v181, v4
	;; [unrolled: 1-line block ×7, first 2 shown]
	s_nop 0
	v_mul_lo_u32 v118, v118, v186
	s_nop 0
	v_mad_u64_u32 v[118:119], s[20:21], v119, v188, v[118:119]
	v_cvt_f32_i32_e32 v118, v118
	v_mul_f32_e32 v119, v182, v116
	v_fmac_f32_e32 v57, v119, v118
	v_mov_b32_e32 v118, 0
	v_dot4c_i32_i8_e32 v118, v187, v0
	v_mov_b32_e32 v119, 0
	v_dot4c_i32_i8_e32 v118, v189, v1
	v_dot4c_i32_i8_e32 v119, v192, v4
	;; [unrolled: 1-line block ×7, first 2 shown]
	s_nop 0
	v_mul_lo_u32 v118, v118, v197
	s_nop 0
	v_mad_u64_u32 v[118:119], s[20:21], v119, v199, v[118:119]
	v_cvt_f32_i32_e32 v118, v118
	v_mul_f32_e32 v119, v193, v116
	v_fmac_f32_e32 v55, v119, v118
	v_mov_b32_e32 v118, 0
	v_dot4c_i32_i8_e32 v118, v198, v0
	v_dot4c_i32_i8_e32 v118, v200, v1
	v_mov_b32_e32 v1, 0
	v_dot4c_i32_i8_e32 v1, v203, v4
	v_dot4c_i32_i8_e32 v118, v201, v2
	;; [unrolled: 1-line block ×6, first 2 shown]
	s_nop 0
	v_mul_lo_u32 v0, v118, v208
	v_mov_b32_e32 v118, 0
	v_mad_u64_u32 v[0:1], s[20:21], v1, v209, v[0:1]
	v_cvt_f32_i32_e32 v0, v0
	v_mul_f32_e32 v1, v204, v116
	v_mov_b32_e32 v116, 0
	v_fmac_f32_e32 v53, v1, v0
	ds_read_b128 v[0:3], v164 offset:3072
	ds_read_b128 v[4:7], v164 offset:3088
	s_waitcnt lgkmcnt(1)
	v_dot4c_i32_i8_e32 v116, v166, v0
	v_dot4c_i32_i8_e32 v116, v167, v1
	s_waitcnt lgkmcnt(0)
	v_dot4c_i32_i8_e32 v118, v171, v4
	v_dot4c_i32_i8_e32 v116, v168, v2
	;; [unrolled: 1-line block ×6, first 2 shown]
	s_nop 0
	v_mul_lo_u32 v116, v116, v175
	s_nop 0
	v_mad_u64_u32 v[118:119], s[20:21], v118, v177, v[116:117]
	v_cvt_f32_i32_e32 v118, v118
	v_mul_f32_e32 v116, v170, v117
	v_fmac_f32_e32 v51, v116, v118
	v_mov_b32_e32 v116, 0
	v_dot4c_i32_i8_e32 v116, v176, v0
	v_mov_b32_e32 v118, 0
	v_dot4c_i32_i8_e32 v116, v178, v1
	v_dot4c_i32_i8_e32 v118, v181, v4
	;; [unrolled: 1-line block ×7, first 2 shown]
	s_nop 0
	v_mul_lo_u32 v116, v116, v186
	s_nop 0
	v_mad_u64_u32 v[118:119], s[20:21], v118, v188, v[116:117]
	v_cvt_f32_i32_e32 v118, v118
	v_mul_f32_e32 v116, v182, v117
	v_fmac_f32_e32 v49, v116, v118
	v_mov_b32_e32 v116, 0
	v_dot4c_i32_i8_e32 v116, v187, v0
	v_mov_b32_e32 v118, 0
	v_dot4c_i32_i8_e32 v116, v189, v1
	v_dot4c_i32_i8_e32 v118, v192, v4
	;; [unrolled: 1-line block ×7, first 2 shown]
	s_nop 0
	v_mul_lo_u32 v116, v116, v197
	s_nop 0
	v_mad_u64_u32 v[118:119], s[20:21], v118, v199, v[116:117]
	v_cvt_f32_i32_e32 v118, v118
	v_mul_f32_e32 v116, v193, v117
	v_mov_b32_e32 v119, 0
	v_fmac_f32_e32 v47, v116, v118
	v_mov_b32_e32 v116, 0
	v_dot4c_i32_i8_e32 v116, v198, v0
	v_dot4c_i32_i8_e32 v116, v200, v1
	v_mov_b32_e32 v1, 0
	v_dot4c_i32_i8_e32 v1, v203, v4
	v_dot4c_i32_i8_e32 v116, v201, v2
	;; [unrolled: 1-line block ×6, first 2 shown]
	v_mov_b32_e32 v118, 0
	v_mul_lo_u32 v0, v116, v208
	s_nop 0
	v_mad_u64_u32 v[0:1], s[20:21], v1, v209, v[0:1]
	v_cvt_f32_i32_e32 v0, v0
	v_mul_f32_e32 v1, v204, v117
	v_fmac_f32_e32 v45, v1, v0
	ds_read2_b32 v[116:117], v165 offset0:128 offset1:160
	ds_read_b128 v[0:3], v164 offset:4096
	ds_read_b128 v[4:7], v164 offset:4112
	s_waitcnt lgkmcnt(1)
	v_dot4c_i32_i8_e32 v118, v166, v0
	v_dot4c_i32_i8_e32 v118, v167, v1
	s_waitcnt lgkmcnt(0)
	v_dot4c_i32_i8_e32 v119, v171, v4
	v_dot4c_i32_i8_e32 v118, v168, v2
	;; [unrolled: 1-line block ×6, first 2 shown]
	s_nop 0
	v_mul_lo_u32 v118, v118, v175
	s_nop 0
	v_mad_u64_u32 v[118:119], s[20:21], v119, v177, v[118:119]
	v_cvt_f32_i32_e32 v118, v118
	v_mul_f32_e32 v119, v170, v116
	v_fmac_f32_e32 v43, v119, v118
	v_mov_b32_e32 v118, 0
	v_dot4c_i32_i8_e32 v118, v176, v0
	v_mov_b32_e32 v119, 0
	v_dot4c_i32_i8_e32 v118, v178, v1
	v_dot4c_i32_i8_e32 v119, v181, v4
	v_dot4c_i32_i8_e32 v118, v179, v2
	v_dot4c_i32_i8_e32 v119, v183, v5
	v_dot4c_i32_i8_e32 v118, v180, v3
	v_dot4c_i32_i8_e32 v119, v184, v6
	v_dot4c_i32_i8_e32 v119, v185, v7
	s_nop 0
	v_mul_lo_u32 v118, v118, v186
	s_nop 0
	v_mad_u64_u32 v[118:119], s[20:21], v119, v188, v[118:119]
	v_cvt_f32_i32_e32 v118, v118
	v_mul_f32_e32 v119, v182, v116
	v_fmac_f32_e32 v39, v119, v118
	v_mov_b32_e32 v118, 0
	v_dot4c_i32_i8_e32 v118, v187, v0
	v_mov_b32_e32 v119, 0
	v_dot4c_i32_i8_e32 v118, v189, v1
	v_dot4c_i32_i8_e32 v119, v192, v4
	;; [unrolled: 1-line block ×7, first 2 shown]
	s_nop 0
	v_mul_lo_u32 v118, v118, v197
	s_nop 0
	v_mad_u64_u32 v[118:119], s[20:21], v119, v199, v[118:119]
	v_cvt_f32_i32_e32 v118, v118
	v_mul_f32_e32 v119, v193, v116
	v_fmac_f32_e32 v35, v119, v118
	v_mov_b32_e32 v118, 0
	v_dot4c_i32_i8_e32 v118, v198, v0
	v_dot4c_i32_i8_e32 v118, v200, v1
	v_mov_b32_e32 v1, 0
	v_dot4c_i32_i8_e32 v1, v203, v4
	v_dot4c_i32_i8_e32 v118, v201, v2
	;; [unrolled: 1-line block ×6, first 2 shown]
	s_nop 0
	v_mul_lo_u32 v0, v118, v208
	v_mov_b32_e32 v118, 0
	v_mad_u64_u32 v[0:1], s[20:21], v1, v209, v[0:1]
	v_cvt_f32_i32_e32 v0, v0
	v_mul_f32_e32 v1, v204, v116
	v_mov_b32_e32 v116, 0
	v_fmac_f32_e32 v33, v1, v0
	ds_read_b128 v[0:3], v164 offset:5120
	ds_read_b128 v[4:7], v164 offset:5136
	s_waitcnt lgkmcnt(1)
	v_dot4c_i32_i8_e32 v116, v166, v0
	v_dot4c_i32_i8_e32 v116, v167, v1
	s_waitcnt lgkmcnt(0)
	v_dot4c_i32_i8_e32 v118, v171, v4
	v_dot4c_i32_i8_e32 v116, v168, v2
	;; [unrolled: 1-line block ×6, first 2 shown]
	s_nop 0
	v_mul_lo_u32 v116, v116, v175
	s_nop 0
	v_mad_u64_u32 v[118:119], s[20:21], v118, v177, v[116:117]
	v_cvt_f32_i32_e32 v118, v118
	v_mul_f32_e32 v116, v170, v117
	v_fmac_f32_e32 v31, v116, v118
	v_mov_b32_e32 v116, 0
	v_dot4c_i32_i8_e32 v116, v176, v0
	v_mov_b32_e32 v118, 0
	v_dot4c_i32_i8_e32 v116, v178, v1
	v_dot4c_i32_i8_e32 v118, v181, v4
	;; [unrolled: 1-line block ×7, first 2 shown]
	s_nop 0
	v_mul_lo_u32 v116, v116, v186
	s_nop 0
	v_mad_u64_u32 v[118:119], s[20:21], v118, v188, v[116:117]
	v_cvt_f32_i32_e32 v118, v118
	v_mul_f32_e32 v116, v182, v117
	v_fmac_f32_e32 v29, v116, v118
	v_mov_b32_e32 v116, 0
	v_dot4c_i32_i8_e32 v116, v187, v0
	v_mov_b32_e32 v118, 0
	v_dot4c_i32_i8_e32 v116, v189, v1
	v_dot4c_i32_i8_e32 v118, v192, v4
	;; [unrolled: 1-line block ×7, first 2 shown]
	s_nop 0
	v_mul_lo_u32 v116, v116, v197
	s_nop 0
	v_mad_u64_u32 v[118:119], s[20:21], v118, v199, v[116:117]
	v_cvt_f32_i32_e32 v118, v118
	v_mul_f32_e32 v116, v193, v117
	v_mov_b32_e32 v119, 0
	v_fmac_f32_e32 v27, v116, v118
	v_mov_b32_e32 v116, 0
	v_dot4c_i32_i8_e32 v116, v198, v0
	v_dot4c_i32_i8_e32 v116, v200, v1
	v_mov_b32_e32 v1, 0
	v_dot4c_i32_i8_e32 v1, v203, v4
	v_dot4c_i32_i8_e32 v116, v201, v2
	;; [unrolled: 1-line block ×6, first 2 shown]
	v_mov_b32_e32 v118, 0
	v_mul_lo_u32 v0, v116, v208
	s_nop 0
	v_mad_u64_u32 v[0:1], s[20:21], v1, v209, v[0:1]
	v_cvt_f32_i32_e32 v0, v0
	v_mul_f32_e32 v1, v204, v117
	v_fmac_f32_e32 v25, v1, v0
	ds_read2_b32 v[116:117], v165 offset0:192 offset1:224
	ds_read_b128 v[4:7], v164 offset:6144
	ds_read_b128 v[0:3], v164 offset:6160
	v_add_u32_e32 v165, 4, v165
	s_waitcnt lgkmcnt(1)
	v_dot4c_i32_i8_e32 v118, v166, v4
	v_dot4c_i32_i8_e32 v118, v167, v5
	s_waitcnt lgkmcnt(0)
	v_dot4c_i32_i8_e32 v119, v171, v0
	v_dot4c_i32_i8_e32 v118, v168, v6
	;; [unrolled: 1-line block ×6, first 2 shown]
	s_nop 0
	v_mul_lo_u32 v118, v118, v175
	s_nop 0
	v_mad_u64_u32 v[118:119], s[20:21], v119, v177, v[118:119]
	v_cvt_f32_i32_e32 v118, v118
	v_mul_f32_e32 v119, v170, v116
	v_fmac_f32_e32 v23, v119, v118
	v_mov_b32_e32 v118, 0
	v_dot4c_i32_i8_e32 v118, v176, v4
	v_mov_b32_e32 v119, 0
	v_dot4c_i32_i8_e32 v118, v178, v5
	v_dot4c_i32_i8_e32 v119, v181, v0
	;; [unrolled: 1-line block ×7, first 2 shown]
	s_nop 0
	v_mul_lo_u32 v118, v118, v186
	s_nop 0
	v_mad_u64_u32 v[118:119], s[20:21], v119, v188, v[118:119]
	v_cvt_f32_i32_e32 v118, v118
	v_mul_f32_e32 v119, v182, v116
	v_fmac_f32_e32 v21, v119, v118
	v_mov_b32_e32 v118, 0
	v_dot4c_i32_i8_e32 v118, v187, v4
	v_mov_b32_e32 v119, 0
	v_dot4c_i32_i8_e32 v118, v189, v5
	v_dot4c_i32_i8_e32 v119, v192, v0
	;; [unrolled: 1-line block ×7, first 2 shown]
	s_nop 0
	v_mul_lo_u32 v118, v118, v197
	s_nop 0
	v_mad_u64_u32 v[118:119], s[20:21], v119, v199, v[118:119]
	v_cvt_f32_i32_e32 v118, v118
	v_mul_f32_e32 v119, v193, v116
	v_fmac_f32_e32 v19, v119, v118
	v_mov_b32_e32 v118, 0
	v_dot4c_i32_i8_e32 v118, v198, v4
	v_dot4c_i32_i8_e32 v118, v200, v5
	v_mov_b32_e32 v5, 0
	v_dot4c_i32_i8_e32 v5, v203, v0
	v_dot4c_i32_i8_e32 v118, v201, v6
	v_dot4c_i32_i8_e32 v5, v205, v1
	v_dot4c_i32_i8_e32 v118, v202, v7
	v_dot4c_i32_i8_e32 v5, v206, v2
	v_dot4c_i32_i8_e32 v5, v207, v3
	s_nop 0
	v_mul_lo_u32 v4, v118, v208
	v_mov_b32_e32 v118, 0
	v_mad_u64_u32 v[0:1], s[20:21], v5, v209, v[4:5]
	v_cvt_f32_i32_e32 v0, v0
	v_mul_f32_e32 v1, v204, v116
	v_mov_b32_e32 v116, 0
	v_fmac_f32_e32 v17, v1, v0
	ds_read_b128 v[0:3], v164 offset:7168
	ds_read_b128 v[4:7], v164 offset:7184
	v_add_u32_e32 v164, 32, v164
	s_waitcnt lgkmcnt(1)
	v_dot4c_i32_i8_e32 v116, v166, v0
	v_dot4c_i32_i8_e32 v116, v167, v1
	s_waitcnt lgkmcnt(0)
	v_dot4c_i32_i8_e32 v118, v171, v4
	v_dot4c_i32_i8_e32 v116, v168, v2
	;; [unrolled: 1-line block ×6, first 2 shown]
	s_nop 0
	v_mul_lo_u32 v116, v116, v175
	s_nop 0
	v_mad_u64_u32 v[118:119], s[20:21], v118, v177, v[116:117]
	v_cvt_f32_i32_e32 v118, v118
	v_mul_f32_e32 v116, v170, v117
	v_fmac_f32_e32 v15, v116, v118
	v_mov_b32_e32 v116, 0
	v_dot4c_i32_i8_e32 v116, v176, v0
	v_mov_b32_e32 v118, 0
	v_dot4c_i32_i8_e32 v116, v178, v1
	v_dot4c_i32_i8_e32 v118, v181, v4
	;; [unrolled: 1-line block ×7, first 2 shown]
	s_nop 0
	v_mul_lo_u32 v116, v116, v186
	s_nop 0
	v_mad_u64_u32 v[118:119], s[20:21], v118, v188, v[116:117]
	v_cvt_f32_i32_e32 v118, v118
	v_mul_f32_e32 v116, v182, v117
	v_fmac_f32_e32 v13, v116, v118
	v_mov_b32_e32 v116, 0
	v_dot4c_i32_i8_e32 v116, v187, v0
	v_mov_b32_e32 v118, 0
	v_dot4c_i32_i8_e32 v116, v189, v1
	v_dot4c_i32_i8_e32 v118, v192, v4
	;; [unrolled: 1-line block ×7, first 2 shown]
	s_nop 0
	v_mul_lo_u32 v116, v116, v197
	s_nop 0
	v_mad_u64_u32 v[118:119], s[20:21], v118, v199, v[116:117]
	v_cvt_f32_i32_e32 v118, v118
	v_mul_f32_e32 v116, v193, v117
	v_fmac_f32_e32 v11, v116, v118
	v_mov_b32_e32 v116, 0
	v_dot4c_i32_i8_e32 v116, v198, v0
	v_dot4c_i32_i8_e32 v116, v200, v1
	v_mov_b32_e32 v1, 0
	v_dot4c_i32_i8_e32 v1, v203, v4
	v_dot4c_i32_i8_e32 v116, v201, v2
	;; [unrolled: 1-line block ×6, first 2 shown]
	s_nop 0
	v_mul_lo_u32 v0, v116, v208
	s_nop 0
	v_mad_u64_u32 v[0:1], s[20:21], v1, v209, v[0:1]
	v_cvt_f32_i32_e32 v0, v0
	v_mul_f32_e32 v1, v204, v117
	s_mov_b32 s20, s19
	v_fmac_f32_e32 v9, v1, v0
	s_cbranch_scc1 .LBB130_14
; %bb.15:                               ;   in Loop: Header=BB130_6 Depth=1
	s_barrier
	s_branch .LBB130_5
.LBB130_16:
	v_mov_b32_e32 v1, v41
.LBB130_17:
	v_cmp_gt_u32_e32 vcc, s10, v63
	s_and_saveexec_b64 s[0:1], vcc
	s_cbranch_execz .LBB130_68
; %bb.18:
	v_add_u32_e32 v0, s6, v37
	v_mul_lo_u32 v5, v63, s14
	v_cmp_gt_u32_e32 vcc, s14, v0
	s_and_saveexec_b64 s[2:3], vcc
	s_cbranch_execz .LBB130_20
; %bb.19:
	v_add_u32_e32 v2, v0, v5
	v_mov_b32_e32 v3, 0
	v_lshlrev_b64 v[2:3], 2, v[2:3]
	s_waitcnt lgkmcnt(0)
	v_mov_b32_e32 v4, s13
	v_add_co_u32_e64 v2, s[0:1], s12, v2
	v_addc_co_u32_e64 v3, s[0:1], v4, v3, s[0:1]
	global_store_dword v[2:3], v93, off
.LBB130_20:
	s_or_b64 exec, exec, s[2:3]
	v_add_u32_e32 v2, 32, v0
	v_cmp_gt_u32_e64 s[0:1], s14, v2
	s_and_saveexec_b64 s[4:5], s[0:1]
	s_cbranch_execz .LBB130_22
; %bb.21:
	v_add_u32_e32 v6, v2, v5
	v_mov_b32_e32 v7, 0
	v_lshlrev_b64 v[6:7], 2, v[6:7]
	s_waitcnt lgkmcnt(0)
	v_mov_b32_e32 v3, s13
	v_add_co_u32_e64 v6, s[2:3], s12, v6
	v_addc_co_u32_e64 v7, s[2:3], v3, v7, s[2:3]
	global_store_dword v[6:7], v83, off
.LBB130_22:
	s_or_b64 exec, exec, s[4:5]
	v_add_u32_e32 v3, 64, v0
	v_cmp_gt_u32_e64 s[2:3], s14, v3
	s_and_saveexec_b64 s[6:7], s[2:3]
	;; [unrolled: 15-line block ×3, first 2 shown]
	s_cbranch_execz .LBB130_26
; %bb.25:
	v_add_u32_e32 v6, v4, v5
	v_mov_b32_e32 v7, 0
	v_lshlrev_b64 v[6:7], 2, v[6:7]
	s_waitcnt lgkmcnt(0)
	v_mov_b32_e32 v5, s13
	v_add_co_u32_e64 v6, s[6:7], s12, v6
	v_addc_co_u32_e64 v7, s[6:7], v5, v7, s[6:7]
	global_store_dword v[6:7], v79, off
.LBB130_26:
	s_or_b64 exec, exec, s[8:9]
	v_add3_u32 v5, v1, s15, 8
	v_cmp_gt_u32_e64 s[6:7], s10, v5
	s_and_b64 exec, exec, s[6:7]
	s_cbranch_execz .LBB130_68
; %bb.27:
	v_mul_lo_u32 v5, v5, s14
	s_and_saveexec_b64 s[8:9], vcc
	s_cbranch_execnz .LBB130_69
; %bb.28:
	s_or_b64 exec, exec, s[8:9]
	s_and_saveexec_b64 s[8:9], s[0:1]
	s_cbranch_execnz .LBB130_70
.LBB130_29:
	s_or_b64 exec, exec, s[8:9]
	s_and_saveexec_b64 s[8:9], s[2:3]
	s_cbranch_execnz .LBB130_71
.LBB130_30:
	s_or_b64 exec, exec, s[8:9]
	s_and_saveexec_b64 s[8:9], s[4:5]
	s_cbranch_execz .LBB130_32
.LBB130_31:
	v_add_u32_e32 v6, v5, v4
	v_mov_b32_e32 v7, 0
	v_lshlrev_b64 v[6:7], 2, v[6:7]
	s_waitcnt lgkmcnt(0)
	v_mov_b32_e32 v5, s13
	v_add_co_u32_e64 v6, s[6:7], s12, v6
	v_addc_co_u32_e64 v7, s[6:7], v5, v7, s[6:7]
	global_store_dword v[6:7], v65, off
.LBB130_32:
	s_or_b64 exec, exec, s[8:9]
	v_add3_u32 v5, v1, s15, 16
	v_cmp_gt_u32_e64 s[6:7], s10, v5
	s_and_b64 exec, exec, s[6:7]
	s_cbranch_execz .LBB130_68
; %bb.33:
	v_mul_lo_u32 v5, v5, s14
	s_and_saveexec_b64 s[8:9], vcc
	s_cbranch_execnz .LBB130_72
; %bb.34:
	s_or_b64 exec, exec, s[8:9]
	s_and_saveexec_b64 s[8:9], s[0:1]
	s_cbranch_execnz .LBB130_73
.LBB130_35:
	s_or_b64 exec, exec, s[8:9]
	s_and_saveexec_b64 s[8:9], s[2:3]
	s_cbranch_execnz .LBB130_74
.LBB130_36:
	s_or_b64 exec, exec, s[8:9]
	s_and_saveexec_b64 s[8:9], s[4:5]
	s_cbranch_execz .LBB130_38
.LBB130_37:
	v_add_u32_e32 v6, v5, v4
	v_mov_b32_e32 v7, 0
	v_lshlrev_b64 v[6:7], 2, v[6:7]
	s_waitcnt lgkmcnt(0)
	v_mov_b32_e32 v5, s13
	v_add_co_u32_e64 v6, s[6:7], s12, v6
	v_addc_co_u32_e64 v7, s[6:7], v5, v7, s[6:7]
	global_store_dword v[6:7], v53, off
.LBB130_38:
	s_or_b64 exec, exec, s[8:9]
	v_add3_u32 v5, v1, s15, 24
	v_cmp_gt_u32_e64 s[6:7], s10, v5
	s_and_b64 exec, exec, s[6:7]
	s_cbranch_execz .LBB130_68
; %bb.39:
	v_mul_lo_u32 v5, v5, s14
	s_and_saveexec_b64 s[8:9], vcc
	s_cbranch_execnz .LBB130_75
; %bb.40:
	s_or_b64 exec, exec, s[8:9]
	s_and_saveexec_b64 s[8:9], s[0:1]
	s_cbranch_execnz .LBB130_76
.LBB130_41:
	s_or_b64 exec, exec, s[8:9]
	s_and_saveexec_b64 s[8:9], s[2:3]
	s_cbranch_execnz .LBB130_77
.LBB130_42:
	s_or_b64 exec, exec, s[8:9]
	s_and_saveexec_b64 s[8:9], s[4:5]
	s_cbranch_execz .LBB130_44
.LBB130_43:
	v_add_u32_e32 v6, v5, v4
	v_mov_b32_e32 v7, 0
	v_lshlrev_b64 v[6:7], 2, v[6:7]
	s_waitcnt lgkmcnt(0)
	v_mov_b32_e32 v5, s13
	v_add_co_u32_e64 v6, s[6:7], s12, v6
	v_addc_co_u32_e64 v7, s[6:7], v5, v7, s[6:7]
	global_store_dword v[6:7], v45, off
.LBB130_44:
	s_or_b64 exec, exec, s[8:9]
	v_add3_u32 v5, v1, s15, 32
	v_cmp_gt_u32_e64 s[6:7], s10, v5
	s_and_b64 exec, exec, s[6:7]
	s_cbranch_execz .LBB130_68
; %bb.45:
	v_mul_lo_u32 v5, v5, s14
	s_and_saveexec_b64 s[8:9], vcc
	s_cbranch_execnz .LBB130_78
; %bb.46:
	s_or_b64 exec, exec, s[8:9]
	s_and_saveexec_b64 s[8:9], s[0:1]
	s_cbranch_execnz .LBB130_79
.LBB130_47:
	s_or_b64 exec, exec, s[8:9]
	s_and_saveexec_b64 s[8:9], s[2:3]
	s_cbranch_execnz .LBB130_80
.LBB130_48:
	s_or_b64 exec, exec, s[8:9]
	s_and_saveexec_b64 s[8:9], s[4:5]
	s_cbranch_execz .LBB130_50
.LBB130_49:
	v_add_u32_e32 v6, v5, v4
	v_mov_b32_e32 v7, 0
	v_lshlrev_b64 v[6:7], 2, v[6:7]
	s_waitcnt lgkmcnt(0)
	v_mov_b32_e32 v5, s13
	v_add_co_u32_e64 v6, s[6:7], s12, v6
	v_addc_co_u32_e64 v7, s[6:7], v5, v7, s[6:7]
	global_store_dword v[6:7], v33, off
.LBB130_50:
	s_or_b64 exec, exec, s[8:9]
	v_add3_u32 v5, v1, s15, 40
	v_cmp_gt_u32_e64 s[6:7], s10, v5
	s_and_b64 exec, exec, s[6:7]
	s_cbranch_execz .LBB130_68
; %bb.51:
	v_mul_lo_u32 v5, v5, s14
	s_and_saveexec_b64 s[8:9], vcc
	s_cbranch_execnz .LBB130_81
; %bb.52:
	s_or_b64 exec, exec, s[8:9]
	s_and_saveexec_b64 s[8:9], s[0:1]
	s_cbranch_execnz .LBB130_82
.LBB130_53:
	s_or_b64 exec, exec, s[8:9]
	s_and_saveexec_b64 s[8:9], s[2:3]
	s_cbranch_execnz .LBB130_83
.LBB130_54:
	s_or_b64 exec, exec, s[8:9]
	s_and_saveexec_b64 s[8:9], s[4:5]
	s_cbranch_execz .LBB130_56
.LBB130_55:
	v_add_u32_e32 v6, v5, v4
	v_mov_b32_e32 v7, 0
	v_lshlrev_b64 v[6:7], 2, v[6:7]
	s_waitcnt lgkmcnt(0)
	v_mov_b32_e32 v5, s13
	v_add_co_u32_e64 v6, s[6:7], s12, v6
	v_addc_co_u32_e64 v7, s[6:7], v5, v7, s[6:7]
	global_store_dword v[6:7], v25, off
.LBB130_56:
	s_or_b64 exec, exec, s[8:9]
	v_add3_u32 v5, v1, s15, 48
	v_cmp_gt_u32_e64 s[6:7], s10, v5
	s_and_b64 exec, exec, s[6:7]
	s_cbranch_execz .LBB130_68
; %bb.57:
	v_mul_lo_u32 v5, v5, s14
	s_and_saveexec_b64 s[8:9], vcc
	s_cbranch_execnz .LBB130_84
; %bb.58:
	s_or_b64 exec, exec, s[8:9]
	s_and_saveexec_b64 s[8:9], s[0:1]
	s_cbranch_execnz .LBB130_85
.LBB130_59:
	s_or_b64 exec, exec, s[8:9]
	s_and_saveexec_b64 s[8:9], s[2:3]
	s_cbranch_execnz .LBB130_86
.LBB130_60:
	s_or_b64 exec, exec, s[8:9]
	s_and_saveexec_b64 s[8:9], s[4:5]
	s_cbranch_execz .LBB130_62
.LBB130_61:
	v_add_u32_e32 v6, v5, v4
	v_mov_b32_e32 v7, 0
	v_lshlrev_b64 v[6:7], 2, v[6:7]
	s_waitcnt lgkmcnt(0)
	v_mov_b32_e32 v5, s13
	v_add_co_u32_e64 v6, s[6:7], s12, v6
	v_addc_co_u32_e64 v7, s[6:7], v5, v7, s[6:7]
	global_store_dword v[6:7], v17, off
.LBB130_62:
	s_or_b64 exec, exec, s[8:9]
	v_add3_u32 v1, v1, s15, 56
	v_cmp_gt_u32_e64 s[6:7], s10, v1
	s_and_b64 exec, exec, s[6:7]
	s_cbranch_execz .LBB130_68
; %bb.63:
	v_mul_lo_u32 v1, v1, s14
	s_and_saveexec_b64 s[6:7], vcc
	s_cbranch_execnz .LBB130_87
; %bb.64:
	s_or_b64 exec, exec, s[6:7]
	s_and_saveexec_b64 s[6:7], s[0:1]
	s_cbranch_execnz .LBB130_88
.LBB130_65:
	s_or_b64 exec, exec, s[6:7]
	s_and_saveexec_b64 s[0:1], s[2:3]
	s_cbranch_execnz .LBB130_89
.LBB130_66:
	s_or_b64 exec, exec, s[0:1]
	s_and_b64 exec, exec, s[4:5]
	s_cbranch_execz .LBB130_68
.LBB130_67:
	v_add_u32_e32 v0, v1, v4
	v_mov_b32_e32 v1, 0
	v_lshlrev_b64 v[0:1], 2, v[0:1]
	s_waitcnt lgkmcnt(0)
	v_mov_b32_e32 v2, s13
	v_add_co_u32_e32 v0, vcc, s12, v0
	v_addc_co_u32_e32 v1, vcc, v2, v1, vcc
	global_store_dword v[0:1], v9, off
.LBB130_68:
	s_endpgm
.LBB130_69:
	v_add_u32_e32 v6, v5, v0
	v_mov_b32_e32 v7, 0
	v_lshlrev_b64 v[6:7], 2, v[6:7]
	s_waitcnt lgkmcnt(0)
	v_mov_b32_e32 v8, s13
	v_add_co_u32_e64 v6, s[6:7], s12, v6
	v_addc_co_u32_e64 v7, s[6:7], v8, v7, s[6:7]
	global_store_dword v[6:7], v71, off
	s_or_b64 exec, exec, s[8:9]
	s_and_saveexec_b64 s[8:9], s[0:1]
	s_cbranch_execz .LBB130_29
.LBB130_70:
	v_add_u32_e32 v6, v5, v2
	v_mov_b32_e32 v7, 0
	v_lshlrev_b64 v[6:7], 2, v[6:7]
	s_waitcnt lgkmcnt(0)
	v_mov_b32_e32 v8, s13
	v_add_co_u32_e64 v6, s[6:7], s12, v6
	v_addc_co_u32_e64 v7, s[6:7], v8, v7, s[6:7]
	global_store_dword v[6:7], v69, off
	s_or_b64 exec, exec, s[8:9]
	s_and_saveexec_b64 s[8:9], s[2:3]
	s_cbranch_execz .LBB130_30
.LBB130_71:
	v_add_u32_e32 v6, v5, v3
	v_mov_b32_e32 v7, 0
	v_lshlrev_b64 v[6:7], 2, v[6:7]
	s_waitcnt lgkmcnt(0)
	v_mov_b32_e32 v8, s13
	v_add_co_u32_e64 v6, s[6:7], s12, v6
	v_addc_co_u32_e64 v7, s[6:7], v8, v7, s[6:7]
	global_store_dword v[6:7], v67, off
	s_or_b64 exec, exec, s[8:9]
	s_and_saveexec_b64 s[8:9], s[4:5]
	s_cbranch_execnz .LBB130_31
	s_branch .LBB130_32
.LBB130_72:
	v_add_u32_e32 v6, v5, v0
	v_mov_b32_e32 v7, 0
	v_lshlrev_b64 v[6:7], 2, v[6:7]
	s_waitcnt lgkmcnt(0)
	v_mov_b32_e32 v8, s13
	v_add_co_u32_e64 v6, s[6:7], s12, v6
	v_addc_co_u32_e64 v7, s[6:7], v8, v7, s[6:7]
	global_store_dword v[6:7], v61, off
	s_or_b64 exec, exec, s[8:9]
	s_and_saveexec_b64 s[8:9], s[0:1]
	s_cbranch_execz .LBB130_35
.LBB130_73:
	v_add_u32_e32 v6, v5, v2
	v_mov_b32_e32 v7, 0
	v_lshlrev_b64 v[6:7], 2, v[6:7]
	s_waitcnt lgkmcnt(0)
	v_mov_b32_e32 v8, s13
	v_add_co_u32_e64 v6, s[6:7], s12, v6
	v_addc_co_u32_e64 v7, s[6:7], v8, v7, s[6:7]
	global_store_dword v[6:7], v57, off
	s_or_b64 exec, exec, s[8:9]
	s_and_saveexec_b64 s[8:9], s[2:3]
	s_cbranch_execz .LBB130_36
.LBB130_74:
	v_add_u32_e32 v6, v5, v3
	v_mov_b32_e32 v7, 0
	v_lshlrev_b64 v[6:7], 2, v[6:7]
	s_waitcnt lgkmcnt(0)
	v_mov_b32_e32 v8, s13
	v_add_co_u32_e64 v6, s[6:7], s12, v6
	v_addc_co_u32_e64 v7, s[6:7], v8, v7, s[6:7]
	global_store_dword v[6:7], v55, off
	s_or_b64 exec, exec, s[8:9]
	s_and_saveexec_b64 s[8:9], s[4:5]
	s_cbranch_execnz .LBB130_37
	s_branch .LBB130_38
.LBB130_75:
	v_add_u32_e32 v6, v5, v0
	v_mov_b32_e32 v7, 0
	v_lshlrev_b64 v[6:7], 2, v[6:7]
	s_waitcnt lgkmcnt(0)
	v_mov_b32_e32 v8, s13
	v_add_co_u32_e64 v6, s[6:7], s12, v6
	v_addc_co_u32_e64 v7, s[6:7], v8, v7, s[6:7]
	global_store_dword v[6:7], v51, off
	s_or_b64 exec, exec, s[8:9]
	s_and_saveexec_b64 s[8:9], s[0:1]
	s_cbranch_execz .LBB130_41
.LBB130_76:
	v_add_u32_e32 v6, v5, v2
	v_mov_b32_e32 v7, 0
	v_lshlrev_b64 v[6:7], 2, v[6:7]
	s_waitcnt lgkmcnt(0)
	v_mov_b32_e32 v8, s13
	v_add_co_u32_e64 v6, s[6:7], s12, v6
	v_addc_co_u32_e64 v7, s[6:7], v8, v7, s[6:7]
	global_store_dword v[6:7], v49, off
	s_or_b64 exec, exec, s[8:9]
	s_and_saveexec_b64 s[8:9], s[2:3]
	s_cbranch_execz .LBB130_42
.LBB130_77:
	v_add_u32_e32 v6, v5, v3
	v_mov_b32_e32 v7, 0
	v_lshlrev_b64 v[6:7], 2, v[6:7]
	s_waitcnt lgkmcnt(0)
	v_mov_b32_e32 v8, s13
	v_add_co_u32_e64 v6, s[6:7], s12, v6
	v_addc_co_u32_e64 v7, s[6:7], v8, v7, s[6:7]
	global_store_dword v[6:7], v47, off
	s_or_b64 exec, exec, s[8:9]
	s_and_saveexec_b64 s[8:9], s[4:5]
	s_cbranch_execnz .LBB130_43
	s_branch .LBB130_44
.LBB130_78:
	v_add_u32_e32 v6, v5, v0
	v_mov_b32_e32 v7, 0
	v_lshlrev_b64 v[6:7], 2, v[6:7]
	s_waitcnt lgkmcnt(0)
	v_mov_b32_e32 v8, s13
	v_add_co_u32_e64 v6, s[6:7], s12, v6
	v_addc_co_u32_e64 v7, s[6:7], v8, v7, s[6:7]
	global_store_dword v[6:7], v43, off
	s_or_b64 exec, exec, s[8:9]
	s_and_saveexec_b64 s[8:9], s[0:1]
	s_cbranch_execz .LBB130_47
.LBB130_79:
	v_add_u32_e32 v6, v5, v2
	v_mov_b32_e32 v7, 0
	v_lshlrev_b64 v[6:7], 2, v[6:7]
	s_waitcnt lgkmcnt(0)
	v_mov_b32_e32 v8, s13
	v_add_co_u32_e64 v6, s[6:7], s12, v6
	v_addc_co_u32_e64 v7, s[6:7], v8, v7, s[6:7]
	global_store_dword v[6:7], v39, off
	s_or_b64 exec, exec, s[8:9]
	s_and_saveexec_b64 s[8:9], s[2:3]
	s_cbranch_execz .LBB130_48
.LBB130_80:
	v_add_u32_e32 v6, v5, v3
	v_mov_b32_e32 v7, 0
	v_lshlrev_b64 v[6:7], 2, v[6:7]
	s_waitcnt lgkmcnt(0)
	v_mov_b32_e32 v8, s13
	v_add_co_u32_e64 v6, s[6:7], s12, v6
	v_addc_co_u32_e64 v7, s[6:7], v8, v7, s[6:7]
	global_store_dword v[6:7], v35, off
	s_or_b64 exec, exec, s[8:9]
	s_and_saveexec_b64 s[8:9], s[4:5]
	s_cbranch_execnz .LBB130_49
	s_branch .LBB130_50
.LBB130_81:
	v_add_u32_e32 v6, v5, v0
	v_mov_b32_e32 v7, 0
	v_lshlrev_b64 v[6:7], 2, v[6:7]
	s_waitcnt lgkmcnt(0)
	v_mov_b32_e32 v8, s13
	v_add_co_u32_e64 v6, s[6:7], s12, v6
	v_addc_co_u32_e64 v7, s[6:7], v8, v7, s[6:7]
	global_store_dword v[6:7], v31, off
	s_or_b64 exec, exec, s[8:9]
	s_and_saveexec_b64 s[8:9], s[0:1]
	s_cbranch_execz .LBB130_53
.LBB130_82:
	v_add_u32_e32 v6, v5, v2
	v_mov_b32_e32 v7, 0
	v_lshlrev_b64 v[6:7], 2, v[6:7]
	s_waitcnt lgkmcnt(0)
	v_mov_b32_e32 v8, s13
	v_add_co_u32_e64 v6, s[6:7], s12, v6
	v_addc_co_u32_e64 v7, s[6:7], v8, v7, s[6:7]
	global_store_dword v[6:7], v29, off
	s_or_b64 exec, exec, s[8:9]
	s_and_saveexec_b64 s[8:9], s[2:3]
	s_cbranch_execz .LBB130_54
.LBB130_83:
	v_add_u32_e32 v6, v5, v3
	v_mov_b32_e32 v7, 0
	v_lshlrev_b64 v[6:7], 2, v[6:7]
	s_waitcnt lgkmcnt(0)
	v_mov_b32_e32 v8, s13
	v_add_co_u32_e64 v6, s[6:7], s12, v6
	v_addc_co_u32_e64 v7, s[6:7], v8, v7, s[6:7]
	global_store_dword v[6:7], v27, off
	s_or_b64 exec, exec, s[8:9]
	s_and_saveexec_b64 s[8:9], s[4:5]
	s_cbranch_execnz .LBB130_55
	s_branch .LBB130_56
.LBB130_84:
	v_add_u32_e32 v6, v5, v0
	v_mov_b32_e32 v7, 0
	v_lshlrev_b64 v[6:7], 2, v[6:7]
	s_waitcnt lgkmcnt(0)
	v_mov_b32_e32 v8, s13
	v_add_co_u32_e64 v6, s[6:7], s12, v6
	v_addc_co_u32_e64 v7, s[6:7], v8, v7, s[6:7]
	global_store_dword v[6:7], v23, off
	s_or_b64 exec, exec, s[8:9]
	s_and_saveexec_b64 s[8:9], s[0:1]
	s_cbranch_execz .LBB130_59
.LBB130_85:
	v_add_u32_e32 v6, v5, v2
	v_mov_b32_e32 v7, 0
	v_lshlrev_b64 v[6:7], 2, v[6:7]
	s_waitcnt lgkmcnt(0)
	v_mov_b32_e32 v8, s13
	v_add_co_u32_e64 v6, s[6:7], s12, v6
	v_addc_co_u32_e64 v7, s[6:7], v8, v7, s[6:7]
	global_store_dword v[6:7], v21, off
	s_or_b64 exec, exec, s[8:9]
	s_and_saveexec_b64 s[8:9], s[2:3]
	s_cbranch_execz .LBB130_60
.LBB130_86:
	v_add_u32_e32 v6, v5, v3
	v_mov_b32_e32 v7, 0
	v_lshlrev_b64 v[6:7], 2, v[6:7]
	s_waitcnt lgkmcnt(0)
	v_mov_b32_e32 v8, s13
	v_add_co_u32_e64 v6, s[6:7], s12, v6
	v_addc_co_u32_e64 v7, s[6:7], v8, v7, s[6:7]
	global_store_dword v[6:7], v19, off
	s_or_b64 exec, exec, s[8:9]
	s_and_saveexec_b64 s[8:9], s[4:5]
	s_cbranch_execnz .LBB130_61
	s_branch .LBB130_62
.LBB130_87:
	v_add_u32_e32 v6, v1, v0
	v_mov_b32_e32 v7, 0
	v_lshlrev_b64 v[6:7], 2, v[6:7]
	s_waitcnt lgkmcnt(0)
	v_mov_b32_e32 v0, s13
	v_add_co_u32_e32 v6, vcc, s12, v6
	v_addc_co_u32_e32 v7, vcc, v0, v7, vcc
	global_store_dword v[6:7], v15, off
	s_or_b64 exec, exec, s[6:7]
	s_and_saveexec_b64 s[6:7], s[0:1]
	s_cbranch_execz .LBB130_65
.LBB130_88:
	v_add_u32_e32 v6, v1, v2
	v_mov_b32_e32 v7, 0
	v_lshlrev_b64 v[6:7], 2, v[6:7]
	s_waitcnt lgkmcnt(0)
	v_mov_b32_e32 v0, s13
	v_add_co_u32_e32 v6, vcc, s12, v6
	v_addc_co_u32_e32 v7, vcc, v0, v7, vcc
	global_store_dword v[6:7], v13, off
	s_or_b64 exec, exec, s[6:7]
	s_and_saveexec_b64 s[0:1], s[2:3]
	s_cbranch_execz .LBB130_66
.LBB130_89:
	v_add_u32_e32 v2, v1, v3
	v_mov_b32_e32 v3, 0
	v_lshlrev_b64 v[2:3], 2, v[2:3]
	s_waitcnt lgkmcnt(0)
	v_mov_b32_e32 v0, s13
	v_add_co_u32_e32 v2, vcc, s12, v2
	v_addc_co_u32_e32 v3, vcc, v0, v3, vcc
	global_store_dword v[2:3], v11, off
	s_or_b64 exec, exec, s[0:1]
	s_and_b64 exec, exec, s[4:5]
	s_cbranch_execnz .LBB130_67
	s_branch .LBB130_68
	.section	.rodata,"a",@progbits
	.p2align	6, 0x0
	.amdhsa_kernel _ZL12mul_mat_q3_KIfLb1EEvPKvS1_PT_iiiii
		.amdhsa_group_segment_fixed_size 39840
		.amdhsa_private_segment_fixed_size 0
		.amdhsa_kernarg_size 44
		.amdhsa_user_sgpr_count 6
		.amdhsa_user_sgpr_private_segment_buffer 1
		.amdhsa_user_sgpr_dispatch_ptr 0
		.amdhsa_user_sgpr_queue_ptr 0
		.amdhsa_user_sgpr_kernarg_segment_ptr 1
		.amdhsa_user_sgpr_dispatch_id 0
		.amdhsa_user_sgpr_flat_scratch_init 0
		.amdhsa_user_sgpr_kernarg_preload_length 0
		.amdhsa_user_sgpr_kernarg_preload_offset 0
		.amdhsa_user_sgpr_private_segment_size 0
		.amdhsa_uses_dynamic_stack 0
		.amdhsa_system_sgpr_private_segment_wavefront_offset 0
		.amdhsa_system_sgpr_workgroup_id_x 1
		.amdhsa_system_sgpr_workgroup_id_y 1
		.amdhsa_system_sgpr_workgroup_id_z 0
		.amdhsa_system_sgpr_workgroup_info 0
		.amdhsa_system_vgpr_workitem_id 1
		.amdhsa_next_free_vgpr 214
		.amdhsa_next_free_sgpr 28
		.amdhsa_accum_offset 216
		.amdhsa_reserve_vcc 1
		.amdhsa_reserve_flat_scratch 0
		.amdhsa_float_round_mode_32 0
		.amdhsa_float_round_mode_16_64 0
		.amdhsa_float_denorm_mode_32 3
		.amdhsa_float_denorm_mode_16_64 3
		.amdhsa_dx10_clamp 1
		.amdhsa_ieee_mode 1
		.amdhsa_fp16_overflow 0
		.amdhsa_tg_split 0
		.amdhsa_exception_fp_ieee_invalid_op 0
		.amdhsa_exception_fp_denorm_src 0
		.amdhsa_exception_fp_ieee_div_zero 0
		.amdhsa_exception_fp_ieee_overflow 0
		.amdhsa_exception_fp_ieee_underflow 0
		.amdhsa_exception_fp_ieee_inexact 0
		.amdhsa_exception_int_div_zero 0
	.end_amdhsa_kernel
	.section	.text._ZL12mul_mat_q3_KIfLb1EEvPKvS1_PT_iiiii,"axG",@progbits,_ZL12mul_mat_q3_KIfLb1EEvPKvS1_PT_iiiii,comdat
.Lfunc_end130:
	.size	_ZL12mul_mat_q3_KIfLb1EEvPKvS1_PT_iiiii, .Lfunc_end130-_ZL12mul_mat_q3_KIfLb1EEvPKvS1_PT_iiiii
                                        ; -- End function
	.section	.AMDGPU.csdata,"",@progbits
; Kernel info:
; codeLenInByte = 32792
; NumSgprs: 32
; NumVgprs: 214
; NumAgprs: 0
; TotalNumVgprs: 214
; ScratchSize: 0
; MemoryBound: 0
; FloatMode: 240
; IeeeMode: 1
; LDSByteSize: 39840 bytes/workgroup (compile time only)
; SGPRBlocks: 3
; VGPRBlocks: 26
; NumSGPRsForWavesPerEU: 32
; NumVGPRsForWavesPerEU: 214
; AccumOffset: 216
; Occupancy: 1
; WaveLimiterHint : 0
; COMPUTE_PGM_RSRC2:SCRATCH_EN: 0
; COMPUTE_PGM_RSRC2:USER_SGPR: 6
; COMPUTE_PGM_RSRC2:TRAP_HANDLER: 0
; COMPUTE_PGM_RSRC2:TGID_X_EN: 1
; COMPUTE_PGM_RSRC2:TGID_Y_EN: 1
; COMPUTE_PGM_RSRC2:TGID_Z_EN: 0
; COMPUTE_PGM_RSRC2:TIDIG_COMP_CNT: 1
; COMPUTE_PGM_RSRC3_GFX90A:ACCUM_OFFSET: 53
; COMPUTE_PGM_RSRC3_GFX90A:TG_SPLIT: 0
	.section	.text._ZL12mul_mat_q4_KIfLb0EEvPKvS1_PT_iiiii,"axG",@progbits,_ZL12mul_mat_q4_KIfLb0EEvPKvS1_PT_iiiii,comdat
	.globl	_ZL12mul_mat_q4_KIfLb0EEvPKvS1_PT_iiiii ; -- Begin function _ZL12mul_mat_q4_KIfLb0EEvPKvS1_PT_iiiii
	.p2align	8
	.type	_ZL12mul_mat_q4_KIfLb0EEvPKvS1_PT_iiiii,@function
_ZL12mul_mat_q4_KIfLb0EEvPKvS1_PT_iiiii: ; @_ZL12mul_mat_q4_KIfLb0EEvPKvS1_PT_iiiii
; %bb.0:
	s_mov_b64 s[22:23], s[2:3]
	s_mov_b64 s[20:21], s[0:1]
	s_add_u32 s20, s20, s8
	s_load_dword s14, s[4:5], 0x18
	s_load_dwordx4 s[8:11], s[4:5], 0x20
	s_addc_u32 s21, s21, 0
	s_waitcnt lgkmcnt(0)
	s_lshl_b32 s11, s7, 6
	v_bfe_u32 v11, v0, 10, 10
	s_cmpk_gt_i32 s14, 0xff
	s_cbranch_scc1 .LBB131_2
; %bb.1:
	v_bfe_u32 v1, v0, 10, 10
	v_and_b32_e32 v53, 0x3ff, v0
	v_add_u32_e32 v2, s11, v1
	s_mov_b64 s[0:1], 0
	s_mov_b32 s2, 0
	s_branch .LBB131_3
.LBB131_2:
	s_mov_b64 s[0:1], -1
                                        ; implicit-def: $sgpr2
                                        ; implicit-def: $vgpr1
                                        ; implicit-def: $vgpr53
                                        ; implicit-def: $vgpr2
.LBB131_3:
	s_load_dwordx2 s[12:13], s[4:5], 0x10
	s_lshl_b32 s6, s6, 7
	s_andn2_b64 vcc, exec, s[0:1]
	v_mov_b32_e32 v21, s2
	v_mov_b32_e32 v20, s2
	v_mov_b32_e32 v29, s2
	v_mov_b32_e32 v28, s2
	v_mov_b32_e32 v37, s2
	v_mov_b32_e32 v36, s2
	v_mov_b32_e32 v45, s2
	v_mov_b32_e32 v44, s2
	v_mov_b32_e32 v23, s2
	v_mov_b32_e32 v22, s2
	v_mov_b32_e32 v31, s2
	v_mov_b32_e32 v30, s2
	v_mov_b32_e32 v39, s2
	v_mov_b32_e32 v38, s2
	v_mov_b32_e32 v47, s2
	v_mov_b32_e32 v46, s2
	v_mov_b32_e32 v25, s2
	v_mov_b32_e32 v24, s2
	v_mov_b32_e32 v33, s2
	v_mov_b32_e32 v32, s2
	v_mov_b32_e32 v41, s2
	v_mov_b32_e32 v40, s2
	v_mov_b32_e32 v49, s2
	v_mov_b32_e32 v48, s2
	v_mov_b32_e32 v27, s2
	v_mov_b32_e32 v26, s2
	v_mov_b32_e32 v35, s2
	v_mov_b32_e32 v34, s2
	v_mov_b32_e32 v43, s2
	v_mov_b32_e32 v42, s2
	v_mov_b32_e32 v51, s2
	v_mov_b32_e32 v50, s2
	s_cbranch_vccnz .LBB131_11
; %bb.4:
	v_and_b32_e32 v53, 0x3ff, v0
	v_lshlrev_b32_e32 v3, 2, v53
	v_and_b32_e32 v0, 0x7c, v3
	buffer_store_dword v0, off, s[20:23], 0 ; 4-byte Folded Spill
	s_nop 0
	buffer_store_dword v1, off, s[20:23], 0 offset:4 ; 4-byte Folded Spill
	s_load_dwordx4 s[0:3], s[4:5], 0x0
	s_ashr_i32 s4, s14, 31
	s_lshr_b32 s4, s4, 24
	s_add_i32 s14, s14, s4
	s_ashr_i32 s7, s14, 8
	v_mul_i32_i24_e32 v0, s7, v11
	s_ashr_i32 s4, s9, 31
	s_lshr_b32 s4, s4, 27
	s_add_i32 s4, s9, s4
	s_ashr_i32 s16, s4, 5
	s_mul_i32 s4, s7, s6
	s_mul_hi_i32 s5, s4, 0x90
	s_mulk_i32 s4, 0x90
	s_waitcnt lgkmcnt(0)
	s_add_u32 s14, s0, s4
	s_addc_u32 s15, s1, s5
	s_lshl_b32 s4, s7, 3
	v_lshlrev_b32_e32 v91, 5, v11
	s_movk_i32 s1, 0x84
	v_mad_u32_u24 v59, v11, s1, v3
	s_movk_i32 s17, 0x6e40
	v_lshrrev_b32_e32 v5, 2, v53
	v_add_u32_e32 v12, s11, v11
	v_add_u32_e32 v138, 0x100, v91
	;; [unrolled: 1-line block ×8, first 2 shown]
	v_lshrrev_b32_e32 v52, 5, v53
	s_mov_b32 s0, 0
	v_mad_u32_u24 v167, v53, s1, 64
	v_mov_b32_e32 v10, s3
	v_lshrrev_b32_e32 v123, 3, v53
	s_movk_i32 s9, 0x90
	v_add_u32_e32 v69, 0x14a0, v59
	v_add_u32_e32 v71, 0x18c0, v59
	;; [unrolled: 1-line block ×11, first 2 shown]
	v_mul_u32_u24_e32 v163, 0x84, v53
	v_lshlrev_b32_e32 v170, 4, v53
	v_lshlrev_b32_e32 v174, 2, v123
	buffer_store_dword v0, off, s[20:23], 0 offset:8 ; 4-byte Folded Spill
	s_nop 0
	buffer_store_dword v1, off, s[20:23], 0 offset:12 ; 4-byte Folded Spill
	v_mov_b32_e32 v0, s4
	v_mad_i32_i24 v58, s7, v11, v0
	v_add_u32_e32 v60, s4, v58
	v_add_u32_e32 v62, s4, v60
	;; [unrolled: 1-line block ×14, first 2 shown]
	s_movk_i32 s4, 0x6200
	buffer_store_dword v0, off, s[20:23], 0 offset:16 ; 4-byte Folded Spill
	s_nop 0
	buffer_store_dword v1, off, s[20:23], 0 offset:20 ; 4-byte Folded Spill
	v_add_u32_e32 v0, v91, v53
	v_and_b32_e32 v1, 0x7f, v0
	v_mul_i32_i24_e32 v2, s7, v1
	buffer_store_dword v2, off, s[20:23], 0 offset:24 ; 4-byte Folded Spill
	s_nop 0
	buffer_store_dword v3, off, s[20:23], 0 offset:28 ; 4-byte Folded Spill
	v_lshrrev_b32_e32 v0, 3, v0
	v_and_b32_e32 v0, 12, v0
	v_lshlrev_b32_e32 v1, 2, v1
	v_add3_u32 v93, v1, v0, s17
	v_and_b32_e32 v0, 3, v53
	v_add_u32_e32 v2, 0xfe, v0
	v_cmp_gt_u32_e32 vcc, 2, v0
	v_lshlrev_b32_e32 v1, 3, v11
	v_cndmask_b32_e32 v2, v2, v0, vcc
	v_add_u32_e32 v8, v5, v1
	v_and_b32_e32 v6, 0xff, v2
	v_cmp_ne_u32_e32 vcc, 0, v0
	v_add_u16_e32 v1, v5, v1
	v_addc_co_u32_e32 v2, vcc, 0, v6, vcc
	v_lshlrev_b32_e32 v117, 1, v6
	v_and_b32_e32 v6, 0x7f, v8
	v_lshlrev_b32_e32 v9, 2, v0
	v_lshrrev_b16_e32 v1, 1, v1
	v_lshl_or_b32 v7, v6, 4, v9
	v_and_b32_e32 v1, 60, v1
	v_add3_u32 v119, v7, v1, s4
	v_xor_b32_e32 v1, 64, v6
	v_mul_i32_i24_e32 v92, s7, v1
	v_lshl_or_b32 v5, v1, 4, v9
	v_lshrrev_b32_e32 v1, 1, v1
	v_and_b32_e32 v1, 60, v1
	v_cmp_lt_u32_e32 vcc, 1, v0
	v_add3_u32 v121, v5, v1, s4
	s_add_i32 s4, s8, -1
	v_mul_i32_i24_e32 v90, s7, v6
	v_cvt_f64_i32_e32 v[6:7], s4
	v_and_b32_e32 v5, 31, v53
	v_lshlrev_b32_e32 v175, 2, v2
	buffer_store_dword v12, off, s[20:23], 0 offset:36 ; 4-byte Folded Spill
	buffer_store_dword v11, off, s[20:23], 0 offset:32 ; 4-byte Folded Spill
	v_and_b32_e32 v4, 4, v3
	v_and_b32_e32 v1, 28, v3
	v_cndmask_b32_e32 v115, 0, v4, vcc
	v_cndmask_b32_e64 v4, 0, 1, vcc
	v_add_co_u32_e32 v94, vcc, s2, v1
	v_and_b32_e32 v1, 63, v8
	v_or_b32_e32 v8, s11, v1
	v_min_i32_e32 v8, s4, v8
	v_mad_u64_u32 v[96:97], s[4:5], v8, s16, v[0:1]
	v_lshl_or_b32 v0, v1, 4, v9
	v_add_u32_e32 v97, 0x6a40, v0
	v_cvt_f64_u32_e32 v[0:1], v12
	v_min_f64 v[0:1], v[0:1], v[6:7]
	v_cvt_i32_f64_e32 v0, v[0:1]
	v_mul_lo_u32 v125, s16, v0
	v_or_b32_e32 v0, v91, v5
	v_mov_b32_e32 v8, 0x4200
	v_lshl_add_u32 v136, v0, 2, v8
	v_add_u32_e32 v0, 8, v12
	v_cvt_f64_u32_e32 v[0:1], v0
	v_min_f64 v[0:1], v[0:1], v[6:7]
	v_cvt_i32_f64_e32 v0, v[0:1]
	v_mul_lo_u32 v137, s16, v0
	v_or_b32_e32 v0, v138, v5
	v_lshl_add_u32 v139, v0, 2, v8
	v_add_u32_e32 v0, 16, v12
	v_cvt_f64_u32_e32 v[0:1], v0
	v_min_f64 v[0:1], v[0:1], v[6:7]
	v_cvt_i32_f64_e32 v0, v[0:1]
	v_mul_lo_u32 v140, s16, v0
	v_or_b32_e32 v0, v141, v5
	;; [unrolled: 7-line block ×7, first 2 shown]
	v_lshl_add_u32 v157, v0, 2, v8
	v_lshlrev_b32_e32 v0, 2, v52
	v_add3_u32 v158, v0, v3, s17
	v_add_u32_e32 v0, 32, v53
	v_lshrrev_b32_e32 v159, 3, v0
	v_lshlrev_b32_e32 v1, 2, v0
	v_and_b32_e32 v0, 60, v159
	v_add3_u32 v160, v3, v0, s17
	v_add_u32_e32 v0, 64, v53
	v_lshlrev_b32_e32 v5, 2, v0
	v_lshrrev_b32_e32 v0, 3, v0
	v_and_b32_e32 v6, 60, v0
	v_add3_u32 v161, v3, v6, s17
	v_add_u32_e32 v6, 0x60, v53
	v_lshlrev_b32_e32 v7, 2, v6
	v_lshrrev_b32_e32 v6, 3, v6
	v_and_b32_e32 v9, 60, v6
	v_add3_u32 v162, v3, v9, s17
	v_mov_b32_e32 v9, 0x1080
	v_mad_u32_u24 v164, v53, s1, v9
	v_mov_b32_e32 v9, 0x2100
	v_mad_u32_u24 v165, v53, s1, v9
	;; [unrolled: 2-line block ×3, first 2 shown]
	s_mov_b32 s1, s0
	v_mov_b32_e32 v9, 0x6a40
	v_pk_mov_b32 v[50:51], s[0:1], s[0:1] op_sel:[0,1]
	v_addc_co_u32_e32 v95, vcc, 0, v10, vcc
	v_lshl_add_u32 v168, v11, 4, v9
	v_lshl_add_u32 v169, v11, 7, v8
	v_lshlrev_b32_e32 v171, 2, v6
	v_lshlrev_b32_e32 v172, 2, v0
	;; [unrolled: 1-line block ×4, first 2 shown]
	s_mov_b32 s1, 0x30303030
	v_lshlrev_b32_e32 v177, 2, v1
	v_lshlrev_b32_e32 v178, 2, v5
	v_lshlrev_b32_e32 v179, 2, v7
	v_lshlrev_b32_e32 v180, 2, v3
	v_pk_mov_b32 v[42:43], v[50:51], v[50:51] op_sel:[0,1]
	v_pk_mov_b32 v[34:35], v[50:51], v[50:51] op_sel:[0,1]
	;; [unrolled: 1-line block ×15, first 2 shown]
.LBB131_5:                              ; =>This Loop Header: Depth=1
                                        ;     Child Loop BB131_6 Depth 2
                                        ;     Child Loop BB131_8 Depth 2
	buffer_load_dword v4, off, s[20:23], 0  ; 4-byte Folded Reload
	buffer_load_dword v5, off, s[20:23], 0 offset:4 ; 4-byte Folded Reload
	s_mul_i32 s4, s0, 0x90
	s_mul_hi_u32 s5, s0, 0x90
	s_add_u32 s4, s14, s4
	s_addc_u32 s5, s15, s5
	v_pk_mov_b32 v[0:1], s[4:5], s[4:5] op_sel:[0,1]
	v_mad_u64_u32 v[2:3], s[4:5], v52, s9, v[0:1]
	s_lshl_b32 s16, s0, 3
	v_add_u32_e32 v111, s16, v96
	s_mov_b32 s18, 0
	s_waitcnt vmcnt(1)
	v_add_co_u32_e32 v2, vcc, v2, v4
	buffer_load_dword v4, off, s[20:23], 0 offset:8 ; 4-byte Folded Reload
	buffer_load_dword v5, off, s[20:23], 0 offset:12 ; 4-byte Folded Reload
	v_addc_co_u32_e32 v3, vcc, 0, v3, vcc
	v_add_co_u32_e32 v2, vcc, 16, v2
	v_addc_co_u32_e32 v3, vcc, 0, v3, vcc
	v_mad_u64_u32 v[18:19], s[4:5], v70, s9, v[2:3]
	v_mad_u64_u32 v[6:7], s[4:5], v58, s9, v[2:3]
	;; [unrolled: 1-line block ×7, first 2 shown]
	s_waitcnt vmcnt(0)
	v_mad_u64_u32 v[4:5], s[4:5], v4, s9, v[2:3]
	global_load_dword v54, v[4:5], off
	global_load_dword v55, v[6:7], off
	;; [unrolled: 1-line block ×7, first 2 shown]
	s_nop 0
	global_load_dword v18, v[18:19], off
	s_nop 0
	buffer_load_dword v88, off, s[20:23], 0 offset:16 ; 4-byte Folded Reload
	buffer_load_dword v89, off, s[20:23], 0 offset:20 ; 4-byte Folded Reload
	v_mad_u64_u32 v[4:5], s[4:5], v72, s9, v[2:3]
	v_mad_u64_u32 v[6:7], s[4:5], v74, s9, v[2:3]
	;; [unrolled: 1-line block ×7, first 2 shown]
	s_waitcnt vmcnt(1)
	v_mad_u64_u32 v[2:3], s[4:5], v88, s9, v[2:3]
	global_load_dword v19, v[4:5], off
	global_load_dword v87, v[6:7], off
	;; [unrolled: 1-line block ×6, first 2 shown]
	s_nop 0
	global_load_dword v16, v[16:17], off
	s_nop 0
	global_load_dword v17, v[2:3], off
	s_nop 0
	buffer_load_dword v2, off, s[20:23], 0 offset:24 ; 4-byte Folded Reload
	buffer_load_dword v3, off, s[20:23], 0 offset:28 ; 4-byte Folded Reload
	v_mad_u64_u32 v[4:5], s[4:5], v90, s9, v[0:1]
	v_add_co_u32_e32 v6, vcc, 4, v4
	v_addc_co_u32_e32 v7, vcc, 0, v5, vcc
	v_add_co_u32_e32 v4, vcc, v6, v175
	v_addc_co_u32_e32 v5, vcc, 0, v7, vcc
	;; [unrolled: 2-line block ×3, first 2 shown]
	v_add_u32_e32 v14, s16, v123
	v_add_u32_e32 v10, v14, v149
	v_add_u32_e32 v12, v14, v152
	v_mad_i64_i32 v[10:11], s[4:5], v10, 36, v[94:95]
	v_mad_i64_i32 v[12:13], s[4:5], v12, 36, v[94:95]
	s_waitcnt vmcnt(0)
	v_mad_u64_u32 v[2:3], s[4:5], v2, s9, v[0:1]
	v_mad_u64_u32 v[0:1], s[4:5], v92, s9, v[0:1]
	v_add_co_u32_e32 v8, vcc, 4, v0
	v_addc_co_u32_e32 v9, vcc, 0, v1, vcc
	v_add_co_u32_e32 v0, vcc, v8, v175
	v_addc_co_u32_e32 v1, vcc, 0, v9, vcc
	;; [unrolled: 2-line block ×3, first 2 shown]
	global_load_dword v100, v[2:3], off
	global_load_dword v101, v[4:5], off
	;; [unrolled: 1-line block ×5, first 2 shown]
	v_add_u32_e32 v0, v14, v125
	v_add_u32_e32 v2, v14, v137
	;; [unrolled: 1-line block ×5, first 2 shown]
	v_mad_i64_i32 v[0:1], s[4:5], v0, 36, v[94:95]
	v_mad_i64_i32 v[2:3], s[4:5], v2, 36, v[94:95]
	;; [unrolled: 1-line block ×5, first 2 shown]
	v_add_u32_e32 v14, v14, v155
	v_mad_i64_i32 v[14:15], s[4:5], v14, 36, v[94:95]
	global_load_dword v105, v[0:1], off offset:4
	s_nop 0
	global_load_dword v2, v[2:3], off offset:4
	s_nop 0
	;; [unrolled: 2-line block ×3, first 2 shown]
	global_load_dword v4, v[6:7], off offset:4
	global_load_dword v5, v[8:9], off offset:4
	s_nop 0
	global_load_dword v6, v[10:11], off offset:4
	global_load_dword v7, v[12:13], off offset:4
	;; [unrolled: 1-line block ×3, first 2 shown]
	v_mad_u64_u32 v[0:1], s[4:5], v111, 36, s[2:3]
	global_load_dword v0, v[0:1], off
	v_add_u32_e32 v1, 0x420, v59
	ds_write_b32 v1, v55
	v_add_u32_e32 v1, 0x840, v59
	ds_write_b32 v1, v56
	;; [unrolled: 2-line block ×4, first 2 shown]
	s_mov_b64 s[4:5], -1
	ds_write_b32 v1, v61
	ds_write_b32 v69, v63
	;; [unrolled: 1-line block ×12, first 2 shown]
	s_waitcnt vmcnt(13)
	ds_write_b32 v93, v100
	s_waitcnt vmcnt(12)
	v_ashrrev_i32_e32 v1, v115, v101
	v_and_b32_e32 v1, 0xf0f0f0f, v1
	s_waitcnt vmcnt(11)
	v_ashrrev_i32_e32 v9, v117, v102
	v_and_or_b32 v1, v9, s1, v1
	ds_write_b32 v119, v1
	s_waitcnt vmcnt(10)
	v_ashrrev_i32_e32 v1, v115, v103
	v_and_b32_e32 v1, 0xf0f0f0f, v1
	s_waitcnt vmcnt(9)
	v_ashrrev_i32_e32 v9, v117, v104
	v_and_or_b32 v1, v9, s1, v1
	ds_write_b32 v121, v1
	s_waitcnt vmcnt(8)
	ds_write_b32 v136, v105
	s_waitcnt vmcnt(7)
	;; [unrolled: 2-line block ×9, first 2 shown]
	ds_write_b32 v97, v0
	s_waitcnt lgkmcnt(0)
	s_barrier
	ds_read_b32 v0, v158
	ds_read_b32 v1, v160 offset:128
	ds_read_b32 v2, v161 offset:256
	;; [unrolled: 1-line block ×3, first 2 shown]
	s_waitcnt lgkmcnt(3)
	v_cvt_f32_f16_e32 v16, v0
	v_cvt_f32_f16_sdwa v18, v0 dst_sel:DWORD dst_unused:UNUSED_PAD src0_sel:WORD_1
	s_waitcnt lgkmcnt(2)
	v_cvt_f32_f16_e32 v98, v1
	v_cvt_f32_f16_sdwa v100, v1 dst_sel:DWORD dst_unused:UNUSED_PAD src0_sel:WORD_1
	;; [unrolled: 3-line block ×4, first 2 shown]
	v_mov_b32_e32 v17, v16
	v_mov_b32_e32 v19, v18
	;; [unrolled: 1-line block ×8, first 2 shown]
.LBB131_6:                              ;   Parent Loop BB131_5 Depth=1
                                        ; =>  This Inner Loop Header: Depth=2
	s_lshl_b32 s17, s18, 1
	s_lshr_b32 s19, s18, 2
	v_or_b32_e32 v0, s17, v91
	s_lshl_b32 s18, s18, 2
	v_lshlrev_b32_e32 v1, 2, v0
	v_lshrrev_b32_e32 v54, 1, v0
	v_add_u32_e32 v63, s18, v163
	ds_read_b128 v[12:15], v1 offset:16896
	ds_read_b128 v[8:11], v1 offset:16912
	ds_read_b128 v[4:7], v1 offset:16928
	ds_read_b128 v[0:3], v1 offset:16944
	ds_read_b64 v[126:127], v54 offset:27200
	ds_read2_b32 v[54:55], v63 offset1:1
	ds_read2_b32 v[56:57], v63 offset0:2 offset1:3
	ds_read2_b32 v[112:113], v63 offset0:4 offset1:5
	;; [unrolled: 1-line block ×3, first 2 shown]
	s_addk_i32 s19, 0x6200
	s_waitcnt lgkmcnt(3)
	v_and_b32_e32 v193, 0xf0f0f0f, v54
	v_lshrrev_b32_e32 v54, 4, v54
	v_and_b32_e32 v192, 0xf0f0f0f, v54
	v_lshrrev_b32_e32 v54, 4, v55
	v_and_b32_e32 v212, 0xf0f0f0f, v54
	s_waitcnt lgkmcnt(2)
	v_lshrrev_b32_e32 v54, 4, v56
	v_add3_u32 v61, s19, v174, v180
	v_and_b32_e32 v213, 0xf0f0f0f, v54
	v_lshrrev_b32_e32 v54, 4, v57
	ds_read_u16 v63, v61
	ds_read_u8 v86, v61 offset:8
	ds_read_u8 v61, v61 offset:9
	v_and_b32_e32 v214, 0xf0f0f0f, v54
	s_waitcnt lgkmcnt(4)
	v_lshrrev_b32_e32 v54, 4, v112
	v_and_b32_e32 v215, 0xf0f0f0f, v54
	v_lshrrev_b32_e32 v54, 4, v113
	v_and_b32_e32 v216, 0xf0f0f0f, v54
	s_waitcnt lgkmcnt(3)
	v_lshrrev_b32_e32 v54, 4, v128
	v_and_b32_e32 v194, 0xf0f0f0f, v55
	v_and_b32_e32 v217, 0xf0f0f0f, v54
	v_lshrrev_b32_e32 v54, 4, v129
	v_add_u32_e32 v55, s18, v164
	v_and_b32_e32 v195, 0xf0f0f0f, v56
	v_and_b32_e32 v196, 0xf0f0f0f, v57
	;; [unrolled: 1-line block ×3, first 2 shown]
	v_add3_u32 v54, s19, v173, v177
	ds_read2_b32 v[56:57], v55 offset1:1
	v_and_b32_e32 v197, 0xf0f0f0f, v112
	v_and_b32_e32 v198, 0xf0f0f0f, v113
	ds_read2_b32 v[112:113], v55 offset0:2 offset1:3
	v_and_b32_e32 v199, 0xf0f0f0f, v128
	v_and_b32_e32 v200, 0xf0f0f0f, v129
	ds_read2_b32 v[128:129], v55 offset0:4 offset1:5
	ds_read2_b32 v[130:131], v55 offset0:6 offset1:7
	s_waitcnt lgkmcnt(4)
	v_cvt_f32_ubyte0_e32 v118, v61
	ds_read_u16 v61, v54
	ds_read_u8 v55, v54 offset:8
	ds_read_u8 v54, v54 offset:9
	s_waitcnt lgkmcnt(6)
	v_and_b32_e32 v190, 0xf0f0f0f, v56
	s_waitcnt lgkmcnt(5)
	v_and_b32_e32 v205, 0xf0f0f0f, v112
	v_and_b32_e32 v206, 0xf0f0f0f, v113
	s_waitcnt lgkmcnt(1)
	v_cvt_f32_ubyte0_e32 v116, v55
	v_lshrrev_b32_e32 v55, 4, v56
	v_lshrrev_b32_e32 v56, 4, v57
	v_and_b32_e32 v221, 0xf0f0f0f, v56
	v_lshrrev_b32_e32 v56, 4, v112
	v_and_b32_e32 v222, 0xf0f0f0f, v56
	;; [unrolled: 2-line block ×7, first 2 shown]
	v_add_u32_e32 v56, s18, v165
	ds_read2_b32 v[112:113], v56 offset1:1
	v_and_b32_e32 v207, 0xf0f0f0f, v128
	v_and_b32_e32 v208, 0xf0f0f0f, v129
	ds_read2_b32 v[128:129], v56 offset0:2 offset1:3
	v_and_b32_e32 v209, 0xf0f0f0f, v130
	v_and_b32_e32 v210, 0xf0f0f0f, v131
	ds_read2_b32 v[130:131], v56 offset0:4 offset1:5
	ds_read2_b32 v[132:133], v56 offset0:6 offset1:7
	v_and_b32_e32 v201, 0xff, v61
	v_lshrrev_b16_e32 v225, 8, v61
	s_waitcnt lgkmcnt(3)
	v_lshrrev_b32_e32 v61, 4, v113
	v_and_b32_e32 v237, 0xf0f0f0f, v61
	s_waitcnt lgkmcnt(2)
	v_lshrrev_b32_e32 v61, 4, v128
	v_and_b32_e32 v238, 0xf0f0f0f, v61
	v_lshrrev_b32_e32 v61, 4, v129
	v_and_b32_e32 v239, 0xf0f0f0f, v61
	s_waitcnt lgkmcnt(1)
	v_lshrrev_b32_e32 v61, 4, v130
	v_and_b32_e32 v240, 0xf0f0f0f, v61
	;; [unrolled: 5-line block ×3, first 2 shown]
	v_lshrrev_b32_e32 v61, 4, v133
	v_cvt_f32_ubyte0_e32 v122, v54
	v_add3_u32 v54, s19, v172, v178
	v_and_b32_e32 v244, 0xf0f0f0f, v61
	v_add_u32_e32 v61, s18, v166
	v_and_b32_e32 v204, 0xf0f0f0f, v57
	v_and_b32_e32 v231, 0xf0f0f0f, v128
	;; [unrolled: 1-line block ×3, first 2 shown]
	ds_read_u16 v56, v54
	ds_read_u8 v57, v54 offset:8
	ds_read_u8 v54, v54 offset:9
	ds_read2_b32 v[128:129], v61 offset1:1
	v_mov_b32_e32 v252, 0
	v_mov_b32_e32 v253, 0
	v_and_b32_e32 v203, 0xf0f0f0f, v112
	v_mov_b32_e32 v255, 0
	s_waitcnt lgkmcnt(1)
	v_cvt_f32_ubyte0_e32 v124, v54
	s_waitcnt lgkmcnt(0)
	v_and_b32_e32 v226, 0xf0f0f0f, v128
	v_mov_b32_e32 v54, 0
	v_dot4c_i32_i8_e32 v252, v193, v12
	v_dot4c_i32_i8_e32 v253, v190, v12
	;; [unrolled: 1-line block ×3, first 2 shown]
	v_and_b32_e32 v230, 0xf0f0f0f, v113
	v_dot4c_i32_i8_e32 v54, v226, v12
	v_and_b32_e32 v245, 0xf0f0f0f, v129
	v_dot4c_i32_i8_e32 v252, v194, v13
	v_dot4c_i32_i8_e32 v253, v204, v13
	;; [unrolled: 1-line block ×4, first 2 shown]
	ds_read2_b32 v[12:13], v61 offset0:2 offset1:3
	v_dot4c_i32_i8_e32 v252, v195, v14
	v_dot4c_i32_i8_e32 v253, v205, v14
	;; [unrolled: 1-line block ×4, first 2 shown]
	s_waitcnt lgkmcnt(0)
	v_and_b32_e32 v246, 0xf0f0f0f, v12
	v_dot4c_i32_i8_e32 v54, v246, v14
	v_and_b32_e32 v247, 0xf0f0f0f, v13
	v_dot4c_i32_i8_e32 v253, v206, v15
	v_dot4c_i32_i8_e32 v255, v232, v15
	;; [unrolled: 1-line block ×3, first 2 shown]
	ds_read2_b32 v[14:15], v61 offset0:4 offset1:5
	v_and_b32_e32 v233, 0xf0f0f0f, v130
	v_dot4c_i32_i8_e32 v252, v197, v8
	v_dot4c_i32_i8_e32 v253, v207, v8
	;; [unrolled: 1-line block ×3, first 2 shown]
	s_waitcnt lgkmcnt(0)
	v_and_b32_e32 v248, 0xf0f0f0f, v14
	v_and_b32_e32 v234, 0xf0f0f0f, v131
	v_dot4c_i32_i8_e32 v54, v248, v8
	v_and_b32_e32 v249, 0xf0f0f0f, v15
	v_dot4c_i32_i8_e32 v252, v198, v9
	v_dot4c_i32_i8_e32 v253, v208, v9
	;; [unrolled: 1-line block ×4, first 2 shown]
	ds_read2_b32 v[8:9], v61 offset0:6 offset1:7
	v_and_b32_e32 v235, 0xf0f0f0f, v132
	v_dot4c_i32_i8_e32 v252, v199, v10
	v_dot4c_i32_i8_e32 v253, v209, v10
	;; [unrolled: 1-line block ×3, first 2 shown]
	s_waitcnt lgkmcnt(0)
	v_and_b32_e32 v250, 0xf0f0f0f, v8
	v_and_b32_e32 v236, 0xf0f0f0f, v133
	;; [unrolled: 1-line block ×3, first 2 shown]
	v_lshrrev_b16_e32 v241, 8, v56
	v_add3_u32 v56, s19, v171, v179
	v_dot4c_i32_i8_e32 v54, v250, v10
	v_and_b32_e32 v251, 0xf0f0f0f, v9
	v_dot4c_i32_i8_e32 v252, v200, v11
	v_dot4c_i32_i8_e32 v253, v210, v11
	;; [unrolled: 1-line block ×4, first 2 shown]
	ds_read_u16 v10, v56
	ds_read_u8 v11, v56 offset:8
	ds_read_u8 v61, v56 offset:9
	v_cvt_f32_ubyte0_e32 v120, v57
	v_lshrrev_b32_e32 v57, 4, v112
	v_mov_b32_e32 v254, 0
	s_waitcnt lgkmcnt(1)
	v_cvt_f32_ubyte0_e32 v112, v11
	v_lshrrev_b32_e32 v11, 4, v128
	v_and_b32_e32 v202, 0xf0f0f0f, v55
	v_mov_b32_e32 v55, 0
	v_and_b32_e32 v220, 0xf0f0f0f, v57
	v_mov_b32_e32 v57, 0
	;; [unrolled: 2-line block ×3, first 2 shown]
	v_dot4c_i32_i8_e32 v254, v192, v4
	v_dot4c_i32_i8_e32 v55, v202, v4
	;; [unrolled: 1-line block ×4, first 2 shown]
	v_lshrrev_b32_e32 v4, 4, v129
	v_and_b32_e32 v189, 0xf0f0f0f, v4
	v_lshrrev_b32_e32 v4, 4, v12
	v_dot4c_i32_i8_e32 v254, v212, v5
	v_dot4c_i32_i8_e32 v55, v221, v5
	v_dot4c_i32_i8_e32 v57, v237, v5
	v_dot4c_i32_i8_e32 v56, v189, v5
	v_and_b32_e32 v187, 0xf0f0f0f, v4
	v_lshrrev_b32_e32 v4, 4, v13
	v_dot4c_i32_i8_e32 v254, v213, v6
	v_dot4c_i32_i8_e32 v55, v222, v6
	v_dot4c_i32_i8_e32 v57, v238, v6
	v_dot4c_i32_i8_e32 v56, v187, v6
	;; [unrolled: 6-line block ×3, first 2 shown]
	v_and_b32_e32 v183, 0xf0f0f0f, v4
	v_dot4c_i32_i8_e32 v254, v215, v0
	v_dot4c_i32_i8_e32 v55, v224, v0
	;; [unrolled: 1-line block ×4, first 2 shown]
	v_lshrrev_b32_e32 v0, 4, v15
	v_and_b32_e32 v184, 0xf0f0f0f, v0
	v_lshrrev_b32_e32 v0, 4, v8
	v_and_b32_e32 v185, 0xf0f0f0f, v0
	v_lshrrev_b32_e32 v0, 4, v9
	v_dot4c_i32_i8_e32 v254, v216, v1
	v_dot4c_i32_i8_e32 v55, v227, v1
	;; [unrolled: 1-line block ×4, first 2 shown]
	v_and_b32_e32 v186, 0xf0f0f0f, v0
	v_or_b32_e32 v0, s17, v138
	v_dot4c_i32_i8_e32 v254, v217, v2
	v_dot4c_i32_i8_e32 v55, v228, v2
	;; [unrolled: 1-line block ×4, first 2 shown]
	s_waitcnt lgkmcnt(0)
	v_cvt_f32_ubyte0_e32 v110, v61
	v_lshlrev_b32_e32 v1, 2, v0
	v_lshrrev_b32_e32 v61, 1, v0
	v_dot4c_i32_i8_e32 v254, v218, v3
	v_dot4c_i32_i8_e32 v55, v229, v3
	;; [unrolled: 1-line block ×3, first 2 shown]
	v_and_b32_e32 v113, 0xff, v10
	v_dot4c_i32_i8_e32 v56, v186, v3
	v_lshrrev_b16_e32 v181, 8, v10
	ds_read_b128 v[12:15], v1 offset:16896
	ds_read_b128 v[8:11], v1 offset:16912
	;; [unrolled: 1-line block ×4, first 2 shown]
	ds_read_b64 v[130:131], v61 offset:27200
	v_mov_b32_e32 v61, 0
	s_waitcnt lgkmcnt(4)
	v_dot4c_i32_i8_e32 v61, v193, v12
	v_and_b32_e32 v191, 0xff, v63
	v_lshrrev_b16_e32 v211, 8, v63
	v_dot4c_i32_i8_e32 v61, v194, v13
	v_mov_b32_e32 v63, 0
	v_dot4c_i32_i8_e32 v61, v195, v14
	s_waitcnt lgkmcnt(2)
	v_dot4c_i32_i8_e32 v63, v192, v4
	v_dot4c_i32_i8_e32 v61, v196, v15
	;; [unrolled: 1-line block ×8, first 2 shown]
	s_waitcnt lgkmcnt(1)
	v_dot4c_i32_i8_e32 v63, v215, v0
	v_dot4c_i32_i8_e32 v61, v200, v11
	;; [unrolled: 1-line block ×5, first 2 shown]
	v_mul_lo_u32 v61, v61, v191
	s_waitcnt lgkmcnt(0)
	v_cvt_f32_f16_e32 v133, v130
	v_cvt_f32_f16_sdwa v135, v130 dst_sel:DWORD dst_unused:UNUSED_PAD src0_sel:WORD_1
	v_cvt_f32_f16_e32 v128, v127
	v_cvt_f32_f16_sdwa v130, v127 dst_sel:DWORD dst_unused:UNUSED_PAD src0_sel:WORD_1
	v_cvt_f32_i32_e32 v127, v61
	v_mul_lo_u32 v61, v254, v211
	v_mul_lo_u32 v63, v63, v211
	v_cvt_f32_i32_e32 v88, v61
	v_mov_b32_e32 v61, 0
	v_cvt_f32_ubyte0_e32 v114, v86
	v_cvt_f32_f16_sdwa v134, v126 dst_sel:DWORD dst_unused:UNUSED_PAD src0_sel:WORD_1
	v_mul_lo_u32 v86, v252, v191
	v_cvt_f32_i32_e32 v89, v63
	v_dot4c_i32_i8_e32 v61, v190, v12
	v_mov_b32_e32 v63, 0
	v_cvt_f32_f16_e32 v132, v126
	v_cvt_f32_f16_e32 v129, v131
	v_cvt_f32_f16_sdwa v131, v131 dst_sel:DWORD dst_unused:UNUSED_PAD src0_sel:WORD_1
	v_cvt_f32_i32_e32 v126, v86
	v_dot4c_i32_i8_e32 v61, v204, v13
	v_dot4c_i32_i8_e32 v63, v202, v4
	;; [unrolled: 1-line block ×6, first 2 shown]
	v_pk_fma_f32 v[86:87], v[114:115], v[134:135], 0 op_sel_hi:[0,1,0]
	v_dot4c_i32_i8_e32 v61, v207, v8
	v_dot4c_i32_i8_e32 v63, v223, v7
	v_pk_fma_f32 v[126:127], v[132:133], v[126:127], 0 op_sel_hi:[1,1,0]
	v_pk_fma_f32 v[86:87], v[118:119], v[130:131], v[86:87] op_sel_hi:[0,1,1]
	v_dot4c_i32_i8_e32 v61, v208, v9
	v_dot4c_i32_i8_e32 v63, v224, v0
	v_mul_lo_u32 v55, v55, v225
	v_pk_fma_f32 v[88:89], v[128:129], v[88:89], v[126:127]
	v_pk_mul_f32 v[86:87], v[86:87], v[18:19]
	v_dot4c_i32_i8_e32 v61, v209, v10
	v_dot4c_i32_i8_e32 v63, v227, v1
	v_cvt_f32_i32_e32 v126, v55
	v_mov_b32_e32 v55, 0
	v_pk_fma_f32 v[86:87], v[88:89], v[16:17], v[86:87] neg_lo:[0,0,1] neg_hi:[0,0,1]
	v_dot4c_i32_i8_e32 v61, v210, v11
	v_dot4c_i32_i8_e32 v63, v228, v2
	;; [unrolled: 1-line block ×3, first 2 shown]
	v_pk_add_f32 v[50:51], v[50:51], v[86:87]
	v_dot4c_i32_i8_e32 v63, v229, v3
	v_mul_lo_u32 v86, v253, v201
	v_mul_lo_u32 v61, v61, v201
	v_dot4c_i32_i8_e32 v55, v230, v13
	v_cvt_f32_i32_e32 v87, v61
	v_cvt_f32_i32_e32 v86, v86
	v_mul_lo_u32 v61, v63, v225
	v_dot4c_i32_i8_e32 v55, v231, v14
	v_cvt_f32_i32_e32 v127, v61
	v_dot4c_i32_i8_e32 v55, v232, v15
	v_dot4c_i32_i8_e32 v55, v233, v8
	v_pk_fma_f32 v[88:89], v[116:117], v[134:135], 0 op_sel_hi:[0,1,0]
	v_dot4c_i32_i8_e32 v55, v234, v9
	v_pk_fma_f32 v[86:87], v[132:133], v[86:87], 0 op_sel_hi:[1,1,0]
	v_pk_fma_f32 v[88:89], v[122:123], v[130:131], v[88:89] op_sel_hi:[0,1,1]
	v_dot4c_i32_i8_e32 v55, v235, v10
	v_pk_fma_f32 v[86:87], v[128:129], v[126:127], v[86:87]
	v_pk_mul_f32 v[88:89], v[88:89], v[100:101]
	v_dot4c_i32_i8_e32 v55, v236, v11
	v_pk_fma_f32 v[86:87], v[86:87], v[98:99], v[88:89] neg_lo:[0,0,1] neg_hi:[0,0,1]
	v_pk_add_f32 v[48:49], v[48:49], v[86:87]
	v_mov_b32_e32 v61, 0
	v_mul_lo_u32 v55, v55, v219
	v_cvt_f32_i32_e32 v87, v55
	v_mul_lo_u32 v55, v57, v241
	v_cvt_f32_i32_e32 v126, v55
	v_mov_b32_e32 v55, 0
	v_dot4c_i32_i8_e32 v55, v226, v12
	v_dot4c_i32_i8_e32 v55, v245, v13
	v_dot4c_i32_i8_e32 v55, v246, v14
	v_dot4c_i32_i8_e32 v55, v247, v15
	v_dot4c_i32_i8_e32 v55, v248, v8
	v_mov_b32_e32 v8, 0
	v_dot4c_i32_i8_e32 v8, v188, v4
	v_dot4c_i32_i8_e32 v8, v189, v5
	;; [unrolled: 1-line block ×17, first 2 shown]
	v_mul_lo_u32 v0, v54, v113
	v_mul_lo_u32 v1, v55, v113
	v_cvt_f32_i32_e32 v1, v1
	v_cvt_f32_i32_e32 v0, v0
	v_mul_lo_u32 v4, v56, v181
	v_mul_lo_u32 v5, v8, v181
	v_cvt_f32_i32_e32 v5, v5
	v_cvt_f32_i32_e32 v4, v4
	v_dot4c_i32_i8_e32 v61, v243, v2
	v_dot4c_i32_i8_e32 v61, v244, v3
	v_mul_lo_u32 v63, v255, v219
	v_pk_fma_f32 v[2:3], v[112:113], v[134:135], 0 op_sel_hi:[0,1,0]
	v_cvt_f32_i32_e32 v86, v63
	v_mul_lo_u32 v57, v61, v241
	v_pk_fma_f32 v[0:1], v[132:133], v[0:1], 0 op_sel_hi:[1,1,0]
	v_pk_fma_f32 v[2:3], v[110:111], v[130:131], v[2:3] op_sel_hi:[0,1,1]
	v_cvt_f32_i32_e32 v127, v57
	v_pk_fma_f32 v[0:1], v[128:129], v[4:5], v[0:1]
	v_pk_mul_f32 v[2:3], v[2:3], v[108:109]
	v_pk_fma_f32 v[0:1], v[0:1], v[106:107], v[2:3] neg_lo:[0,0,1] neg_hi:[0,0,1]
	v_pk_add_f32 v[44:45], v[44:45], v[0:1]
	v_or_b32_e32 v0, s17, v141
	v_pk_fma_f32 v[86:87], v[132:133], v[86:87], 0 op_sel_hi:[1,1,0]
	v_lshlrev_b32_e32 v1, 2, v0
	v_pk_fma_f32 v[86:87], v[128:129], v[126:127], v[86:87]
	v_lshrrev_b32_e32 v54, 1, v0
	ds_read_b128 v[12:15], v1 offset:16896
	ds_read_b128 v[8:11], v1 offset:16912
	;; [unrolled: 1-line block ×4, first 2 shown]
	ds_read_b64 v[126:127], v54 offset:27200
	v_mov_b32_e32 v61, 0
	v_mov_b32_e32 v63, 0
	;; [unrolled: 1-line block ×8, first 2 shown]
	s_waitcnt lgkmcnt(4)
	v_dot4c_i32_i8_e32 v61, v193, v12
	s_waitcnt lgkmcnt(2)
	v_dot4c_i32_i8_e32 v63, v192, v4
	v_dot4c_i32_i8_e32 v252, v190, v12
	;; [unrolled: 1-line block ×15, first 2 shown]
	v_pk_fma_f32 v[88:89], v[120:121], v[134:135], 0 op_sel_hi:[0,1,0]
	v_dot4c_i32_i8_e32 v61, v195, v14
	v_dot4c_i32_i8_e32 v63, v213, v6
	;; [unrolled: 1-line block ×8, first 2 shown]
	v_pk_fma_f32 v[88:89], v[124:125], v[130:131], v[88:89] op_sel_hi:[0,1,1]
	v_dot4c_i32_i8_e32 v61, v196, v15
	v_dot4c_i32_i8_e32 v63, v214, v7
	;; [unrolled: 1-line block ×8, first 2 shown]
	v_pk_mul_f32 v[88:89], v[88:89], v[104:105]
	v_dot4c_i32_i8_e32 v61, v197, v8
	s_waitcnt lgkmcnt(1)
	v_dot4c_i32_i8_e32 v63, v215, v0
	v_dot4c_i32_i8_e32 v252, v207, v8
	;; [unrolled: 1-line block ×7, first 2 shown]
	v_pk_fma_f32 v[86:87], v[86:87], v[102:103], v[88:89] neg_lo:[0,0,1] neg_hi:[0,0,1]
	v_dot4c_i32_i8_e32 v61, v198, v9
	v_dot4c_i32_i8_e32 v63, v216, v1
	;; [unrolled: 1-line block ×8, first 2 shown]
	v_or_b32_e32 v0, s17, v144
	v_pk_add_f32 v[46:47], v[46:47], v[86:87]
	v_dot4c_i32_i8_e32 v61, v199, v10
	v_dot4c_i32_i8_e32 v63, v217, v2
	;; [unrolled: 1-line block ×8, first 2 shown]
	v_lshlrev_b32_e32 v1, 2, v0
	v_lshrrev_b32_e32 v86, 1, v0
	v_dot4c_i32_i8_e32 v61, v200, v11
	v_dot4c_i32_i8_e32 v63, v218, v3
	;; [unrolled: 1-line block ×8, first 2 shown]
	ds_read_b128 v[12:15], v1 offset:16896
	ds_read_b128 v[8:11], v1 offset:16912
	;; [unrolled: 1-line block ×4, first 2 shown]
	ds_read_b64 v[86:87], v86 offset:27200
	v_mov_b32_e32 v88, 0
	s_waitcnt lgkmcnt(4)
	v_dot4c_i32_i8_e32 v88, v193, v12
	v_dot4c_i32_i8_e32 v88, v194, v13
	;; [unrolled: 1-line block ×3, first 2 shown]
	v_mov_b32_e32 v254, 0
	v_dot4c_i32_i8_e32 v88, v196, v15
	s_waitcnt lgkmcnt(2)
	v_dot4c_i32_i8_e32 v254, v192, v4
	v_dot4c_i32_i8_e32 v88, v197, v8
	v_dot4c_i32_i8_e32 v254, v212, v5
	v_dot4c_i32_i8_e32 v88, v198, v9
	v_dot4c_i32_i8_e32 v254, v213, v6
	v_dot4c_i32_i8_e32 v88, v199, v10
	v_dot4c_i32_i8_e32 v254, v214, v7
	v_dot4c_i32_i8_e32 v88, v200, v11
	s_waitcnt lgkmcnt(1)
	v_dot4c_i32_i8_e32 v254, v215, v0
	v_dot4c_i32_i8_e32 v254, v216, v1
	s_waitcnt lgkmcnt(0)
	v_cvt_f32_f16_e32 v133, v86
	v_cvt_f32_f16_sdwa v135, v86 dst_sel:DWORD dst_unused:UNUSED_PAD src0_sel:WORD_1
	v_mul_lo_u32 v61, v61, v191
	v_mul_lo_u32 v86, v88, v191
	v_dot4c_i32_i8_e32 v254, v217, v2
	v_cvt_f32_f16_e32 v129, v87
	v_cvt_f32_f16_sdwa v131, v87 dst_sel:DWORD dst_unused:UNUSED_PAD src0_sel:WORD_1
	v_cvt_f32_i32_e32 v87, v86
	v_cvt_f32_i32_e32 v86, v61
	v_mul_lo_u32 v61, v63, v211
	v_dot4c_i32_i8_e32 v254, v218, v3
	v_cvt_f32_f16_e32 v132, v126
	v_cvt_f32_f16_sdwa v134, v126 dst_sel:DWORD dst_unused:UNUSED_PAD src0_sel:WORD_1
	v_cvt_f32_i32_e32 v126, v61
	v_mov_b32_e32 v61, 0
	v_mul_lo_u32 v63, v254, v211
	v_dot4c_i32_i8_e32 v61, v190, v12
	v_cvt_f32_f16_e32 v128, v127
	v_cvt_f32_f16_sdwa v130, v127 dst_sel:DWORD dst_unused:UNUSED_PAD src0_sel:WORD_1
	v_cvt_f32_i32_e32 v127, v63
	v_dot4c_i32_i8_e32 v61, v204, v13
	v_mov_b32_e32 v63, 0
	v_dot4c_i32_i8_e32 v61, v205, v14
	v_dot4c_i32_i8_e32 v63, v202, v4
	;; [unrolled: 1-line block ×6, first 2 shown]
	v_pk_fma_f32 v[88:89], v[114:115], v[134:135], 0 op_sel_hi:[0,1,0]
	v_dot4c_i32_i8_e32 v61, v208, v9
	v_dot4c_i32_i8_e32 v63, v223, v7
	v_pk_fma_f32 v[86:87], v[86:87], v[132:133], 0 op_sel_hi:[1,1,0]
	v_pk_fma_f32 v[88:89], v[118:119], v[130:131], v[88:89] op_sel_hi:[0,1,1]
	v_dot4c_i32_i8_e32 v61, v209, v10
	v_dot4c_i32_i8_e32 v63, v224, v0
	v_pk_fma_f32 v[86:87], v[126:127], v[128:129], v[86:87]
	v_pk_mul_f32 v[88:89], v[88:89], v[18:19]
	v_dot4c_i32_i8_e32 v61, v210, v11
	v_dot4c_i32_i8_e32 v63, v227, v1
	v_pk_fma_f32 v[86:87], v[86:87], v[16:17], v[88:89] neg_lo:[0,0,1] neg_hi:[0,0,1]
	v_dot4c_i32_i8_e32 v63, v228, v2
	v_mul_lo_u32 v61, v61, v201
	v_pk_add_f32 v[42:43], v[42:43], v[86:87]
	v_dot4c_i32_i8_e32 v63, v229, v3
	v_cvt_f32_i32_e32 v87, v61
	v_mul_lo_u32 v61, v253, v225
	v_cvt_f32_i32_e32 v126, v61
	v_mul_lo_u32 v63, v63, v225
	v_mov_b32_e32 v61, 0
	v_cvt_f32_i32_e32 v127, v63
	v_dot4c_i32_i8_e32 v61, v203, v12
	v_mov_b32_e32 v63, 0
	v_mul_lo_u32 v86, v252, v201
	v_dot4c_i32_i8_e32 v61, v230, v13
	v_dot4c_i32_i8_e32 v63, v220, v4
	v_cvt_f32_i32_e32 v86, v86
	v_dot4c_i32_i8_e32 v61, v231, v14
	v_dot4c_i32_i8_e32 v63, v237, v5
	v_dot4c_i32_i8_e32 v61, v232, v15
	v_dot4c_i32_i8_e32 v63, v238, v6
	v_dot4c_i32_i8_e32 v61, v233, v8
	v_dot4c_i32_i8_e32 v63, v239, v7
	v_pk_fma_f32 v[88:89], v[116:117], v[134:135], 0 op_sel_hi:[0,1,0]
	v_dot4c_i32_i8_e32 v61, v234, v9
	v_dot4c_i32_i8_e32 v63, v240, v0
	v_pk_fma_f32 v[86:87], v[86:87], v[132:133], 0 op_sel_hi:[1,1,0]
	v_pk_fma_f32 v[88:89], v[122:123], v[130:131], v[88:89] op_sel_hi:[0,1,1]
	v_dot4c_i32_i8_e32 v61, v235, v10
	v_dot4c_i32_i8_e32 v63, v242, v1
	v_pk_fma_f32 v[86:87], v[126:127], v[128:129], v[86:87]
	v_pk_mul_f32 v[88:89], v[88:89], v[100:101]
	v_dot4c_i32_i8_e32 v61, v236, v11
	v_dot4c_i32_i8_e32 v63, v243, v2
	v_pk_fma_f32 v[86:87], v[86:87], v[98:99], v[88:89] neg_lo:[0,0,1] neg_hi:[0,0,1]
	v_dot4c_i32_i8_e32 v63, v244, v3
	v_mul_lo_u32 v56, v56, v219
	v_mul_lo_u32 v61, v61, v219
	v_pk_add_f32 v[40:41], v[40:41], v[86:87]
	v_cvt_f32_i32_e32 v87, v61
	v_cvt_f32_i32_e32 v86, v56
	v_mul_lo_u32 v56, v57, v241
	v_mul_lo_u32 v57, v63, v241
	v_cvt_f32_i32_e32 v57, v57
	v_cvt_f32_i32_e32 v56, v56
	v_pk_fma_f32 v[86:87], v[86:87], v[132:133], 0 op_sel_hi:[1,1,0]
	v_pk_fma_f32 v[88:89], v[120:121], v[134:135], 0 op_sel_hi:[0,1,0]
	v_mov_b32_e32 v61, 0
	v_pk_fma_f32 v[56:57], v[56:57], v[128:129], v[86:87]
	v_pk_fma_f32 v[86:87], v[124:125], v[130:131], v[88:89] op_sel_hi:[0,1,1]
	v_pk_mul_f32 v[86:87], v[86:87], v[104:105]
	v_pk_fma_f32 v[56:57], v[56:57], v[102:103], v[86:87] neg_lo:[0,0,1] neg_hi:[0,0,1]
	v_pk_add_f32 v[38:39], v[38:39], v[56:57]
	v_mov_b32_e32 v56, 0
	v_dot4c_i32_i8_e32 v56, v226, v12
	v_dot4c_i32_i8_e32 v56, v245, v13
	;; [unrolled: 1-line block ×5, first 2 shown]
	v_mov_b32_e32 v8, 0
	v_dot4c_i32_i8_e32 v8, v188, v4
	v_dot4c_i32_i8_e32 v8, v189, v5
	;; [unrolled: 1-line block ×11, first 2 shown]
	v_mul_lo_u32 v0, v54, v113
	v_mul_lo_u32 v1, v56, v113
	v_cvt_f32_i32_e32 v1, v1
	v_cvt_f32_i32_e32 v0, v0
	v_mul_lo_u32 v4, v55, v181
	v_mul_lo_u32 v5, v8, v181
	v_cvt_f32_i32_e32 v5, v5
	v_cvt_f32_i32_e32 v4, v4
	v_pk_fma_f32 v[2:3], v[112:113], v[134:135], 0 op_sel_hi:[0,1,0]
	v_pk_fma_f32 v[0:1], v[0:1], v[132:133], 0 op_sel_hi:[1,1,0]
	;; [unrolled: 1-line block ×3, first 2 shown]
	v_pk_fma_f32 v[0:1], v[4:5], v[128:129], v[0:1]
	v_pk_mul_f32 v[2:3], v[2:3], v[108:109]
	v_pk_fma_f32 v[0:1], v[0:1], v[106:107], v[2:3] neg_lo:[0,0,1] neg_hi:[0,0,1]
	v_pk_add_f32 v[36:37], v[36:37], v[0:1]
	v_or_b32_e32 v0, s17, v147
	v_lshlrev_b32_e32 v1, 2, v0
	v_lshrrev_b32_e32 v54, 1, v0
	ds_read_b128 v[12:15], v1 offset:16896
	ds_read_b128 v[8:11], v1 offset:16912
	;; [unrolled: 1-line block ×4, first 2 shown]
	ds_read_b64 v[126:127], v54 offset:27200
	v_mov_b32_e32 v63, 0
	v_mov_b32_e32 v252, 0
	;; [unrolled: 1-line block ×7, first 2 shown]
	s_waitcnt lgkmcnt(4)
	v_dot4c_i32_i8_e32 v61, v193, v12
	s_waitcnt lgkmcnt(2)
	v_dot4c_i32_i8_e32 v63, v192, v4
	v_dot4c_i32_i8_e32 v252, v190, v12
	;; [unrolled: 1-line block ×32, first 2 shown]
	s_waitcnt lgkmcnt(1)
	v_dot4c_i32_i8_e32 v63, v215, v0
	v_dot4c_i32_i8_e32 v252, v207, v8
	;; [unrolled: 1-line block ×15, first 2 shown]
	v_or_b32_e32 v0, s17, v150
	v_dot4c_i32_i8_e32 v61, v199, v10
	v_dot4c_i32_i8_e32 v63, v217, v2
	;; [unrolled: 1-line block ×8, first 2 shown]
	v_lshlrev_b32_e32 v1, 2, v0
	v_lshrrev_b32_e32 v86, 1, v0
	v_dot4c_i32_i8_e32 v61, v200, v11
	v_dot4c_i32_i8_e32 v63, v218, v3
	;; [unrolled: 1-line block ×8, first 2 shown]
	ds_read_b128 v[12:15], v1 offset:16896
	ds_read_b128 v[8:11], v1 offset:16912
	;; [unrolled: 1-line block ×4, first 2 shown]
	ds_read_b64 v[86:87], v86 offset:27200
	v_mov_b32_e32 v88, 0
	s_waitcnt lgkmcnt(4)
	v_dot4c_i32_i8_e32 v88, v193, v12
	v_dot4c_i32_i8_e32 v88, v194, v13
	;; [unrolled: 1-line block ×3, first 2 shown]
	v_mov_b32_e32 v254, 0
	v_dot4c_i32_i8_e32 v88, v196, v15
	s_waitcnt lgkmcnt(2)
	v_dot4c_i32_i8_e32 v254, v192, v4
	v_dot4c_i32_i8_e32 v88, v197, v8
	v_dot4c_i32_i8_e32 v254, v212, v5
	v_dot4c_i32_i8_e32 v88, v198, v9
	v_dot4c_i32_i8_e32 v254, v213, v6
	v_dot4c_i32_i8_e32 v88, v199, v10
	v_dot4c_i32_i8_e32 v254, v214, v7
	v_dot4c_i32_i8_e32 v88, v200, v11
	s_waitcnt lgkmcnt(1)
	v_dot4c_i32_i8_e32 v254, v215, v0
	v_dot4c_i32_i8_e32 v254, v216, v1
	s_waitcnt lgkmcnt(0)
	v_cvt_f32_f16_e32 v133, v86
	v_cvt_f32_f16_sdwa v135, v86 dst_sel:DWORD dst_unused:UNUSED_PAD src0_sel:WORD_1
	v_mul_lo_u32 v61, v61, v191
	v_mul_lo_u32 v86, v88, v191
	v_dot4c_i32_i8_e32 v254, v217, v2
	v_cvt_f32_f16_e32 v129, v87
	v_cvt_f32_f16_sdwa v131, v87 dst_sel:DWORD dst_unused:UNUSED_PAD src0_sel:WORD_1
	v_cvt_f32_i32_e32 v87, v86
	v_cvt_f32_i32_e32 v86, v61
	v_mul_lo_u32 v61, v63, v211
	v_dot4c_i32_i8_e32 v254, v218, v3
	v_cvt_f32_f16_e32 v132, v126
	v_cvt_f32_f16_sdwa v134, v126 dst_sel:DWORD dst_unused:UNUSED_PAD src0_sel:WORD_1
	v_cvt_f32_i32_e32 v126, v61
	v_mov_b32_e32 v61, 0
	v_mul_lo_u32 v63, v254, v211
	v_dot4c_i32_i8_e32 v61, v190, v12
	v_cvt_f32_f16_e32 v128, v127
	v_cvt_f32_f16_sdwa v130, v127 dst_sel:DWORD dst_unused:UNUSED_PAD src0_sel:WORD_1
	v_cvt_f32_i32_e32 v127, v63
	v_dot4c_i32_i8_e32 v61, v204, v13
	v_mov_b32_e32 v63, 0
	v_dot4c_i32_i8_e32 v61, v205, v14
	v_dot4c_i32_i8_e32 v63, v202, v4
	;; [unrolled: 1-line block ×6, first 2 shown]
	v_pk_fma_f32 v[88:89], v[114:115], v[134:135], 0 op_sel_hi:[0,1,0]
	v_dot4c_i32_i8_e32 v61, v208, v9
	v_dot4c_i32_i8_e32 v63, v223, v7
	v_pk_fma_f32 v[86:87], v[86:87], v[132:133], 0 op_sel_hi:[1,1,0]
	v_pk_fma_f32 v[88:89], v[118:119], v[130:131], v[88:89] op_sel_hi:[0,1,1]
	v_dot4c_i32_i8_e32 v61, v209, v10
	v_dot4c_i32_i8_e32 v63, v224, v0
	v_pk_fma_f32 v[86:87], v[126:127], v[128:129], v[86:87]
	v_pk_mul_f32 v[88:89], v[88:89], v[18:19]
	v_dot4c_i32_i8_e32 v61, v210, v11
	v_dot4c_i32_i8_e32 v63, v227, v1
	v_pk_fma_f32 v[86:87], v[86:87], v[16:17], v[88:89] neg_lo:[0,0,1] neg_hi:[0,0,1]
	v_dot4c_i32_i8_e32 v63, v228, v2
	v_mul_lo_u32 v61, v61, v201
	v_pk_add_f32 v[34:35], v[34:35], v[86:87]
	v_dot4c_i32_i8_e32 v63, v229, v3
	v_cvt_f32_i32_e32 v87, v61
	v_mul_lo_u32 v61, v253, v225
	v_cvt_f32_i32_e32 v126, v61
	v_mul_lo_u32 v63, v63, v225
	v_mov_b32_e32 v61, 0
	v_cvt_f32_i32_e32 v127, v63
	v_dot4c_i32_i8_e32 v61, v203, v12
	v_mov_b32_e32 v63, 0
	v_mul_lo_u32 v86, v252, v201
	v_dot4c_i32_i8_e32 v61, v230, v13
	v_dot4c_i32_i8_e32 v63, v220, v4
	v_cvt_f32_i32_e32 v86, v86
	v_dot4c_i32_i8_e32 v61, v231, v14
	v_dot4c_i32_i8_e32 v63, v237, v5
	;; [unrolled: 1-line block ×6, first 2 shown]
	v_pk_fma_f32 v[88:89], v[116:117], v[134:135], 0 op_sel_hi:[0,1,0]
	v_dot4c_i32_i8_e32 v61, v234, v9
	v_dot4c_i32_i8_e32 v63, v240, v0
	v_pk_fma_f32 v[86:87], v[86:87], v[132:133], 0 op_sel_hi:[1,1,0]
	v_pk_fma_f32 v[88:89], v[122:123], v[130:131], v[88:89] op_sel_hi:[0,1,1]
	v_dot4c_i32_i8_e32 v61, v235, v10
	v_dot4c_i32_i8_e32 v63, v242, v1
	v_pk_fma_f32 v[86:87], v[126:127], v[128:129], v[86:87]
	v_pk_mul_f32 v[88:89], v[88:89], v[100:101]
	v_dot4c_i32_i8_e32 v61, v236, v11
	v_dot4c_i32_i8_e32 v63, v243, v2
	v_pk_fma_f32 v[86:87], v[86:87], v[98:99], v[88:89] neg_lo:[0,0,1] neg_hi:[0,0,1]
	v_dot4c_i32_i8_e32 v63, v244, v3
	v_mul_lo_u32 v56, v56, v219
	v_mul_lo_u32 v61, v61, v219
	v_pk_add_f32 v[32:33], v[32:33], v[86:87]
	v_cvt_f32_i32_e32 v87, v61
	v_cvt_f32_i32_e32 v86, v56
	v_mul_lo_u32 v56, v57, v241
	v_mul_lo_u32 v57, v63, v241
	v_cvt_f32_i32_e32 v57, v57
	v_cvt_f32_i32_e32 v56, v56
	v_pk_fma_f32 v[86:87], v[86:87], v[132:133], 0 op_sel_hi:[1,1,0]
	v_pk_fma_f32 v[88:89], v[120:121], v[134:135], 0 op_sel_hi:[0,1,0]
	v_mov_b32_e32 v61, 0
	v_pk_fma_f32 v[56:57], v[56:57], v[128:129], v[86:87]
	v_pk_fma_f32 v[86:87], v[124:125], v[130:131], v[88:89] op_sel_hi:[0,1,1]
	v_pk_mul_f32 v[86:87], v[86:87], v[104:105]
	v_pk_fma_f32 v[56:57], v[56:57], v[102:103], v[86:87] neg_lo:[0,0,1] neg_hi:[0,0,1]
	v_pk_add_f32 v[30:31], v[30:31], v[56:57]
	v_mov_b32_e32 v56, 0
	v_dot4c_i32_i8_e32 v56, v226, v12
	v_dot4c_i32_i8_e32 v56, v245, v13
	;; [unrolled: 1-line block ×5, first 2 shown]
	v_mov_b32_e32 v8, 0
	v_dot4c_i32_i8_e32 v8, v188, v4
	v_dot4c_i32_i8_e32 v8, v189, v5
	;; [unrolled: 1-line block ×11, first 2 shown]
	v_mul_lo_u32 v0, v54, v113
	v_mul_lo_u32 v1, v56, v113
	v_cvt_f32_i32_e32 v1, v1
	v_cvt_f32_i32_e32 v0, v0
	v_mul_lo_u32 v4, v55, v181
	v_mul_lo_u32 v5, v8, v181
	v_cvt_f32_i32_e32 v5, v5
	v_cvt_f32_i32_e32 v4, v4
	v_pk_fma_f32 v[2:3], v[112:113], v[134:135], 0 op_sel_hi:[0,1,0]
	v_pk_fma_f32 v[0:1], v[0:1], v[132:133], 0 op_sel_hi:[1,1,0]
	;; [unrolled: 1-line block ×3, first 2 shown]
	v_pk_fma_f32 v[0:1], v[4:5], v[128:129], v[0:1]
	v_pk_mul_f32 v[2:3], v[2:3], v[108:109]
	v_pk_fma_f32 v[0:1], v[0:1], v[106:107], v[2:3] neg_lo:[0,0,1] neg_hi:[0,0,1]
	v_pk_add_f32 v[28:29], v[28:29], v[0:1]
	v_or_b32_e32 v0, s17, v153
	v_lshlrev_b32_e32 v1, 2, v0
	v_lshrrev_b32_e32 v54, 1, v0
	ds_read_b128 v[12:15], v1 offset:16896
	ds_read_b128 v[8:11], v1 offset:16912
	;; [unrolled: 1-line block ×4, first 2 shown]
	ds_read_b64 v[134:135], v54 offset:27200
	v_mov_b32_e32 v63, 0
	v_mov_b32_e32 v254, 0
	;; [unrolled: 1-line block ×7, first 2 shown]
	s_waitcnt lgkmcnt(4)
	v_dot4c_i32_i8_e32 v61, v193, v12
	s_waitcnt lgkmcnt(2)
	v_dot4c_i32_i8_e32 v63, v192, v4
	v_dot4c_i32_i8_e32 v254, v190, v12
	;; [unrolled: 1-line block ×32, first 2 shown]
	s_waitcnt lgkmcnt(1)
	v_dot4c_i32_i8_e32 v63, v215, v0
	v_dot4c_i32_i8_e32 v254, v207, v8
	;; [unrolled: 1-line block ×15, first 2 shown]
	v_or_b32_e32 v0, s17, v156
	v_dot4c_i32_i8_e32 v61, v199, v10
	v_dot4c_i32_i8_e32 v63, v217, v2
	;; [unrolled: 1-line block ×8, first 2 shown]
	v_lshlrev_b32_e32 v1, 2, v0
	v_lshrrev_b32_e32 v56, 1, v0
	v_dot4c_i32_i8_e32 v61, v200, v11
	v_dot4c_i32_i8_e32 v63, v218, v3
	;; [unrolled: 1-line block ×8, first 2 shown]
	ds_read_b128 v[12:15], v1 offset:16896
	ds_read_b128 v[8:11], v1 offset:16912
	;; [unrolled: 1-line block ×4, first 2 shown]
	ds_read_b64 v[56:57], v56 offset:27200
	v_mov_b32_e32 v86, 0
	s_waitcnt lgkmcnt(4)
	v_dot4c_i32_i8_e32 v86, v193, v12
	v_mov_b32_e32 v88, 0
	v_dot4c_i32_i8_e32 v86, v194, v13
	s_waitcnt lgkmcnt(2)
	v_dot4c_i32_i8_e32 v88, v192, v4
	v_dot4c_i32_i8_e32 v86, v195, v14
	;; [unrolled: 1-line block ×8, first 2 shown]
	s_waitcnt lgkmcnt(1)
	v_dot4c_i32_i8_e32 v88, v215, v0
	v_dot4c_i32_i8_e32 v86, v199, v10
	;; [unrolled: 1-line block ×6, first 2 shown]
	s_waitcnt lgkmcnt(0)
	v_cvt_f32_f16_e32 v133, v56
	v_cvt_f32_f16_sdwa v131, v56 dst_sel:DWORD dst_unused:UNUSED_PAD src0_sel:WORD_1
	v_cvt_f32_f16_sdwa v130, v134 dst_sel:DWORD dst_unused:UNUSED_PAD src0_sel:WORD_1
	v_cvt_f32_f16_e32 v129, v57
	v_cvt_f32_f16_sdwa v127, v57 dst_sel:DWORD dst_unused:UNUSED_PAD src0_sel:WORD_1
	v_mul_lo_u32 v56, v61, v191
	v_mul_lo_u32 v57, v86, v191
	v_cvt_f32_f16_e32 v132, v134
	v_cvt_f32_f16_sdwa v126, v135 dst_sel:DWORD dst_unused:UNUSED_PAD src0_sel:WORD_1
	v_cvt_f32_i32_e32 v57, v57
	v_cvt_f32_i32_e32 v56, v56
	v_mul_lo_u32 v61, v63, v211
	v_mul_lo_u32 v63, v88, v211
	v_cvt_f32_f16_e32 v128, v135
	v_cvt_f32_i32_e32 v89, v63
	v_cvt_f32_i32_e32 v88, v61
	v_pk_fma_f32 v[86:87], v[114:115], v[130:131], 0 op_sel_hi:[0,1,0]
	v_pk_fma_f32 v[56:57], v[56:57], v[132:133], 0 op_sel_hi:[1,1,0]
	;; [unrolled: 1-line block ×3, first 2 shown]
	v_pk_fma_f32 v[56:57], v[88:89], v[128:129], v[56:57]
	v_pk_mul_f32 v[86:87], v[86:87], v[18:19]
	v_pk_fma_f32 v[56:57], v[56:57], v[16:17], v[86:87] neg_lo:[0,0,1] neg_hi:[0,0,1]
	v_pk_add_f32 v[26:27], v[26:27], v[56:57]
	v_mov_b32_e32 v56, 0
	v_dot4c_i32_i8_e32 v56, v190, v12
	v_mov_b32_e32 v61, 0
	v_dot4c_i32_i8_e32 v56, v204, v13
	v_dot4c_i32_i8_e32 v61, v202, v4
	;; [unrolled: 1-line block ×15, first 2 shown]
	v_mul_lo_u32 v63, v254, v201
	v_mul_lo_u32 v56, v56, v201
	v_cvt_f32_i32_e32 v57, v56
	v_cvt_f32_i32_e32 v56, v63
	v_mul_lo_u32 v63, v255, v225
	v_mul_lo_u32 v61, v61, v225
	v_cvt_f32_i32_e32 v89, v61
	v_cvt_f32_i32_e32 v88, v63
	v_pk_fma_f32 v[86:87], v[116:117], v[130:131], 0 op_sel_hi:[0,1,0]
	v_pk_fma_f32 v[56:57], v[56:57], v[132:133], 0 op_sel_hi:[1,1,0]
	;; [unrolled: 1-line block ×3, first 2 shown]
	v_pk_fma_f32 v[56:57], v[88:89], v[128:129], v[56:57]
	v_pk_mul_f32 v[86:87], v[86:87], v[100:101]
	v_pk_fma_f32 v[56:57], v[56:57], v[98:99], v[86:87] neg_lo:[0,0,1] neg_hi:[0,0,1]
	v_pk_add_f32 v[24:25], v[24:25], v[56:57]
	v_mov_b32_e32 v56, 0
	v_mov_b32_e32 v114, 0
	v_dot4c_i32_i8_e32 v56, v203, v12
	v_dot4c_i32_i8_e32 v114, v226, v12
	;; [unrolled: 1-line block ×7, first 2 shown]
	v_mov_b32_e32 v61, 0
	v_dot4c_i32_i8_e32 v114, v247, v15
	v_dot4c_i32_i8_e32 v56, v233, v8
	;; [unrolled: 1-line block ×4, first 2 shown]
	v_mov_b32_e32 v8, 0
	v_dot4c_i32_i8_e32 v61, v237, v5
	v_dot4c_i32_i8_e32 v8, v188, v4
	v_dot4c_i32_i8_e32 v61, v238, v6
	v_dot4c_i32_i8_e32 v8, v189, v5
	v_dot4c_i32_i8_e32 v61, v239, v7
	v_dot4c_i32_i8_e32 v8, v187, v6
	v_dot4c_i32_i8_e32 v56, v234, v9
	v_dot4c_i32_i8_e32 v61, v240, v0
	v_dot4c_i32_i8_e32 v8, v182, v7
	v_dot4c_i32_i8_e32 v56, v235, v10
	v_dot4c_i32_i8_e32 v61, v242, v1
	v_dot4c_i32_i8_e32 v114, v249, v9
	v_dot4c_i32_i8_e32 v8, v183, v0
	v_dot4c_i32_i8_e32 v56, v236, v11
	v_dot4c_i32_i8_e32 v61, v243, v2
	v_dot4c_i32_i8_e32 v114, v250, v10
	v_dot4c_i32_i8_e32 v8, v184, v1
	v_dot4c_i32_i8_e32 v61, v244, v3
	v_mul_lo_u32 v54, v54, v219
	v_mul_lo_u32 v56, v56, v219
	v_dot4c_i32_i8_e32 v114, v251, v11
	v_dot4c_i32_i8_e32 v8, v185, v2
	v_cvt_f32_i32_e32 v57, v56
	v_cvt_f32_i32_e32 v56, v54
	v_mul_lo_u32 v54, v55, v241
	v_mul_lo_u32 v55, v61, v241
	v_dot4c_i32_i8_e32 v8, v186, v3
	v_mul_lo_u32 v0, v253, v113
	v_mul_lo_u32 v1, v114, v113
	v_cvt_f32_i32_e32 v55, v55
	v_cvt_f32_i32_e32 v54, v54
	;; [unrolled: 1-line block ×4, first 2 shown]
	v_mul_lo_u32 v4, v252, v181
	v_mul_lo_u32 v5, v8, v181
	v_cvt_f32_i32_e32 v5, v5
	v_cvt_f32_i32_e32 v4, v4
	v_pk_fma_f32 v[56:57], v[56:57], v[132:133], 0 op_sel_hi:[1,1,0]
	v_pk_fma_f32 v[86:87], v[120:121], v[130:131], 0 op_sel_hi:[0,1,0]
	;; [unrolled: 1-line block ×3, first 2 shown]
	v_pk_fma_f32 v[54:55], v[54:55], v[128:129], v[56:57]
	v_pk_fma_f32 v[56:57], v[124:125], v[126:127], v[86:87] op_sel_hi:[0,1,1]
	v_pk_fma_f32 v[0:1], v[0:1], v[132:133], 0 op_sel_hi:[1,1,0]
	;; [unrolled: 1-line block ×3, first 2 shown]
	v_pk_mul_f32 v[56:57], v[56:57], v[104:105]
	v_pk_fma_f32 v[0:1], v[4:5], v[128:129], v[0:1]
	v_pk_mul_f32 v[2:3], v[2:3], v[108:109]
	v_pk_fma_f32 v[54:55], v[54:55], v[102:103], v[56:57] neg_lo:[0,0,1] neg_hi:[0,0,1]
	v_pk_fma_f32 v[0:1], v[0:1], v[106:107], v[2:3] neg_lo:[0,0,1] neg_hi:[0,0,1]
	v_pk_add_f32 v[22:23], v[22:23], v[54:55]
	v_pk_add_f32 v[20:21], v[20:21], v[0:1]
	s_mov_b32 s18, 8
	s_and_b64 vcc, exec, s[4:5]
	s_mov_b64 s[4:5], 0
	s_cbranch_vccnz .LBB131_6
; %bb.7:                                ;   in Loop: Header=BB131_5 Depth=1
	v_add_u32_e32 v14, s16, v159
	v_add_u32_e32 v0, v14, v125
	;; [unrolled: 1-line block ×6, first 2 shown]
	v_mad_i64_i32 v[0:1], s[4:5], v0, 36, v[94:95]
	v_mad_i64_i32 v[2:3], s[4:5], v2, 36, v[94:95]
	;; [unrolled: 1-line block ×5, first 2 shown]
	v_add_u32_e32 v10, v14, v149
	v_add_u32_e32 v12, v14, v152
	;; [unrolled: 1-line block ×3, first 2 shown]
	s_barrier
	v_mad_i64_i32 v[10:11], s[4:5], v10, 36, v[94:95]
	v_mad_i64_i32 v[12:13], s[4:5], v12, 36, v[94:95]
	;; [unrolled: 1-line block ×3, first 2 shown]
	global_load_dword v16, v[0:1], off offset:4
	s_nop 0
	global_load_dword v2, v[2:3], off offset:4
	s_nop 0
	global_load_dword v3, v[4:5], off offset:4
	s_nop 0
	global_load_dword v4, v[6:7], off offset:4
	global_load_dword v5, v[8:9], off offset:4
	s_nop 0
	global_load_dword v6, v[10:11], off offset:4
	global_load_dword v7, v[12:13], off offset:4
	;; [unrolled: 1-line block ×3, first 2 shown]
	v_add_u32_e32 v0, 4, v111
	v_mad_u64_u32 v[0:1], s[4:5], v0, 36, s[2:3]
	global_load_dword v0, v[0:1], off
	s_mov_b32 s4, 16
	s_mov_b32 s5, 0
	v_mov_b32_e32 v127, v169
	v_mov_b32_e32 v129, v168
	s_mov_b32 s16, 0
	v_mov_b32_e32 v181, v167
	s_waitcnt vmcnt(8)
	ds_write_b32 v136, v16
	s_waitcnt vmcnt(7)
	ds_write_b32 v139, v2
	;; [unrolled: 2-line block ×9, first 2 shown]
	s_waitcnt lgkmcnt(0)
	s_barrier
	ds_read_b32 v0, v158
	ds_read_b32 v1, v160 offset:128
	ds_read_b32 v2, v161 offset:256
	ds_read_b32 v3, v162 offset:384
	s_waitcnt lgkmcnt(2)
	v_cvt_f32_f16_e32 v102, v1
	v_cvt_f32_f16_e32 v98, v0
	v_cvt_f32_f16_sdwa v100, v0 dst_sel:DWORD dst_unused:UNUSED_PAD src0_sel:WORD_1
	v_cvt_f32_f16_sdwa v104, v1 dst_sel:DWORD dst_unused:UNUSED_PAD src0_sel:WORD_1
	s_waitcnt lgkmcnt(1)
	v_cvt_f32_f16_e32 v106, v2
	v_cvt_f32_f16_sdwa v108, v2 dst_sel:DWORD dst_unused:UNUSED_PAD src0_sel:WORD_1
	s_waitcnt lgkmcnt(0)
	v_cvt_f32_f16_e32 v110, v3
	v_cvt_f32_f16_sdwa v112, v3 dst_sel:DWORD dst_unused:UNUSED_PAD src0_sel:WORD_1
	v_mov_b32_e32 v99, v98
	v_mov_b32_e32 v101, v100
	;; [unrolled: 1-line block ×8, first 2 shown]
.LBB131_8:                              ;   Parent Loop BB131_5 Depth=1
                                        ; =>  This Inner Loop Header: Depth=2
	s_lshr_b32 s17, s4, 2
	s_and_b32 s17, s17, 0x3ffffffc
	v_add_u32_e32 v56, s5, v170
	ds_read_b128 v[16:19], v127
	ds_read_b128 v[12:15], v127 offset:16
	ds_read_b128 v[8:11], v127 offset:32
	;; [unrolled: 1-line block ×3, first 2 shown]
	ds_read2_b64 v[0:3], v129 offset1:16
	v_add3_u32 v54, v174, s17, v56
	ds_read2_b32 v[86:87], v181 offset1:1
	ds_read2_b32 v[88:89], v181 offset0:2 offset1:3
	ds_read2_b32 v[130:131], v181 offset0:4 offset1:5
	;; [unrolled: 1-line block ×3, first 2 shown]
	ds_read_u16 v57, v54 offset:25088
	ds_read_u16 v54, v54 offset:25096
	s_waitcnt lgkmcnt(5)
	v_lshrrev_b32_e32 v61, 4, v87
	v_and_b32_e32 v199, 0xf0f0f0f, v86
	v_and_b32_e32 v198, 0xf0f0f0f, v87
	s_waitcnt lgkmcnt(1)
	v_and_b32_e32 v208, 0xff, v57
	v_lshrrev_b16_e32 v221, 8, v57
	v_add_u32_e32 v57, 0x1080, v181
	v_lshrrev_b32_e32 v55, 4, v86
	v_and_b32_e32 v222, 0xf0f0f0f, v61
	v_lshrrev_b32_e32 v61, 4, v88
	ds_read2_b32 v[86:87], v57 offset1:1
	v_add_u32_e32 v57, 0x1088, v181
	v_and_b32_e32 v201, 0xf0f0f0f, v88
	v_and_b32_e32 v202, 0xf0f0f0f, v89
	;; [unrolled: 1-line block ×3, first 2 shown]
	v_lshrrev_b32_e32 v61, 4, v89
	ds_read2_b32 v[88:89], v57 offset1:1
	v_and_b32_e32 v224, 0xf0f0f0f, v61
	v_lshrrev_b32_e32 v61, 4, v130
	v_add_u32_e32 v57, 0x1090, v181
	v_and_b32_e32 v205, 0xf0f0f0f, v130
	v_and_b32_e32 v206, 0xf0f0f0f, v131
	;; [unrolled: 1-line block ×3, first 2 shown]
	v_lshrrev_b32_e32 v61, 4, v131
	ds_read2_b32 v[130:131], v57 offset1:1
	v_and_b32_e32 v226, 0xf0f0f0f, v61
	v_lshrrev_b32_e32 v61, 4, v132
	v_add_u32_e32 v57, 0x1098, v181
	v_and_b32_e32 v210, 0xf0f0f0f, v132
	v_and_b32_e32 v211, 0xf0f0f0f, v133
	;; [unrolled: 1-line block ×3, first 2 shown]
	v_lshrrev_b32_e32 v61, 4, v133
	ds_read2_b32 v[132:133], v57 offset1:1
	s_waitcnt lgkmcnt(3)
	v_lshrrev_b32_e32 v63, 4, v87
	v_cvt_f32_ubyte0_e32 v118, v54
	v_cvt_f32_ubyte1_e32 v122, v54
	v_add3_u32 v54, v173, s17, v56
	v_and_b32_e32 v232, 0xf0f0f0f, v63
	s_waitcnt lgkmcnt(2)
	v_lshrrev_b32_e32 v63, 4, v88
	v_and_b32_e32 v230, 0xf0f0f0f, v61
	ds_read_u16 v57, v54 offset:25600
	ds_read_u16 v61, v54 offset:25608
	v_and_b32_e32 v234, 0xf0f0f0f, v63
	v_lshrrev_b32_e32 v63, 4, v89
	v_and_b32_e32 v236, 0xf0f0f0f, v63
	s_waitcnt lgkmcnt(3)
	v_lshrrev_b32_e32 v63, 4, v130
	v_and_b32_e32 v238, 0xf0f0f0f, v63
	v_lshrrev_b32_e32 v63, 4, v131
	v_and_b32_e32 v241, 0xf0f0f0f, v63
	s_waitcnt lgkmcnt(2)
	v_lshrrev_b32_e32 v63, 4, v132
	s_waitcnt lgkmcnt(1)
	v_and_b32_e32 v215, 0xff, v57
	v_and_b32_e32 v242, 0xf0f0f0f, v63
	v_lshrrev_b32_e32 v63, 4, v133
	v_lshrrev_b16_e32 v239, 8, v57
	v_add_u32_e32 v57, 0x2100, v181
	v_and_b32_e32 v200, 0xf0f0f0f, v86
	v_and_b32_e32 v203, 0xf0f0f0f, v87
	v_lshrrev_b32_e32 v54, 4, v86
	v_and_b32_e32 v244, 0xf0f0f0f, v63
	ds_read2_b32 v[86:87], v57 offset1:1
	v_add_u32_e32 v63, 0x2108, v181
	v_and_b32_e32 v207, 0xf0f0f0f, v88
	v_and_b32_e32 v209, 0xf0f0f0f, v89
	ds_read2_b32 v[88:89], v63 offset1:1
	v_add_u32_e32 v63, 0x2110, v181
	v_and_b32_e32 v213, 0xf0f0f0f, v130
	v_and_b32_e32 v214, 0xf0f0f0f, v131
	ds_read2_b32 v[130:131], v63 offset1:1
	s_waitcnt lgkmcnt(3)
	v_cvt_f32_ubyte0_e32 v120, v61
	v_cvt_f32_ubyte1_e32 v126, v61
	v_add3_u32 v61, v172, s17, v56
	v_add_u32_e32 v63, 0x2118, v181
	v_and_b32_e32 v216, 0xf0f0f0f, v132
	v_and_b32_e32 v217, 0xf0f0f0f, v133
	s_waitcnt lgkmcnt(2)
	v_and_b32_e32 v218, 0xf0f0f0f, v86
	ds_read2_b32 v[132:133], v63 offset1:1
	ds_read_u16 v63, v61 offset:26112
	ds_read_u16 v114, v61 offset:26120
	v_lshrrev_b32_e32 v61, 4, v86
	v_lshrrev_b32_e32 v86, 4, v87
	v_and_b32_e32 v246, 0xf0f0f0f, v86
	s_waitcnt lgkmcnt(4)
	v_lshrrev_b32_e32 v86, 4, v88
	v_and_b32_e32 v247, 0xf0f0f0f, v86
	v_lshrrev_b32_e32 v86, 4, v89
	v_and_b32_e32 v248, 0xf0f0f0f, v86
	s_waitcnt lgkmcnt(3)
	v_lshrrev_b32_e32 v86, 4, v130
	v_and_b32_e32 v249, 0xf0f0f0f, v86
	v_lshrrev_b32_e32 v86, 4, v131
	v_and_b32_e32 v251, 0xf0f0f0f, v86
	s_waitcnt lgkmcnt(2)
	v_lshrrev_b32_e32 v86, 4, v132
	s_waitcnt lgkmcnt(1)
	v_and_b32_e32 v231, 0xff, v63
	v_and_b32_e32 v252, 0xf0f0f0f, v86
	v_lshrrev_b32_e32 v86, 4, v133
	v_lshrrev_b16_e32 v250, 8, v63
	v_add3_u32 v63, v171, s17, v56
	v_add_u32_e32 v56, 0x3180, v181
	v_and_b32_e32 v220, 0xf0f0f0f, v87
	v_and_b32_e32 v253, 0xf0f0f0f, v86
	ds_read2_b32 v[86:87], v56 offset1:1
	v_mov_b32_e32 v254, 0
	v_mov_b32_e32 v255, 0
	;; [unrolled: 1-line block ×4, first 2 shown]
	s_waitcnt lgkmcnt(0)
	v_and_b32_e32 v245, 0xf0f0f0f, v86
	v_dot4c_i32_i8_e32 v254, v199, v16
	v_dot4c_i32_i8_e32 v255, v200, v16
	;; [unrolled: 1-line block ×4, first 2 shown]
	v_and_b32_e32 v204, 0xf0f0f0f, v87
	v_add_u32_e32 v16, 0x3188, v181
	v_dot4c_i32_i8_e32 v254, v198, v17
	v_dot4c_i32_i8_e32 v255, v203, v17
	v_dot4c_i32_i8_e32 v57, v220, v17
	v_dot4c_i32_i8_e32 v56, v204, v17
	ds_read2_b32 v[16:17], v16 offset1:1
	v_and_b32_e32 v228, 0xf0f0f0f, v88
	v_dot4c_i32_i8_e32 v254, v201, v18
	v_dot4c_i32_i8_e32 v255, v207, v18
	v_dot4c_i32_i8_e32 v57, v228, v18
	s_waitcnt lgkmcnt(0)
	v_and_b32_e32 v193, 0xf0f0f0f, v16
	v_and_b32_e32 v229, 0xf0f0f0f, v89
	v_dot4c_i32_i8_e32 v56, v193, v18
	v_and_b32_e32 v192, 0xf0f0f0f, v17
	v_add_u32_e32 v18, 0x3190, v181
	v_dot4c_i32_i8_e32 v254, v202, v19
	v_dot4c_i32_i8_e32 v255, v209, v19
	v_dot4c_i32_i8_e32 v57, v229, v19
	v_dot4c_i32_i8_e32 v56, v192, v19
	ds_read2_b32 v[18:19], v18 offset1:1
	v_and_b32_e32 v233, 0xf0f0f0f, v130
	v_dot4c_i32_i8_e32 v254, v205, v12
	v_dot4c_i32_i8_e32 v255, v213, v12
	v_dot4c_i32_i8_e32 v57, v233, v12
	s_waitcnt lgkmcnt(0)
	v_and_b32_e32 v194, 0xf0f0f0f, v18
	v_and_b32_e32 v235, 0xf0f0f0f, v131
	v_dot4c_i32_i8_e32 v56, v194, v12
	v_and_b32_e32 v195, 0xf0f0f0f, v19
	v_add_u32_e32 v12, 0x3198, v181
	v_dot4c_i32_i8_e32 v254, v206, v13
	v_dot4c_i32_i8_e32 v255, v214, v13
	v_dot4c_i32_i8_e32 v57, v235, v13
	v_dot4c_i32_i8_e32 v56, v195, v13
	ds_read2_b32 v[12:13], v12 offset1:1
	v_and_b32_e32 v237, 0xf0f0f0f, v132
	v_dot4c_i32_i8_e32 v254, v210, v14
	v_dot4c_i32_i8_e32 v255, v216, v14
	v_dot4c_i32_i8_e32 v57, v237, v14
	s_waitcnt lgkmcnt(0)
	v_and_b32_e32 v196, 0xf0f0f0f, v12
	v_and_b32_e32 v240, 0xf0f0f0f, v133
	v_dot4c_i32_i8_e32 v56, v196, v14
	v_and_b32_e32 v197, 0xf0f0f0f, v13
	v_dot4c_i32_i8_e32 v254, v211, v15
	v_dot4c_i32_i8_e32 v255, v217, v15
	;; [unrolled: 1-line block ×4, first 2 shown]
	ds_read_u16 v14, v63 offset:26624
	ds_read_u16 v15, v63 offset:26632
	v_lshrrev_b32_e32 v63, 4, v86
	v_and_b32_e32 v212, 0xf0f0f0f, v55
	v_mov_b32_e32 v55, 0
	v_and_b32_e32 v219, 0xf0f0f0f, v54
	v_mov_b32_e32 v54, 0
	;; [unrolled: 2-line block ×4, first 2 shown]
	v_dot4c_i32_i8_e32 v55, v212, v8
	v_dot4c_i32_i8_e32 v54, v219, v8
	;; [unrolled: 1-line block ×4, first 2 shown]
	v_lshrrev_b32_e32 v8, 4, v87
	v_and_b32_e32 v191, 0xf0f0f0f, v8
	v_lshrrev_b32_e32 v8, 4, v16
	v_dot4c_i32_i8_e32 v55, v222, v9
	v_dot4c_i32_i8_e32 v54, v232, v9
	v_dot4c_i32_i8_e32 v61, v246, v9
	v_dot4c_i32_i8_e32 v63, v191, v9
	v_and_b32_e32 v190, 0xf0f0f0f, v8
	v_lshrrev_b32_e32 v8, 4, v17
	v_dot4c_i32_i8_e32 v55, v223, v10
	v_dot4c_i32_i8_e32 v54, v234, v10
	v_dot4c_i32_i8_e32 v61, v247, v10
	v_dot4c_i32_i8_e32 v63, v190, v10
	;; [unrolled: 6-line block ×3, first 2 shown]
	v_and_b32_e32 v185, 0xf0f0f0f, v8
	v_dot4c_i32_i8_e32 v55, v225, v4
	v_dot4c_i32_i8_e32 v54, v238, v4
	;; [unrolled: 1-line block ×4, first 2 shown]
	v_lshrrev_b32_e32 v4, 4, v19
	v_and_b32_e32 v186, 0xf0f0f0f, v4
	v_lshrrev_b32_e32 v4, 4, v12
	v_dot4c_i32_i8_e32 v55, v226, v5
	v_dot4c_i32_i8_e32 v54, v241, v5
	;; [unrolled: 1-line block ×4, first 2 shown]
	v_and_b32_e32 v187, 0xf0f0f0f, v4
	v_lshrrev_b32_e32 v4, 4, v13
	v_dot4c_i32_i8_e32 v55, v227, v6
	v_dot4c_i32_i8_e32 v54, v242, v6
	;; [unrolled: 1-line block ×4, first 2 shown]
	v_and_b32_e32 v189, 0xf0f0f0f, v4
	v_dot4c_i32_i8_e32 v55, v230, v7
	v_dot4c_i32_i8_e32 v54, v244, v7
	v_cvt_f32_ubyte0_e32 v124, v114
	v_dot4c_i32_i8_e32 v61, v253, v7
	v_cvt_f32_ubyte1_e32 v128, v114
	s_waitcnt lgkmcnt(1)
	v_and_b32_e32 v183, 0xff, v14
	s_waitcnt lgkmcnt(0)
	v_cvt_f32_ubyte0_e32 v116, v15
	v_dot4c_i32_i8_e32 v63, v189, v7
	v_lshrrev_b16_e32 v182, 8, v14
	v_cvt_f32_ubyte1_e32 v114, v15
	ds_read_b128 v[16:19], v127 offset:1024
	ds_read_b128 v[12:15], v127 offset:1040
	;; [unrolled: 1-line block ×4, first 2 shown]
	v_mov_b32_e32 v86, 0
	s_waitcnt lgkmcnt(3)
	v_dot4c_i32_i8_e32 v86, v199, v16
	v_mov_b32_e32 v88, 0
	v_dot4c_i32_i8_e32 v86, v198, v17
	s_waitcnt lgkmcnt(1)
	v_dot4c_i32_i8_e32 v88, v212, v8
	v_dot4c_i32_i8_e32 v86, v201, v18
	;; [unrolled: 1-line block ×8, first 2 shown]
	s_waitcnt lgkmcnt(0)
	v_dot4c_i32_i8_e32 v88, v225, v4
	v_dot4c_i32_i8_e32 v86, v210, v14
	;; [unrolled: 1-line block ×6, first 2 shown]
	v_cvt_f32_f16_e32 v133, v2
	v_cvt_f32_f16_e32 v132, v0
	v_cvt_f32_f16_sdwa v135, v2 dst_sel:DWORD dst_unused:UNUSED_PAD src0_sel:WORD_1
	v_cvt_f32_f16_sdwa v134, v0 dst_sel:DWORD dst_unused:UNUSED_PAD src0_sel:WORD_1
	v_cvt_f32_f16_e32 v130, v1
	v_cvt_f32_f16_sdwa v2, v1 dst_sel:DWORD dst_unused:UNUSED_PAD src0_sel:WORD_1
	v_mul_lo_u32 v0, v254, v208
	v_mul_lo_u32 v1, v86, v208
	v_cvt_f32_f16_e32 v131, v3
	v_cvt_f32_f16_sdwa v3, v3 dst_sel:DWORD dst_unused:UNUSED_PAD src0_sel:WORD_1
	v_cvt_f32_i32_e32 v1, v1
	v_cvt_f32_i32_e32 v0, v0
	v_mul_lo_u32 v55, v55, v221
	v_mul_lo_u32 v88, v88, v221
	v_cvt_f32_i32_e32 v89, v88
	v_cvt_f32_i32_e32 v88, v55
	v_pk_fma_f32 v[86:87], v[118:119], v[134:135], 0 op_sel_hi:[0,1,0]
	v_pk_fma_f32 v[0:1], v[132:133], v[0:1], 0 op_sel_hi:[1,1,0]
	;; [unrolled: 1-line block ×3, first 2 shown]
	v_pk_fma_f32 v[0:1], v[130:131], v[88:89], v[0:1]
	v_pk_mul_f32 v[86:87], v[86:87], v[100:101]
	v_pk_fma_f32 v[0:1], v[0:1], v[98:99], v[86:87] neg_lo:[0,0,1] neg_hi:[0,0,1]
	v_pk_add_f32 v[50:51], v[50:51], v[0:1]
	v_mov_b32_e32 v0, 0
	v_dot4c_i32_i8_e32 v0, v200, v16
	v_mov_b32_e32 v55, 0
	v_dot4c_i32_i8_e32 v0, v203, v17
	v_dot4c_i32_i8_e32 v55, v219, v8
	;; [unrolled: 1-line block ×15, first 2 shown]
	v_mul_lo_u32 v86, v255, v215
	v_mul_lo_u32 v0, v0, v215
	v_cvt_f32_i32_e32 v1, v0
	v_cvt_f32_i32_e32 v0, v86
	v_mul_lo_u32 v54, v54, v239
	v_mul_lo_u32 v55, v55, v239
	v_cvt_f32_i32_e32 v55, v55
	v_cvt_f32_i32_e32 v54, v54
	v_pk_fma_f32 v[0:1], v[132:133], v[0:1], 0 op_sel_hi:[1,1,0]
	v_pk_fma_f32 v[86:87], v[120:121], v[134:135], 0 op_sel_hi:[0,1,0]
	v_mov_b32_e32 v254, 0
	v_pk_fma_f32 v[0:1], v[130:131], v[54:55], v[0:1]
	v_pk_fma_f32 v[54:55], v[126:127], v[2:3], v[86:87] op_sel_hi:[0,1,1]
	v_pk_mul_f32 v[54:55], v[54:55], v[104:105]
	v_pk_fma_f32 v[0:1], v[0:1], v[102:103], v[54:55] neg_lo:[0,0,1] neg_hi:[0,0,1]
	v_pk_add_f32 v[48:49], v[48:49], v[0:1]
	v_mov_b32_e32 v0, 0
	v_dot4c_i32_i8_e32 v0, v218, v16
	v_mov_b32_e32 v86, 0
	v_dot4c_i32_i8_e32 v0, v220, v17
	v_dot4c_i32_i8_e32 v86, v243, v8
	;; [unrolled: 1-line block ×15, first 2 shown]
	v_mul_lo_u32 v54, v57, v231
	v_mul_lo_u32 v0, v0, v231
	v_cvt_f32_i32_e32 v1, v0
	v_cvt_f32_i32_e32 v0, v54
	v_mul_lo_u32 v57, v61, v250
	v_mul_lo_u32 v61, v86, v250
	v_cvt_f32_i32_e32 v87, v61
	v_cvt_f32_i32_e32 v86, v57
	v_pk_fma_f32 v[54:55], v[124:125], v[134:135], 0 op_sel_hi:[0,1,0]
	v_pk_fma_f32 v[0:1], v[132:133], v[0:1], 0 op_sel_hi:[1,1,0]
	;; [unrolled: 1-line block ×3, first 2 shown]
	v_pk_fma_f32 v[0:1], v[130:131], v[86:87], v[0:1]
	v_pk_mul_f32 v[54:55], v[54:55], v[108:109]
	v_pk_fma_f32 v[0:1], v[0:1], v[106:107], v[54:55] neg_lo:[0,0,1] neg_hi:[0,0,1]
	v_pk_add_f32 v[46:47], v[46:47], v[0:1]
	v_mov_b32_e32 v0, 0
	v_dot4c_i32_i8_e32 v0, v245, v16
	v_dot4c_i32_i8_e32 v0, v204, v17
	v_dot4c_i32_i8_e32 v0, v193, v18
	v_dot4c_i32_i8_e32 v0, v192, v19
	v_dot4c_i32_i8_e32 v0, v194, v12
	v_mov_b32_e32 v12, 0
	v_dot4c_i32_i8_e32 v12, v188, v8
	v_dot4c_i32_i8_e32 v12, v191, v9
	;; [unrolled: 1-line block ×11, first 2 shown]
	v_mul_lo_u32 v4, v56, v183
	v_mul_lo_u32 v0, v0, v183
	v_cvt_f32_i32_e32 v1, v0
	v_cvt_f32_i32_e32 v0, v4
	v_mul_lo_u32 v6, v63, v182
	v_mul_lo_u32 v7, v12, v182
	v_cvt_f32_i32_e32 v7, v7
	v_cvt_f32_i32_e32 v6, v6
	v_pk_fma_f32 v[4:5], v[116:117], v[134:135], 0 op_sel_hi:[0,1,0]
	v_pk_fma_f32 v[0:1], v[132:133], v[0:1], 0 op_sel_hi:[1,1,0]
	;; [unrolled: 1-line block ×3, first 2 shown]
	v_pk_fma_f32 v[0:1], v[130:131], v[6:7], v[0:1]
	v_pk_mul_f32 v[2:3], v[2:3], v[112:113]
	v_pk_fma_f32 v[0:1], v[0:1], v[110:111], v[2:3] neg_lo:[0,0,1] neg_hi:[0,0,1]
	v_pk_add_f32 v[44:45], v[44:45], v[0:1]
	ds_read_b128 v[8:11], v127 offset:2048
	ds_read_b128 v[12:15], v127 offset:2064
	ds_read2_b64 v[16:19], v129 offset0:32 offset1:48
	ds_read_b128 v[4:7], v127 offset:2080
	ds_read_b128 v[0:3], v127 offset:2096
	v_mov_b32_e32 v57, 0
	v_mov_b32_e32 v61, 0
	;; [unrolled: 1-line block ×7, first 2 shown]
	s_waitcnt lgkmcnt(4)
	v_dot4c_i32_i8_e32 v57, v199, v8
	s_waitcnt lgkmcnt(1)
	v_dot4c_i32_i8_e32 v61, v212, v4
	v_dot4c_i32_i8_e32 v63, v200, v8
	;; [unrolled: 1-line block ×32, first 2 shown]
	s_waitcnt lgkmcnt(0)
	v_dot4c_i32_i8_e32 v61, v225, v0
	v_dot4c_i32_i8_e32 v63, v213, v12
	;; [unrolled: 1-line block ×31, first 2 shown]
	ds_read_b128 v[12:15], v127 offset:3072
	ds_read_b128 v[8:11], v127 offset:3088
	;; [unrolled: 1-line block ×4, first 2 shown]
	v_mov_b32_e32 v86, 0
	s_waitcnt lgkmcnt(3)
	v_dot4c_i32_i8_e32 v86, v199, v12
	v_mov_b32_e32 v88, 0
	v_dot4c_i32_i8_e32 v86, v198, v13
	s_waitcnt lgkmcnt(1)
	v_dot4c_i32_i8_e32 v88, v212, v4
	v_dot4c_i32_i8_e32 v86, v201, v14
	;; [unrolled: 1-line block ×8, first 2 shown]
	s_waitcnt lgkmcnt(0)
	v_dot4c_i32_i8_e32 v88, v225, v0
	v_dot4c_i32_i8_e32 v86, v210, v10
	;; [unrolled: 1-line block ×6, first 2 shown]
	v_cvt_f32_f16_e32 v133, v18
	v_cvt_f32_f16_e32 v132, v16
	v_cvt_f32_f16_sdwa v135, v18 dst_sel:DWORD dst_unused:UNUSED_PAD src0_sel:WORD_1
	v_cvt_f32_f16_sdwa v134, v16 dst_sel:DWORD dst_unused:UNUSED_PAD src0_sel:WORD_1
	v_cvt_f32_f16_e32 v130, v17
	v_cvt_f32_f16_sdwa v18, v17 dst_sel:DWORD dst_unused:UNUSED_PAD src0_sel:WORD_1
	v_mul_lo_u32 v16, v57, v208
	v_mul_lo_u32 v17, v86, v208
	v_cvt_f32_f16_e32 v131, v19
	v_cvt_f32_f16_sdwa v19, v19 dst_sel:DWORD dst_unused:UNUSED_PAD src0_sel:WORD_1
	v_cvt_f32_i32_e32 v17, v17
	v_cvt_f32_i32_e32 v16, v16
	v_mul_lo_u32 v57, v61, v221
	v_mul_lo_u32 v61, v88, v221
	v_cvt_f32_i32_e32 v89, v61
	v_cvt_f32_i32_e32 v88, v57
	v_pk_fma_f32 v[86:87], v[118:119], v[134:135], 0 op_sel_hi:[0,1,0]
	v_pk_fma_f32 v[16:17], v[16:17], v[132:133], 0 op_sel_hi:[1,1,0]
	;; [unrolled: 1-line block ×3, first 2 shown]
	v_pk_fma_f32 v[16:17], v[88:89], v[130:131], v[16:17]
	v_pk_mul_f32 v[86:87], v[86:87], v[100:101]
	v_pk_fma_f32 v[16:17], v[16:17], v[98:99], v[86:87] neg_lo:[0,0,1] neg_hi:[0,0,1]
	v_pk_add_f32 v[42:43], v[42:43], v[16:17]
	v_mov_b32_e32 v16, 0
	v_dot4c_i32_i8_e32 v16, v200, v12
	v_mov_b32_e32 v57, 0
	v_dot4c_i32_i8_e32 v16, v203, v13
	v_dot4c_i32_i8_e32 v57, v219, v4
	;; [unrolled: 1-line block ×15, first 2 shown]
	v_mul_lo_u32 v61, v63, v215
	v_mul_lo_u32 v16, v16, v215
	v_cvt_f32_i32_e32 v17, v16
	v_cvt_f32_i32_e32 v16, v61
	v_mul_lo_u32 v61, v254, v239
	v_mul_lo_u32 v57, v57, v239
	v_cvt_f32_i32_e32 v89, v57
	v_cvt_f32_i32_e32 v88, v61
	v_pk_fma_f32 v[86:87], v[120:121], v[134:135], 0 op_sel_hi:[0,1,0]
	v_pk_fma_f32 v[16:17], v[16:17], v[132:133], 0 op_sel_hi:[1,1,0]
	;; [unrolled: 1-line block ×3, first 2 shown]
	v_pk_fma_f32 v[16:17], v[88:89], v[130:131], v[16:17]
	v_pk_mul_f32 v[86:87], v[86:87], v[104:105]
	v_pk_fma_f32 v[16:17], v[16:17], v[102:103], v[86:87] neg_lo:[0,0,1] neg_hi:[0,0,1]
	v_pk_add_f32 v[40:41], v[40:41], v[16:17]
	v_mov_b32_e32 v16, 0
	v_dot4c_i32_i8_e32 v16, v218, v12
	v_mov_b32_e32 v61, 0
	v_dot4c_i32_i8_e32 v16, v220, v13
	v_dot4c_i32_i8_e32 v61, v243, v4
	;; [unrolled: 1-line block ×15, first 2 shown]
	v_mul_lo_u32 v56, v56, v231
	v_mul_lo_u32 v16, v16, v231
	v_cvt_f32_i32_e32 v17, v16
	v_cvt_f32_i32_e32 v16, v56
	v_mul_lo_u32 v63, v255, v250
	v_mul_lo_u32 v61, v61, v250
	v_cvt_f32_i32_e32 v87, v61
	v_cvt_f32_i32_e32 v86, v63
	v_pk_fma_f32 v[56:57], v[124:125], v[134:135], 0 op_sel_hi:[0,1,0]
	v_pk_fma_f32 v[16:17], v[16:17], v[132:133], 0 op_sel_hi:[1,1,0]
	;; [unrolled: 1-line block ×3, first 2 shown]
	v_pk_fma_f32 v[16:17], v[86:87], v[130:131], v[16:17]
	v_pk_mul_f32 v[56:57], v[56:57], v[108:109]
	v_pk_fma_f32 v[16:17], v[16:17], v[106:107], v[56:57] neg_lo:[0,0,1] neg_hi:[0,0,1]
	v_pk_add_f32 v[38:39], v[38:39], v[16:17]
	v_mov_b32_e32 v16, 0
	v_dot4c_i32_i8_e32 v16, v245, v12
	v_dot4c_i32_i8_e32 v16, v204, v13
	;; [unrolled: 1-line block ×5, first 2 shown]
	v_mov_b32_e32 v8, 0
	v_dot4c_i32_i8_e32 v8, v188, v4
	v_dot4c_i32_i8_e32 v8, v191, v5
	;; [unrolled: 1-line block ×11, first 2 shown]
	v_mul_lo_u32 v0, v54, v183
	v_mul_lo_u32 v1, v16, v183
	v_cvt_f32_i32_e32 v1, v1
	v_cvt_f32_i32_e32 v0, v0
	v_mul_lo_u32 v4, v55, v182
	v_mul_lo_u32 v5, v8, v182
	v_cvt_f32_i32_e32 v5, v5
	v_cvt_f32_i32_e32 v4, v4
	v_pk_fma_f32 v[2:3], v[116:117], v[134:135], 0 op_sel_hi:[0,1,0]
	v_pk_fma_f32 v[0:1], v[0:1], v[132:133], 0 op_sel_hi:[1,1,0]
	;; [unrolled: 1-line block ×3, first 2 shown]
	v_pk_fma_f32 v[0:1], v[4:5], v[130:131], v[0:1]
	v_pk_mul_f32 v[2:3], v[2:3], v[112:113]
	v_pk_fma_f32 v[0:1], v[0:1], v[110:111], v[2:3] neg_lo:[0,0,1] neg_hi:[0,0,1]
	v_pk_add_f32 v[36:37], v[36:37], v[0:1]
	ds_read_b128 v[12:15], v127 offset:4096
	ds_read_b128 v[8:11], v127 offset:4112
	ds_read2_b64 v[16:19], v129 offset0:64 offset1:80
	ds_read_b128 v[4:7], v127 offset:4128
	ds_read_b128 v[0:3], v127 offset:4144
	v_mov_b32_e32 v61, 0
	v_mov_b32_e32 v63, 0
	;; [unrolled: 1-line block ×8, first 2 shown]
	s_waitcnt lgkmcnt(4)
	v_dot4c_i32_i8_e32 v61, v199, v12
	s_waitcnt lgkmcnt(1)
	v_dot4c_i32_i8_e32 v63, v212, v4
	v_dot4c_i32_i8_e32 v254, v200, v12
	;; [unrolled: 1-line block ×32, first 2 shown]
	s_waitcnt lgkmcnt(0)
	v_dot4c_i32_i8_e32 v63, v225, v0
	v_dot4c_i32_i8_e32 v254, v213, v8
	;; [unrolled: 1-line block ×31, first 2 shown]
	ds_read_b128 v[12:15], v127 offset:5120
	ds_read_b128 v[8:11], v127 offset:5136
	;; [unrolled: 1-line block ×4, first 2 shown]
	v_mov_b32_e32 v86, 0
	s_waitcnt lgkmcnt(3)
	v_dot4c_i32_i8_e32 v86, v199, v12
	v_mov_b32_e32 v88, 0
	v_dot4c_i32_i8_e32 v86, v198, v13
	s_waitcnt lgkmcnt(1)
	v_dot4c_i32_i8_e32 v88, v212, v4
	v_dot4c_i32_i8_e32 v86, v201, v14
	v_dot4c_i32_i8_e32 v88, v222, v5
	v_dot4c_i32_i8_e32 v86, v202, v15
	v_dot4c_i32_i8_e32 v88, v223, v6
	v_dot4c_i32_i8_e32 v86, v205, v8
	v_dot4c_i32_i8_e32 v88, v224, v7
	v_dot4c_i32_i8_e32 v86, v206, v9
	s_waitcnt lgkmcnt(0)
	v_dot4c_i32_i8_e32 v88, v225, v0
	v_dot4c_i32_i8_e32 v86, v210, v10
	;; [unrolled: 1-line block ×6, first 2 shown]
	v_cvt_f32_f16_e32 v133, v18
	v_cvt_f32_f16_e32 v132, v16
	v_cvt_f32_f16_sdwa v135, v18 dst_sel:DWORD dst_unused:UNUSED_PAD src0_sel:WORD_1
	v_cvt_f32_f16_sdwa v134, v16 dst_sel:DWORD dst_unused:UNUSED_PAD src0_sel:WORD_1
	v_cvt_f32_f16_e32 v130, v17
	v_cvt_f32_f16_sdwa v18, v17 dst_sel:DWORD dst_unused:UNUSED_PAD src0_sel:WORD_1
	v_mul_lo_u32 v16, v61, v208
	v_mul_lo_u32 v17, v86, v208
	v_cvt_f32_f16_e32 v131, v19
	v_cvt_f32_f16_sdwa v19, v19 dst_sel:DWORD dst_unused:UNUSED_PAD src0_sel:WORD_1
	v_cvt_f32_i32_e32 v17, v17
	v_cvt_f32_i32_e32 v16, v16
	v_mul_lo_u32 v61, v63, v221
	v_mul_lo_u32 v63, v88, v221
	v_cvt_f32_i32_e32 v89, v63
	v_cvt_f32_i32_e32 v88, v61
	v_pk_fma_f32 v[86:87], v[118:119], v[134:135], 0 op_sel_hi:[0,1,0]
	v_pk_fma_f32 v[16:17], v[16:17], v[132:133], 0 op_sel_hi:[1,1,0]
	;; [unrolled: 1-line block ×3, first 2 shown]
	v_pk_fma_f32 v[16:17], v[88:89], v[130:131], v[16:17]
	v_pk_mul_f32 v[86:87], v[86:87], v[100:101]
	v_pk_fma_f32 v[16:17], v[16:17], v[98:99], v[86:87] neg_lo:[0,0,1] neg_hi:[0,0,1]
	v_pk_add_f32 v[34:35], v[34:35], v[16:17]
	v_mov_b32_e32 v16, 0
	v_dot4c_i32_i8_e32 v16, v200, v12
	v_mov_b32_e32 v61, 0
	v_dot4c_i32_i8_e32 v16, v203, v13
	v_dot4c_i32_i8_e32 v61, v219, v4
	;; [unrolled: 1-line block ×15, first 2 shown]
	v_mul_lo_u32 v63, v254, v215
	v_mul_lo_u32 v16, v16, v215
	v_cvt_f32_i32_e32 v17, v16
	v_cvt_f32_i32_e32 v16, v63
	v_mul_lo_u32 v63, v255, v239
	v_mul_lo_u32 v61, v61, v239
	v_cvt_f32_i32_e32 v89, v61
	v_cvt_f32_i32_e32 v88, v63
	v_pk_fma_f32 v[86:87], v[120:121], v[134:135], 0 op_sel_hi:[0,1,0]
	v_pk_fma_f32 v[16:17], v[16:17], v[132:133], 0 op_sel_hi:[1,1,0]
	;; [unrolled: 1-line block ×3, first 2 shown]
	v_pk_fma_f32 v[16:17], v[88:89], v[130:131], v[16:17]
	v_pk_mul_f32 v[86:87], v[86:87], v[104:105]
	v_pk_fma_f32 v[16:17], v[16:17], v[102:103], v[86:87] neg_lo:[0,0,1] neg_hi:[0,0,1]
	v_pk_add_f32 v[32:33], v[32:33], v[16:17]
	v_mov_b32_e32 v16, 0
	v_dot4c_i32_i8_e32 v16, v218, v12
	v_mov_b32_e32 v61, 0
	v_dot4c_i32_i8_e32 v16, v220, v13
	v_dot4c_i32_i8_e32 v61, v243, v4
	;; [unrolled: 1-line block ×15, first 2 shown]
	v_mul_lo_u32 v56, v56, v231
	v_mul_lo_u32 v16, v16, v231
	v_cvt_f32_i32_e32 v17, v16
	v_cvt_f32_i32_e32 v16, v56
	v_mul_lo_u32 v56, v57, v250
	v_mul_lo_u32 v57, v61, v250
	v_cvt_f32_i32_e32 v57, v57
	v_cvt_f32_i32_e32 v56, v56
	v_pk_fma_f32 v[16:17], v[16:17], v[132:133], 0 op_sel_hi:[1,1,0]
	v_pk_fma_f32 v[86:87], v[124:125], v[134:135], 0 op_sel_hi:[0,1,0]
	v_mov_b32_e32 v61, 0
	v_pk_fma_f32 v[16:17], v[56:57], v[130:131], v[16:17]
	v_pk_fma_f32 v[56:57], v[128:129], v[18:19], v[86:87] op_sel_hi:[0,1,1]
	v_pk_mul_f32 v[56:57], v[56:57], v[108:109]
	v_pk_fma_f32 v[16:17], v[16:17], v[106:107], v[56:57] neg_lo:[0,0,1] neg_hi:[0,0,1]
	v_pk_add_f32 v[30:31], v[30:31], v[16:17]
	v_mov_b32_e32 v16, 0
	v_dot4c_i32_i8_e32 v16, v245, v12
	v_dot4c_i32_i8_e32 v16, v204, v13
	;; [unrolled: 1-line block ×5, first 2 shown]
	v_mov_b32_e32 v8, 0
	v_dot4c_i32_i8_e32 v8, v188, v4
	v_dot4c_i32_i8_e32 v8, v191, v5
	;; [unrolled: 1-line block ×11, first 2 shown]
	v_mul_lo_u32 v0, v54, v183
	v_mul_lo_u32 v1, v16, v183
	v_cvt_f32_i32_e32 v1, v1
	v_cvt_f32_i32_e32 v0, v0
	v_mul_lo_u32 v4, v55, v182
	v_mul_lo_u32 v5, v8, v182
	v_cvt_f32_i32_e32 v5, v5
	v_cvt_f32_i32_e32 v4, v4
	v_pk_fma_f32 v[2:3], v[116:117], v[134:135], 0 op_sel_hi:[0,1,0]
	v_pk_fma_f32 v[0:1], v[0:1], v[132:133], 0 op_sel_hi:[1,1,0]
	;; [unrolled: 1-line block ×3, first 2 shown]
	v_pk_fma_f32 v[0:1], v[4:5], v[130:131], v[0:1]
	v_pk_mul_f32 v[2:3], v[2:3], v[112:113]
	v_pk_fma_f32 v[0:1], v[0:1], v[110:111], v[2:3] neg_lo:[0,0,1] neg_hi:[0,0,1]
	v_pk_add_f32 v[28:29], v[28:29], v[0:1]
	ds_read_b128 v[0:3], v127 offset:6144
	ds_read_b128 v[4:7], v127 offset:6160
	ds_read2_b64 v[16:19], v129 offset0:96 offset1:112
	ds_read_b128 v[8:11], v127 offset:6176
	ds_read_b128 v[12:15], v127 offset:6192
	v_mov_b32_e32 v63, 0
	v_mov_b32_e32 v56, 0
	;; [unrolled: 1-line block ×7, first 2 shown]
	s_waitcnt lgkmcnt(4)
	v_dot4c_i32_i8_e32 v61, v199, v0
	s_waitcnt lgkmcnt(1)
	v_dot4c_i32_i8_e32 v63, v212, v8
	v_dot4c_i32_i8_e32 v56, v200, v0
	;; [unrolled: 1-line block ×32, first 2 shown]
	s_waitcnt lgkmcnt(0)
	v_dot4c_i32_i8_e32 v63, v225, v12
	v_dot4c_i32_i8_e32 v56, v213, v4
	;; [unrolled: 1-line block ×31, first 2 shown]
	ds_read_b128 v[8:11], v127 offset:7168
	ds_read_b128 v[12:15], v127 offset:7184
	;; [unrolled: 1-line block ×4, first 2 shown]
	v_mov_b32_e32 v86, 0
	s_waitcnt lgkmcnt(3)
	v_dot4c_i32_i8_e32 v86, v199, v8
	v_mov_b32_e32 v88, 0
	v_dot4c_i32_i8_e32 v86, v198, v9
	s_waitcnt lgkmcnt(1)
	v_dot4c_i32_i8_e32 v88, v212, v4
	v_dot4c_i32_i8_e32 v86, v201, v10
	;; [unrolled: 1-line block ×8, first 2 shown]
	s_waitcnt lgkmcnt(0)
	v_dot4c_i32_i8_e32 v88, v225, v0
	v_dot4c_i32_i8_e32 v86, v210, v14
	;; [unrolled: 1-line block ×6, first 2 shown]
	v_cvt_f32_f16_e32 v135, v18
	v_cvt_f32_f16_e32 v134, v16
	v_cvt_f32_f16_sdwa v133, v18 dst_sel:DWORD dst_unused:UNUSED_PAD src0_sel:WORD_1
	v_cvt_f32_f16_sdwa v132, v16 dst_sel:DWORD dst_unused:UNUSED_PAD src0_sel:WORD_1
	v_cvt_f32_f16_e32 v130, v17
	v_cvt_f32_f16_sdwa v18, v17 dst_sel:DWORD dst_unused:UNUSED_PAD src0_sel:WORD_1
	v_mul_lo_u32 v16, v61, v208
	v_mul_lo_u32 v17, v86, v208
	v_cvt_f32_f16_e32 v131, v19
	v_cvt_f32_f16_sdwa v19, v19 dst_sel:DWORD dst_unused:UNUSED_PAD src0_sel:WORD_1
	v_cvt_f32_i32_e32 v17, v17
	v_cvt_f32_i32_e32 v16, v16
	v_mul_lo_u32 v61, v63, v221
	v_mul_lo_u32 v63, v88, v221
	v_cvt_f32_i32_e32 v89, v63
	v_cvt_f32_i32_e32 v88, v61
	v_pk_fma_f32 v[86:87], v[118:119], v[132:133], 0 op_sel_hi:[0,1,0]
	v_pk_fma_f32 v[16:17], v[16:17], v[134:135], 0 op_sel_hi:[1,1,0]
	v_pk_fma_f32 v[86:87], v[122:123], v[18:19], v[86:87] op_sel_hi:[0,1,1]
	v_pk_fma_f32 v[16:17], v[88:89], v[130:131], v[16:17]
	v_pk_mul_f32 v[86:87], v[86:87], v[100:101]
	v_pk_fma_f32 v[16:17], v[16:17], v[98:99], v[86:87] neg_lo:[0,0,1] neg_hi:[0,0,1]
	v_pk_add_f32 v[26:27], v[26:27], v[16:17]
	v_mov_b32_e32 v16, 0
	v_dot4c_i32_i8_e32 v16, v200, v8
	v_mov_b32_e32 v61, 0
	v_dot4c_i32_i8_e32 v16, v203, v9
	v_dot4c_i32_i8_e32 v61, v219, v4
	;; [unrolled: 1-line block ×15, first 2 shown]
	v_mul_lo_u32 v56, v56, v215
	v_mul_lo_u32 v16, v16, v215
	v_cvt_f32_i32_e32 v17, v16
	v_cvt_f32_i32_e32 v16, v56
	v_mul_lo_u32 v56, v57, v239
	v_mul_lo_u32 v57, v61, v239
	v_cvt_f32_i32_e32 v57, v57
	v_cvt_f32_i32_e32 v56, v56
	v_pk_fma_f32 v[16:17], v[16:17], v[134:135], 0 op_sel_hi:[1,1,0]
	v_pk_fma_f32 v[86:87], v[120:121], v[132:133], 0 op_sel_hi:[0,1,0]
	v_mov_b32_e32 v61, 0
	v_pk_fma_f32 v[16:17], v[56:57], v[130:131], v[16:17]
	v_pk_fma_f32 v[56:57], v[126:127], v[18:19], v[86:87] op_sel_hi:[0,1,1]
	v_pk_mul_f32 v[56:57], v[56:57], v[104:105]
	v_pk_fma_f32 v[16:17], v[16:17], v[102:103], v[56:57] neg_lo:[0,0,1] neg_hi:[0,0,1]
	v_pk_add_f32 v[24:25], v[24:25], v[16:17]
	v_mov_b32_e32 v16, 0
	v_dot4c_i32_i8_e32 v16, v218, v8
	v_dot4c_i32_i8_e32 v16, v220, v9
	;; [unrolled: 1-line block ×16, first 2 shown]
	v_mul_lo_u32 v54, v54, v231
	v_mul_lo_u32 v16, v16, v231
	v_cvt_f32_i32_e32 v17, v16
	v_cvt_f32_i32_e32 v16, v54
	v_mul_lo_u32 v54, v55, v250
	v_mul_lo_u32 v55, v61, v250
	v_cvt_f32_i32_e32 v55, v55
	v_cvt_f32_i32_e32 v54, v54
	v_pk_fma_f32 v[16:17], v[16:17], v[134:135], 0 op_sel_hi:[1,1,0]
	v_pk_fma_f32 v[56:57], v[124:125], v[132:133], 0 op_sel_hi:[0,1,0]
	s_add_i32 s4, s4, 8
	v_pk_fma_f32 v[16:17], v[54:55], v[130:131], v[16:17]
	v_pk_fma_f32 v[54:55], v[128:129], v[18:19], v[56:57] op_sel_hi:[0,1,1]
	v_pk_mul_f32 v[54:55], v[54:55], v[108:109]
	v_pk_fma_f32 v[16:17], v[16:17], v[106:107], v[54:55] neg_lo:[0,0,1] neg_hi:[0,0,1]
	v_pk_add_f32 v[22:23], v[22:23], v[16:17]
	v_mov_b32_e32 v16, 0
	v_dot4c_i32_i8_e32 v16, v245, v8
	v_mov_b32_e32 v8, 0
	v_dot4c_i32_i8_e32 v16, v204, v9
	v_dot4c_i32_i8_e32 v8, v188, v4
	;; [unrolled: 1-line block ×15, first 2 shown]
	v_mul_lo_u32 v0, v255, v183
	v_mul_lo_u32 v1, v16, v183
	v_cvt_f32_i32_e32 v1, v1
	v_cvt_f32_i32_e32 v0, v0
	v_mul_lo_u32 v4, v254, v182
	v_mul_lo_u32 v5, v8, v182
	v_cvt_f32_i32_e32 v5, v5
	v_cvt_f32_i32_e32 v4, v4
	v_pk_fma_f32 v[2:3], v[116:117], v[132:133], 0 op_sel_hi:[0,1,0]
	v_pk_fma_f32 v[0:1], v[0:1], v[134:135], 0 op_sel_hi:[1,1,0]
	v_pk_fma_f32 v[2:3], v[114:115], v[18:19], v[2:3] op_sel_hi:[0,1,1]
	v_pk_fma_f32 v[0:1], v[4:5], v[130:131], v[0:1]
	v_pk_mul_f32 v[2:3], v[2:3], v[112:113]
	v_pk_fma_f32 v[0:1], v[0:1], v[110:111], v[2:3] neg_lo:[0,0,1] neg_hi:[0,0,1]
	s_add_i32 s17, s16, 8
	s_add_i32 s16, s16, 16
	;; [unrolled: 1-line block ×3, first 2 shown]
	v_pk_add_f32 v[20:21], v[20:21], v[0:1]
	v_add_u32_e32 v181, 32, v181
	v_add_u32_e32 v129, 8, v129
	;; [unrolled: 1-line block ×3, first 2 shown]
	s_cmp_lt_u32 s16, 24
	s_mov_b32 s16, s17
	s_cbranch_scc1 .LBB131_8
; %bb.9:                                ;   in Loop: Header=BB131_5 Depth=1
	s_add_i32 s0, s0, 1
	s_cmp_eq_u32 s0, s7
	s_barrier
	s_cbranch_scc0 .LBB131_5
; %bb.10:
	buffer_load_dword v1, off, s[20:23], 0 offset:32 ; 4-byte Folded Reload
	buffer_load_dword v2, off, s[20:23], 0 offset:36 ; 4-byte Folded Reload
.LBB131_11:
	s_waitcnt vmcnt(0)
	v_cmp_gt_u32_e32 vcc, s8, v2
	s_and_saveexec_b64 s[0:1], vcc
	s_cbranch_execz .LBB131_62
; %bb.12:
	v_add_u32_e32 v0, s6, v53
	v_mul_lo_u32 v5, v2, s10
	v_cmp_gt_u32_e32 vcc, s10, v0
	s_and_saveexec_b64 s[2:3], vcc
	s_cbranch_execz .LBB131_14
; %bb.13:
	v_add_u32_e32 v2, v0, v5
	v_mov_b32_e32 v3, 0
	v_lshlrev_b64 v[2:3], 2, v[2:3]
	s_waitcnt lgkmcnt(0)
	v_mov_b32_e32 v4, s13
	v_add_co_u32_e64 v2, s[0:1], s12, v2
	v_addc_co_u32_e64 v3, s[0:1], v4, v3, s[0:1]
	global_store_dword v[2:3], v50, off
.LBB131_14:
	s_or_b64 exec, exec, s[2:3]
	v_add_u32_e32 v2, 32, v0
	v_cmp_gt_u32_e64 s[0:1], s10, v2
	s_and_saveexec_b64 s[4:5], s[0:1]
	s_cbranch_execz .LBB131_16
; %bb.15:
	v_add_u32_e32 v6, v2, v5
	v_mov_b32_e32 v7, 0
	v_lshlrev_b64 v[6:7], 2, v[6:7]
	s_waitcnt lgkmcnt(0)
	v_mov_b32_e32 v3, s13
	v_add_co_u32_e64 v6, s[2:3], s12, v6
	v_addc_co_u32_e64 v7, s[2:3], v3, v7, s[2:3]
	global_store_dword v[6:7], v48, off
.LBB131_16:
	s_or_b64 exec, exec, s[4:5]
	v_add_u32_e32 v3, 64, v0
	v_cmp_gt_u32_e64 s[2:3], s10, v3
	s_and_saveexec_b64 s[6:7], s[2:3]
	;; [unrolled: 15-line block ×3, first 2 shown]
	s_cbranch_execz .LBB131_20
; %bb.19:
	v_add_u32_e32 v6, v4, v5
	v_mov_b32_e32 v7, 0
	v_lshlrev_b64 v[6:7], 2, v[6:7]
	s_waitcnt lgkmcnt(0)
	v_mov_b32_e32 v5, s13
	v_add_co_u32_e64 v6, s[6:7], s12, v6
	v_addc_co_u32_e64 v7, s[6:7], v5, v7, s[6:7]
	global_store_dword v[6:7], v44, off
.LBB131_20:
	s_or_b64 exec, exec, s[14:15]
	v_add3_u32 v5, v1, s11, 8
	v_cmp_gt_u32_e64 s[6:7], s8, v5
	s_and_b64 exec, exec, s[6:7]
	s_cbranch_execz .LBB131_62
; %bb.21:
	v_mul_lo_u32 v5, v5, s10
	s_and_saveexec_b64 s[14:15], vcc
	s_cbranch_execnz .LBB131_63
; %bb.22:
	s_or_b64 exec, exec, s[14:15]
	s_and_saveexec_b64 s[14:15], s[0:1]
	s_cbranch_execnz .LBB131_64
.LBB131_23:
	s_or_b64 exec, exec, s[14:15]
	s_and_saveexec_b64 s[14:15], s[2:3]
	s_cbranch_execnz .LBB131_65
.LBB131_24:
	s_or_b64 exec, exec, s[14:15]
	s_and_saveexec_b64 s[14:15], s[4:5]
	s_cbranch_execz .LBB131_26
.LBB131_25:
	v_add_u32_e32 v6, v5, v4
	v_mov_b32_e32 v7, 0
	v_lshlrev_b64 v[6:7], 2, v[6:7]
	s_waitcnt lgkmcnt(0)
	v_mov_b32_e32 v5, s13
	v_add_co_u32_e64 v6, s[6:7], s12, v6
	v_addc_co_u32_e64 v7, s[6:7], v5, v7, s[6:7]
	global_store_dword v[6:7], v45, off
.LBB131_26:
	s_or_b64 exec, exec, s[14:15]
	v_add3_u32 v5, v1, s11, 16
	v_cmp_gt_u32_e64 s[6:7], s8, v5
	s_and_b64 exec, exec, s[6:7]
	s_cbranch_execz .LBB131_62
; %bb.27:
	v_mul_lo_u32 v5, v5, s10
	s_and_saveexec_b64 s[14:15], vcc
	s_cbranch_execnz .LBB131_66
; %bb.28:
	s_or_b64 exec, exec, s[14:15]
	s_and_saveexec_b64 s[14:15], s[0:1]
	s_cbranch_execnz .LBB131_67
.LBB131_29:
	s_or_b64 exec, exec, s[14:15]
	s_and_saveexec_b64 s[14:15], s[2:3]
	s_cbranch_execnz .LBB131_68
.LBB131_30:
	s_or_b64 exec, exec, s[14:15]
	s_and_saveexec_b64 s[14:15], s[4:5]
	s_cbranch_execz .LBB131_32
.LBB131_31:
	v_add_u32_e32 v6, v5, v4
	v_mov_b32_e32 v7, 0
	v_lshlrev_b64 v[6:7], 2, v[6:7]
	s_waitcnt lgkmcnt(0)
	v_mov_b32_e32 v5, s13
	v_add_co_u32_e64 v6, s[6:7], s12, v6
	v_addc_co_u32_e64 v7, s[6:7], v5, v7, s[6:7]
	global_store_dword v[6:7], v36, off
.LBB131_32:
	s_or_b64 exec, exec, s[14:15]
	v_add3_u32 v5, v1, s11, 24
	v_cmp_gt_u32_e64 s[6:7], s8, v5
	s_and_b64 exec, exec, s[6:7]
	s_cbranch_execz .LBB131_62
; %bb.33:
	v_mul_lo_u32 v5, v5, s10
	s_and_saveexec_b64 s[14:15], vcc
	s_cbranch_execnz .LBB131_69
; %bb.34:
	s_or_b64 exec, exec, s[14:15]
	s_and_saveexec_b64 s[14:15], s[0:1]
	s_cbranch_execnz .LBB131_70
.LBB131_35:
	s_or_b64 exec, exec, s[14:15]
	s_and_saveexec_b64 s[14:15], s[2:3]
	s_cbranch_execnz .LBB131_71
.LBB131_36:
	s_or_b64 exec, exec, s[14:15]
	s_and_saveexec_b64 s[14:15], s[4:5]
	s_cbranch_execz .LBB131_38
.LBB131_37:
	v_add_u32_e32 v6, v5, v4
	v_mov_b32_e32 v7, 0
	v_lshlrev_b64 v[6:7], 2, v[6:7]
	s_waitcnt lgkmcnt(0)
	v_mov_b32_e32 v5, s13
	v_add_co_u32_e64 v6, s[6:7], s12, v6
	v_addc_co_u32_e64 v7, s[6:7], v5, v7, s[6:7]
	global_store_dword v[6:7], v37, off
.LBB131_38:
	s_or_b64 exec, exec, s[14:15]
	v_add3_u32 v5, v1, s11, 32
	v_cmp_gt_u32_e64 s[6:7], s8, v5
	s_and_b64 exec, exec, s[6:7]
	s_cbranch_execz .LBB131_62
; %bb.39:
	v_mul_lo_u32 v5, v5, s10
	s_and_saveexec_b64 s[14:15], vcc
	s_cbranch_execnz .LBB131_72
; %bb.40:
	s_or_b64 exec, exec, s[14:15]
	s_and_saveexec_b64 s[14:15], s[0:1]
	s_cbranch_execnz .LBB131_73
.LBB131_41:
	s_or_b64 exec, exec, s[14:15]
	s_and_saveexec_b64 s[14:15], s[2:3]
	s_cbranch_execnz .LBB131_74
.LBB131_42:
	s_or_b64 exec, exec, s[14:15]
	s_and_saveexec_b64 s[14:15], s[4:5]
	s_cbranch_execz .LBB131_44
.LBB131_43:
	v_add_u32_e32 v6, v5, v4
	v_mov_b32_e32 v7, 0
	v_lshlrev_b64 v[6:7], 2, v[6:7]
	s_waitcnt lgkmcnt(0)
	v_mov_b32_e32 v5, s13
	v_add_co_u32_e64 v6, s[6:7], s12, v6
	v_addc_co_u32_e64 v7, s[6:7], v5, v7, s[6:7]
	global_store_dword v[6:7], v28, off
.LBB131_44:
	s_or_b64 exec, exec, s[14:15]
	v_add3_u32 v5, v1, s11, 40
	v_cmp_gt_u32_e64 s[6:7], s8, v5
	s_and_b64 exec, exec, s[6:7]
	s_cbranch_execz .LBB131_62
; %bb.45:
	v_mul_lo_u32 v5, v5, s10
	s_and_saveexec_b64 s[14:15], vcc
	s_cbranch_execnz .LBB131_75
; %bb.46:
	s_or_b64 exec, exec, s[14:15]
	s_and_saveexec_b64 s[14:15], s[0:1]
	s_cbranch_execnz .LBB131_76
.LBB131_47:
	s_or_b64 exec, exec, s[14:15]
	s_and_saveexec_b64 s[14:15], s[2:3]
	s_cbranch_execnz .LBB131_77
.LBB131_48:
	s_or_b64 exec, exec, s[14:15]
	s_and_saveexec_b64 s[14:15], s[4:5]
	s_cbranch_execz .LBB131_50
.LBB131_49:
	v_add_u32_e32 v6, v5, v4
	v_mov_b32_e32 v7, 0
	v_lshlrev_b64 v[6:7], 2, v[6:7]
	s_waitcnt lgkmcnt(0)
	v_mov_b32_e32 v5, s13
	v_add_co_u32_e64 v6, s[6:7], s12, v6
	v_addc_co_u32_e64 v7, s[6:7], v5, v7, s[6:7]
	global_store_dword v[6:7], v29, off
.LBB131_50:
	s_or_b64 exec, exec, s[14:15]
	v_add3_u32 v5, v1, s11, 48
	v_cmp_gt_u32_e64 s[6:7], s8, v5
	s_and_b64 exec, exec, s[6:7]
	s_cbranch_execz .LBB131_62
; %bb.51:
	v_mul_lo_u32 v5, v5, s10
	s_and_saveexec_b64 s[14:15], vcc
	s_cbranch_execnz .LBB131_78
; %bb.52:
	s_or_b64 exec, exec, s[14:15]
	s_and_saveexec_b64 s[14:15], s[0:1]
	s_cbranch_execnz .LBB131_79
.LBB131_53:
	s_or_b64 exec, exec, s[14:15]
	s_and_saveexec_b64 s[14:15], s[2:3]
	s_cbranch_execnz .LBB131_80
.LBB131_54:
	s_or_b64 exec, exec, s[14:15]
	s_and_saveexec_b64 s[14:15], s[4:5]
	s_cbranch_execz .LBB131_56
.LBB131_55:
	v_add_u32_e32 v6, v5, v4
	v_mov_b32_e32 v7, 0
	v_lshlrev_b64 v[6:7], 2, v[6:7]
	s_waitcnt lgkmcnt(0)
	v_mov_b32_e32 v5, s13
	v_add_co_u32_e64 v6, s[6:7], s12, v6
	v_addc_co_u32_e64 v7, s[6:7], v5, v7, s[6:7]
	global_store_dword v[6:7], v20, off
.LBB131_56:
	s_or_b64 exec, exec, s[14:15]
	v_add3_u32 v1, v1, s11, 56
	v_cmp_gt_u32_e64 s[6:7], s8, v1
	s_and_b64 exec, exec, s[6:7]
	s_cbranch_execz .LBB131_62
; %bb.57:
	v_mul_lo_u32 v1, v1, s10
	s_and_saveexec_b64 s[6:7], vcc
	s_cbranch_execnz .LBB131_81
; %bb.58:
	s_or_b64 exec, exec, s[6:7]
	s_and_saveexec_b64 s[6:7], s[0:1]
	s_cbranch_execnz .LBB131_82
.LBB131_59:
	s_or_b64 exec, exec, s[6:7]
	s_and_saveexec_b64 s[0:1], s[2:3]
	s_cbranch_execnz .LBB131_83
.LBB131_60:
	s_or_b64 exec, exec, s[0:1]
	s_and_b64 exec, exec, s[4:5]
	s_cbranch_execz .LBB131_62
.LBB131_61:
	v_add_u32_e32 v0, v1, v4
	v_mov_b32_e32 v1, 0
	v_lshlrev_b64 v[0:1], 2, v[0:1]
	s_waitcnt lgkmcnt(0)
	v_mov_b32_e32 v2, s13
	v_add_co_u32_e32 v0, vcc, s12, v0
	v_addc_co_u32_e32 v1, vcc, v2, v1, vcc
	global_store_dword v[0:1], v21, off
.LBB131_62:
	s_endpgm
.LBB131_63:
	v_add_u32_e32 v6, v5, v0
	v_mov_b32_e32 v7, 0
	v_lshlrev_b64 v[6:7], 2, v[6:7]
	s_waitcnt lgkmcnt(0)
	v_mov_b32_e32 v8, s13
	v_add_co_u32_e64 v6, s[6:7], s12, v6
	v_addc_co_u32_e64 v7, s[6:7], v8, v7, s[6:7]
	global_store_dword v[6:7], v51, off
	s_or_b64 exec, exec, s[14:15]
	s_and_saveexec_b64 s[14:15], s[0:1]
	s_cbranch_execz .LBB131_23
.LBB131_64:
	v_add_u32_e32 v6, v5, v2
	v_mov_b32_e32 v7, 0
	v_lshlrev_b64 v[6:7], 2, v[6:7]
	s_waitcnt lgkmcnt(0)
	v_mov_b32_e32 v8, s13
	v_add_co_u32_e64 v6, s[6:7], s12, v6
	v_addc_co_u32_e64 v7, s[6:7], v8, v7, s[6:7]
	global_store_dword v[6:7], v49, off
	s_or_b64 exec, exec, s[14:15]
	s_and_saveexec_b64 s[14:15], s[2:3]
	s_cbranch_execz .LBB131_24
.LBB131_65:
	v_add_u32_e32 v6, v5, v3
	v_mov_b32_e32 v7, 0
	v_lshlrev_b64 v[6:7], 2, v[6:7]
	s_waitcnt lgkmcnt(0)
	v_mov_b32_e32 v8, s13
	v_add_co_u32_e64 v6, s[6:7], s12, v6
	v_addc_co_u32_e64 v7, s[6:7], v8, v7, s[6:7]
	global_store_dword v[6:7], v47, off
	s_or_b64 exec, exec, s[14:15]
	s_and_saveexec_b64 s[14:15], s[4:5]
	s_cbranch_execnz .LBB131_25
	s_branch .LBB131_26
.LBB131_66:
	v_add_u32_e32 v6, v5, v0
	v_mov_b32_e32 v7, 0
	v_lshlrev_b64 v[6:7], 2, v[6:7]
	s_waitcnt lgkmcnt(0)
	v_mov_b32_e32 v8, s13
	v_add_co_u32_e64 v6, s[6:7], s12, v6
	v_addc_co_u32_e64 v7, s[6:7], v8, v7, s[6:7]
	global_store_dword v[6:7], v42, off
	s_or_b64 exec, exec, s[14:15]
	s_and_saveexec_b64 s[14:15], s[0:1]
	s_cbranch_execz .LBB131_29
.LBB131_67:
	v_add_u32_e32 v6, v5, v2
	v_mov_b32_e32 v7, 0
	v_lshlrev_b64 v[6:7], 2, v[6:7]
	s_waitcnt lgkmcnt(0)
	v_mov_b32_e32 v8, s13
	v_add_co_u32_e64 v6, s[6:7], s12, v6
	v_addc_co_u32_e64 v7, s[6:7], v8, v7, s[6:7]
	global_store_dword v[6:7], v40, off
	s_or_b64 exec, exec, s[14:15]
	s_and_saveexec_b64 s[14:15], s[2:3]
	s_cbranch_execz .LBB131_30
.LBB131_68:
	v_add_u32_e32 v6, v5, v3
	v_mov_b32_e32 v7, 0
	v_lshlrev_b64 v[6:7], 2, v[6:7]
	s_waitcnt lgkmcnt(0)
	v_mov_b32_e32 v8, s13
	v_add_co_u32_e64 v6, s[6:7], s12, v6
	v_addc_co_u32_e64 v7, s[6:7], v8, v7, s[6:7]
	global_store_dword v[6:7], v38, off
	s_or_b64 exec, exec, s[14:15]
	s_and_saveexec_b64 s[14:15], s[4:5]
	s_cbranch_execnz .LBB131_31
	s_branch .LBB131_32
.LBB131_69:
	v_add_u32_e32 v6, v5, v0
	v_mov_b32_e32 v7, 0
	v_lshlrev_b64 v[6:7], 2, v[6:7]
	s_waitcnt lgkmcnt(0)
	v_mov_b32_e32 v8, s13
	v_add_co_u32_e64 v6, s[6:7], s12, v6
	v_addc_co_u32_e64 v7, s[6:7], v8, v7, s[6:7]
	global_store_dword v[6:7], v43, off
	s_or_b64 exec, exec, s[14:15]
	s_and_saveexec_b64 s[14:15], s[0:1]
	s_cbranch_execz .LBB131_35
.LBB131_70:
	v_add_u32_e32 v6, v5, v2
	v_mov_b32_e32 v7, 0
	v_lshlrev_b64 v[6:7], 2, v[6:7]
	s_waitcnt lgkmcnt(0)
	v_mov_b32_e32 v8, s13
	v_add_co_u32_e64 v6, s[6:7], s12, v6
	v_addc_co_u32_e64 v7, s[6:7], v8, v7, s[6:7]
	global_store_dword v[6:7], v41, off
	s_or_b64 exec, exec, s[14:15]
	s_and_saveexec_b64 s[14:15], s[2:3]
	s_cbranch_execz .LBB131_36
.LBB131_71:
	v_add_u32_e32 v6, v5, v3
	v_mov_b32_e32 v7, 0
	v_lshlrev_b64 v[6:7], 2, v[6:7]
	s_waitcnt lgkmcnt(0)
	v_mov_b32_e32 v8, s13
	v_add_co_u32_e64 v6, s[6:7], s12, v6
	v_addc_co_u32_e64 v7, s[6:7], v8, v7, s[6:7]
	global_store_dword v[6:7], v39, off
	s_or_b64 exec, exec, s[14:15]
	s_and_saveexec_b64 s[14:15], s[4:5]
	s_cbranch_execnz .LBB131_37
	s_branch .LBB131_38
.LBB131_72:
	v_add_u32_e32 v6, v5, v0
	v_mov_b32_e32 v7, 0
	v_lshlrev_b64 v[6:7], 2, v[6:7]
	s_waitcnt lgkmcnt(0)
	v_mov_b32_e32 v8, s13
	v_add_co_u32_e64 v6, s[6:7], s12, v6
	v_addc_co_u32_e64 v7, s[6:7], v8, v7, s[6:7]
	global_store_dword v[6:7], v34, off
	s_or_b64 exec, exec, s[14:15]
	s_and_saveexec_b64 s[14:15], s[0:1]
	s_cbranch_execz .LBB131_41
.LBB131_73:
	v_add_u32_e32 v6, v5, v2
	v_mov_b32_e32 v7, 0
	v_lshlrev_b64 v[6:7], 2, v[6:7]
	s_waitcnt lgkmcnt(0)
	v_mov_b32_e32 v8, s13
	v_add_co_u32_e64 v6, s[6:7], s12, v6
	v_addc_co_u32_e64 v7, s[6:7], v8, v7, s[6:7]
	global_store_dword v[6:7], v32, off
	s_or_b64 exec, exec, s[14:15]
	s_and_saveexec_b64 s[14:15], s[2:3]
	s_cbranch_execz .LBB131_42
.LBB131_74:
	v_add_u32_e32 v6, v5, v3
	v_mov_b32_e32 v7, 0
	v_lshlrev_b64 v[6:7], 2, v[6:7]
	s_waitcnt lgkmcnt(0)
	v_mov_b32_e32 v8, s13
	v_add_co_u32_e64 v6, s[6:7], s12, v6
	v_addc_co_u32_e64 v7, s[6:7], v8, v7, s[6:7]
	global_store_dword v[6:7], v30, off
	s_or_b64 exec, exec, s[14:15]
	s_and_saveexec_b64 s[14:15], s[4:5]
	s_cbranch_execnz .LBB131_43
	s_branch .LBB131_44
.LBB131_75:
	v_add_u32_e32 v6, v5, v0
	v_mov_b32_e32 v7, 0
	v_lshlrev_b64 v[6:7], 2, v[6:7]
	s_waitcnt lgkmcnt(0)
	v_mov_b32_e32 v8, s13
	v_add_co_u32_e64 v6, s[6:7], s12, v6
	v_addc_co_u32_e64 v7, s[6:7], v8, v7, s[6:7]
	global_store_dword v[6:7], v35, off
	s_or_b64 exec, exec, s[14:15]
	s_and_saveexec_b64 s[14:15], s[0:1]
	s_cbranch_execz .LBB131_47
.LBB131_76:
	v_add_u32_e32 v6, v5, v2
	v_mov_b32_e32 v7, 0
	v_lshlrev_b64 v[6:7], 2, v[6:7]
	s_waitcnt lgkmcnt(0)
	v_mov_b32_e32 v8, s13
	v_add_co_u32_e64 v6, s[6:7], s12, v6
	v_addc_co_u32_e64 v7, s[6:7], v8, v7, s[6:7]
	global_store_dword v[6:7], v33, off
	s_or_b64 exec, exec, s[14:15]
	s_and_saveexec_b64 s[14:15], s[2:3]
	s_cbranch_execz .LBB131_48
.LBB131_77:
	v_add_u32_e32 v6, v5, v3
	v_mov_b32_e32 v7, 0
	v_lshlrev_b64 v[6:7], 2, v[6:7]
	s_waitcnt lgkmcnt(0)
	v_mov_b32_e32 v8, s13
	v_add_co_u32_e64 v6, s[6:7], s12, v6
	v_addc_co_u32_e64 v7, s[6:7], v8, v7, s[6:7]
	global_store_dword v[6:7], v31, off
	s_or_b64 exec, exec, s[14:15]
	s_and_saveexec_b64 s[14:15], s[4:5]
	s_cbranch_execnz .LBB131_49
	s_branch .LBB131_50
.LBB131_78:
	v_add_u32_e32 v6, v5, v0
	v_mov_b32_e32 v7, 0
	v_lshlrev_b64 v[6:7], 2, v[6:7]
	s_waitcnt lgkmcnt(0)
	v_mov_b32_e32 v8, s13
	v_add_co_u32_e64 v6, s[6:7], s12, v6
	v_addc_co_u32_e64 v7, s[6:7], v8, v7, s[6:7]
	global_store_dword v[6:7], v26, off
	s_or_b64 exec, exec, s[14:15]
	s_and_saveexec_b64 s[14:15], s[0:1]
	s_cbranch_execz .LBB131_53
.LBB131_79:
	v_add_u32_e32 v6, v5, v2
	v_mov_b32_e32 v7, 0
	v_lshlrev_b64 v[6:7], 2, v[6:7]
	s_waitcnt lgkmcnt(0)
	v_mov_b32_e32 v8, s13
	v_add_co_u32_e64 v6, s[6:7], s12, v6
	v_addc_co_u32_e64 v7, s[6:7], v8, v7, s[6:7]
	global_store_dword v[6:7], v24, off
	s_or_b64 exec, exec, s[14:15]
	s_and_saveexec_b64 s[14:15], s[2:3]
	s_cbranch_execz .LBB131_54
.LBB131_80:
	v_add_u32_e32 v6, v5, v3
	v_mov_b32_e32 v7, 0
	v_lshlrev_b64 v[6:7], 2, v[6:7]
	s_waitcnt lgkmcnt(0)
	v_mov_b32_e32 v8, s13
	v_add_co_u32_e64 v6, s[6:7], s12, v6
	v_addc_co_u32_e64 v7, s[6:7], v8, v7, s[6:7]
	global_store_dword v[6:7], v22, off
	s_or_b64 exec, exec, s[14:15]
	s_and_saveexec_b64 s[14:15], s[4:5]
	s_cbranch_execnz .LBB131_55
	s_branch .LBB131_56
.LBB131_81:
	v_add_u32_e32 v6, v1, v0
	v_mov_b32_e32 v7, 0
	v_lshlrev_b64 v[6:7], 2, v[6:7]
	s_waitcnt lgkmcnt(0)
	v_mov_b32_e32 v0, s13
	v_add_co_u32_e32 v6, vcc, s12, v6
	v_addc_co_u32_e32 v7, vcc, v0, v7, vcc
	global_store_dword v[6:7], v27, off
	s_or_b64 exec, exec, s[6:7]
	s_and_saveexec_b64 s[6:7], s[0:1]
	s_cbranch_execz .LBB131_59
.LBB131_82:
	v_add_u32_e32 v6, v1, v2
	v_mov_b32_e32 v7, 0
	v_lshlrev_b64 v[6:7], 2, v[6:7]
	s_waitcnt lgkmcnt(0)
	v_mov_b32_e32 v0, s13
	v_add_co_u32_e32 v6, vcc, s12, v6
	v_addc_co_u32_e32 v7, vcc, v0, v7, vcc
	global_store_dword v[6:7], v25, off
	s_or_b64 exec, exec, s[6:7]
	s_and_saveexec_b64 s[0:1], s[2:3]
	s_cbranch_execz .LBB131_60
.LBB131_83:
	v_add_u32_e32 v2, v1, v3
	v_mov_b32_e32 v3, 0
	v_lshlrev_b64 v[2:3], 2, v[2:3]
	s_waitcnt lgkmcnt(0)
	v_mov_b32_e32 v0, s13
	v_add_co_u32_e32 v2, vcc, s12, v2
	v_addc_co_u32_e32 v3, vcc, v0, v3, vcc
	global_store_dword v[2:3], v23, off
	s_or_b64 exec, exec, s[0:1]
	s_and_b64 exec, exec, s[4:5]
	s_cbranch_execnz .LBB131_61
	s_branch .LBB131_62
	.section	.rodata,"a",@progbits
	.p2align	6, 0x0
	.amdhsa_kernel _ZL12mul_mat_q4_KIfLb0EEvPKvS1_PT_iiiii
		.amdhsa_group_segment_fixed_size 28752
		.amdhsa_private_segment_fixed_size 44
		.amdhsa_kernarg_size 44
		.amdhsa_user_sgpr_count 6
		.amdhsa_user_sgpr_private_segment_buffer 1
		.amdhsa_user_sgpr_dispatch_ptr 0
		.amdhsa_user_sgpr_queue_ptr 0
		.amdhsa_user_sgpr_kernarg_segment_ptr 1
		.amdhsa_user_sgpr_dispatch_id 0
		.amdhsa_user_sgpr_flat_scratch_init 0
		.amdhsa_user_sgpr_kernarg_preload_length 0
		.amdhsa_user_sgpr_kernarg_preload_offset 0
		.amdhsa_user_sgpr_private_segment_size 0
		.amdhsa_uses_dynamic_stack 0
		.amdhsa_system_sgpr_private_segment_wavefront_offset 1
		.amdhsa_system_sgpr_workgroup_id_x 1
		.amdhsa_system_sgpr_workgroup_id_y 1
		.amdhsa_system_sgpr_workgroup_id_z 0
		.amdhsa_system_sgpr_workgroup_info 0
		.amdhsa_system_vgpr_workitem_id 1
		.amdhsa_next_free_vgpr 256
		.amdhsa_next_free_sgpr 24
		.amdhsa_accum_offset 256
		.amdhsa_reserve_vcc 1
		.amdhsa_reserve_flat_scratch 0
		.amdhsa_float_round_mode_32 0
		.amdhsa_float_round_mode_16_64 0
		.amdhsa_float_denorm_mode_32 3
		.amdhsa_float_denorm_mode_16_64 3
		.amdhsa_dx10_clamp 1
		.amdhsa_ieee_mode 1
		.amdhsa_fp16_overflow 0
		.amdhsa_tg_split 0
		.amdhsa_exception_fp_ieee_invalid_op 0
		.amdhsa_exception_fp_denorm_src 0
		.amdhsa_exception_fp_ieee_div_zero 0
		.amdhsa_exception_fp_ieee_overflow 0
		.amdhsa_exception_fp_ieee_underflow 0
		.amdhsa_exception_fp_ieee_inexact 0
		.amdhsa_exception_int_div_zero 0
	.end_amdhsa_kernel
	.section	.text._ZL12mul_mat_q4_KIfLb0EEvPKvS1_PT_iiiii,"axG",@progbits,_ZL12mul_mat_q4_KIfLb0EEvPKvS1_PT_iiiii,comdat
.Lfunc_end131:
	.size	_ZL12mul_mat_q4_KIfLb0EEvPKvS1_PT_iiiii, .Lfunc_end131-_ZL12mul_mat_q4_KIfLb0EEvPKvS1_PT_iiiii
                                        ; -- End function
	.section	.AMDGPU.csdata,"",@progbits
; Kernel info:
; codeLenInByte = 17296
; NumSgprs: 28
; NumVgprs: 256
; NumAgprs: 0
; TotalNumVgprs: 256
; ScratchSize: 44
; MemoryBound: 0
; FloatMode: 240
; IeeeMode: 1
; LDSByteSize: 28752 bytes/workgroup (compile time only)
; SGPRBlocks: 3
; VGPRBlocks: 31
; NumSGPRsForWavesPerEU: 28
; NumVGPRsForWavesPerEU: 256
; AccumOffset: 256
; Occupancy: 2
; WaveLimiterHint : 0
; COMPUTE_PGM_RSRC2:SCRATCH_EN: 1
; COMPUTE_PGM_RSRC2:USER_SGPR: 6
; COMPUTE_PGM_RSRC2:TRAP_HANDLER: 0
; COMPUTE_PGM_RSRC2:TGID_X_EN: 1
; COMPUTE_PGM_RSRC2:TGID_Y_EN: 1
; COMPUTE_PGM_RSRC2:TGID_Z_EN: 0
; COMPUTE_PGM_RSRC2:TIDIG_COMP_CNT: 1
; COMPUTE_PGM_RSRC3_GFX90A:ACCUM_OFFSET: 63
; COMPUTE_PGM_RSRC3_GFX90A:TG_SPLIT: 0
	.section	.text._ZL12mul_mat_q4_KIfLb1EEvPKvS1_PT_iiiii,"axG",@progbits,_ZL12mul_mat_q4_KIfLb1EEvPKvS1_PT_iiiii,comdat
	.globl	_ZL12mul_mat_q4_KIfLb1EEvPKvS1_PT_iiiii ; -- Begin function _ZL12mul_mat_q4_KIfLb1EEvPKvS1_PT_iiiii
	.p2align	8
	.type	_ZL12mul_mat_q4_KIfLb1EEvPKvS1_PT_iiiii,@function
_ZL12mul_mat_q4_KIfLb1EEvPKvS1_PT_iiiii: ; @_ZL12mul_mat_q4_KIfLb1EEvPKvS1_PT_iiiii
; %bb.0:
	s_mov_b64 s[22:23], s[2:3]
	s_mov_b64 s[20:21], s[0:1]
	s_add_u32 s20, s20, s8
	s_load_dwordx4 s[8:11], s[4:5], 0x18
	s_load_dword s14, s[4:5], 0x28
	s_addc_u32 s21, s21, 0
	s_lshl_b32 s15, s7, 6
	v_bfe_u32 v48, v0, 10, 10
	s_waitcnt lgkmcnt(0)
	s_cmpk_gt_i32 s8, 0xff
	s_cbranch_scc1 .LBB132_2
; %bb.1:
	v_bfe_u32 v1, v0, 10, 10
	v_and_b32_e32 v80, 0x3ff, v0
	v_add_u32_e32 v2, s15, v1
	s_mov_b64 s[0:1], 0
	s_mov_b32 s2, 0
	s_branch .LBB132_3
.LBB132_2:
	s_mov_b64 s[0:1], -1
                                        ; implicit-def: $sgpr2
                                        ; implicit-def: $vgpr1
                                        ; implicit-def: $vgpr80
                                        ; implicit-def: $vgpr2
.LBB132_3:
	s_load_dwordx2 s[12:13], s[4:5], 0x10
	s_lshl_b32 s6, s6, 7
	s_andn2_b64 vcc, exec, s[0:1]
	v_mov_b32_e32 v21, s2
	v_mov_b32_e32 v20, s2
	;; [unrolled: 1-line block ×32, first 2 shown]
	s_cbranch_vccnz .LBB132_11
; %bb.4:
	v_and_b32_e32 v80, 0x3ff, v0
	v_lshlrev_b32_e32 v0, 2, v80
	v_and_b32_e32 v2, 0x7c, v0
	buffer_store_dword v2, off, s[20:23], 0 ; 4-byte Folded Spill
	s_nop 0
	buffer_store_dword v3, off, s[20:23], 0 offset:4 ; 4-byte Folded Spill
	s_load_dwordx4 s[0:3], s[4:5], 0x0
	s_ashr_i32 s4, s8, 31
	s_lshr_b32 s4, s4, 24
	s_add_i32 s4, s8, s4
	s_ashr_i32 s7, s4, 8
	s_ashr_i32 s4, s11, 31
	s_lshr_b32 s4, s4, 27
	s_add_i32 s4, s11, s4
	s_mul_i32 s5, s7, s6
	s_ashr_i32 s4, s4, 5
	s_mul_hi_i32 s16, s5, 0x90
	s_mulk_i32 s5, 0x90
	s_waitcnt lgkmcnt(0)
	s_add_u32 s11, s0, s5
	s_addc_u32 s16, s1, s16
	s_not_b32 s0, s6
	s_add_i32 s5, s0, s9
	v_min_i32_e32 v1, s5, v48
	v_mul_lo_u32 v2, v1, s7
	s_movk_i32 s1, 0x84
	v_mad_u64_u32 v[56:57], s[18:19], v1, s1, v[0:1]
	v_add_u32_e32 v1, 8, v48
	v_add_u32_e32 v7, 24, v48
	;; [unrolled: 1-line block ×6, first 2 shown]
	v_lshlrev_b32_e32 v57, 5, v48
	s_movk_i32 s9, 0x6e40
	v_and_b32_e32 v6, 4, v0
	v_and_b32_e32 v20, 28, v0
	s_movk_i32 s17, 0x6200
	v_add_u32_e32 v22, s15, v48
	v_and_b32_e32 v19, 31, v80
	v_lshlrev_b32_e32 v77, 5, v1
	v_lshlrev_b32_e32 v89, 5, v7
	;; [unrolled: 1-line block ×4, first 2 shown]
	v_lshrrev_b32_e32 v24, 5, v80
	s_mov_b32 s0, 0
	v_mad_u32_u24 v153, v80, s1, 64
	v_mov_b32_e32 v21, s3
	v_lshrrev_b32_e32 v76, 3, v80
	s_movk_i32 s8, 0x90
	v_mov_b32_e32 v72, v24
	v_lshlrev_b32_e32 v168, 4, v80
	v_lshlrev_b32_e32 v172, 2, v76
	;; [unrolled: 1-line block ×3, first 2 shown]
	buffer_store_dword v2, off, s[20:23], 0 offset:8 ; 4-byte Folded Spill
	s_nop 0
	buffer_store_dword v3, off, s[20:23], 0 offset:12 ; 4-byte Folded Spill
	v_min_i32_e32 v2, s5, v1
	v_mul_lo_u32 v4, v2, s7
	buffer_store_dword v4, off, s[20:23], 0 offset:16 ; 4-byte Folded Spill
	s_nop 0
	buffer_store_dword v5, off, s[20:23], 0 offset:20 ; 4-byte Folded Spill
	v_add_u32_e32 v5, 16, v48
	v_mad_u64_u32 v[60:61], s[18:19], v2, s1, v[0:1]
	v_min_i32_e32 v2, s5, v5
	v_mul_lo_u32 v4, v2, s7
	buffer_store_dword v4, off, s[20:23], 0 offset:24 ; 4-byte Folded Spill
	s_nop 0
	buffer_store_dword v5, off, s[20:23], 0 offset:28 ; 4-byte Folded Spill
	v_mad_u64_u32 v[64:65], s[18:19], v2, s1, v[0:1]
	v_min_i32_e32 v2, s5, v7
	v_mul_lo_u32 v4, v2, s7
	v_mad_u64_u32 v[70:71], s[18:19], v2, s1, v[0:1]
	v_min_i32_e32 v2, s5, v10
	v_mad_u64_u32 v[74:75], s[18:19], v2, s1, v[0:1]
	buffer_store_dword v4, off, s[20:23], 0 offset:32 ; 4-byte Folded Spill
	s_nop 0
	buffer_store_dword v5, off, s[20:23], 0 offset:36 ; 4-byte Folded Spill
	v_mul_lo_u32 v4, v2, s7
	v_min_i32_e32 v2, s5, v11
	v_mad_u64_u32 v[78:79], s[18:19], v2, s1, v[0:1]
	buffer_store_dword v4, off, s[20:23], 0 offset:40 ; 4-byte Folded Spill
	s_nop 0
	buffer_store_dword v5, off, s[20:23], 0 offset:44 ; 4-byte Folded Spill
	v_mul_lo_u32 v4, v2, s7
	;; [unrolled: 6-line block ×4, first 2 shown]
	v_add_u32_e32 v2, 64, v48
	v_min_i32_e32 v2, s5, v2
	v_mul_lo_u32 v88, v2, s7
	v_mad_u64_u32 v[90:91], s[18:19], v2, s1, v[0:1]
	v_add_u32_e32 v2, 0x48, v48
	v_min_i32_e32 v2, s5, v2
	v_mul_lo_u32 v92, v2, s7
	v_mad_u64_u32 v[94:95], s[18:19], v2, s1, v[0:1]
	;; [unrolled: 4-line block ×8, first 2 shown]
	v_add_u32_e32 v2, v57, v80
	v_and_b32_e32 v2, 0x7f, v2
	v_min_i32_e32 v2, s5, v2
	v_ashrrev_i32_e32 v3, 31, v2
	v_lshrrev_b32_e32 v3, 27, v3
	v_add_u32_e32 v3, v2, v3
	v_ashrrev_i32_e32 v3, 5, v3
	v_mul_lo_u32 v120, v2, s7
	v_lshlrev_b32_e32 v3, 2, v3
	v_lshlrev_b32_e32 v2, 2, v2
	v_add3_u32 v73, v3, v2, s9
	v_lshrrev_b32_e32 v2, 2, v80
	v_lshl_add_u32 v3, v48, 3, v2
	v_and_b32_e32 v2, 3, v80
	v_cmp_gt_u32_e32 vcc, 2, v2
	v_lshlrev_b32_e32 v15, 2, v2
	v_or_b32_e32 v1, v77, v19
	v_lshlrev_b32_e32 v95, 5, v10
	v_lshlrev_b32_e32 v107, 5, v12
	buffer_store_dword v4, off, s[20:23], 0 offset:64 ; 4-byte Folded Spill
	s_nop 0
	buffer_store_dword v5, off, s[20:23], 0 offset:68 ; 4-byte Folded Spill
	v_add_u32_e32 v4, 0xfe, v2
	v_cndmask_b32_e32 v4, v4, v2, vcc
	v_and_b32_e32 v8, 0xff, v4
	v_cmp_ne_u32_e32 vcc, 0, v2
	v_addc_co_u32_e32 v4, vcc, 0, v8, vcc
	v_lshlrev_b32_e32 v63, 1, v8
	v_and_b32_e32 v8, 0x7f, v3
	v_min_i32_e32 v9, s5, v8
	v_ashrrev_i32_e32 v14, 31, v9
	v_xor_b32_e32 v8, 64, v8
	v_lshrrev_b32_e32 v14, 29, v14
	v_min_i32_e32 v8, s5, v8
	v_mul_lo_u32 v122, v9, s7
	v_add_u32_e32 v14, v9, v14
	v_lshlrev_b32_e32 v16, 4, v9
	v_ashrrev_i32_e32 v9, 31, v8
	v_cmp_lt_u32_e32 vcc, 1, v2
	v_lshrrev_b32_e32 v9, 29, v9
	v_and_b32_e32 v3, 63, v3
	v_cndmask_b32_e32 v61, 0, v6, vcc
	v_cndmask_b32_e64 v6, 0, 1, vcc
	v_add_u32_e32 v9, v8, v9
	s_add_i32 s5, s10, -1
	v_add_co_u32_e32 v126, vcc, s2, v20
	v_or_b32_e32 v20, s15, v3
	v_ashrrev_i32_e32 v9, 3, v9
	v_min_i32_e32 v20, s5, v20
	v_lshlrev_b32_e32 v9, 2, v9
	v_mad_u64_u32 v[128:129], s[18:19], v20, s4, v[2:3]
	v_lshl_or_b32 v2, v3, 4, v15
	v_mul_lo_u32 v124, v8, s7
	v_add3_u32 v17, v9, v15, s17
	v_lshlrev_b32_e32 v18, 4, v8
	v_cvt_f64_i32_e32 v[8:9], s5
	v_add_u32_e32 v65, 0x6a40, v2
	v_cvt_f64_u32_e32 v[2:3], v22
	v_ashrrev_i32_e32 v14, 3, v14
	v_min_f64 v[2:3], v[2:3], v[8:9]
	v_lshlrev_b32_e32 v14, 2, v14
	v_cvt_i32_f64_e32 v2, v[2:3]
	v_add3_u32 v14, v14, v15, s17
	v_mul_lo_u32 v71, s4, v2
	v_or_b32_e32 v2, v57, v19
	v_mov_b32_e32 v15, 0x4200
	v_lshl_add_u32 v84, v2, 2, v15
	v_add_u32_e32 v2, 8, v22
	v_cvt_f64_u32_e32 v[2:3], v2
	v_min_f64 v[2:3], v[2:3], v[8:9]
	v_cvt_i32_f64_e32 v2, v[2:3]
	v_lshl_add_u32 v79, v1, 2, v15
	v_add_u32_e32 v1, 16, v22
	v_mul_lo_u32 v75, s4, v2
	v_cvt_f64_u32_e32 v[2:3], v1
	v_min_f64 v[2:3], v[2:3], v[8:9]
	v_cvt_i32_f64_e32 v1, v[2:3]
	v_mul_lo_u32 v81, s4, v1
	v_addc_co_u32_e32 v127, vcc, 0, v21, vcc
	buffer_store_dword v22, off, s[20:23], 0 offset:76 ; 4-byte Folded Spill
	v_mul_u32_u24_e32 v129, 0x84, v80
	v_lshl_add_u32 v157, v48, 7, v15
	v_lshlrev_b32_e32 v173, 2, v4
	v_lshlrev_b32_e32 v174, 2, v6
	v_add_u32_e32 v175, v14, v16
	v_add_u32_e32 v176, v17, v18
	buffer_store_dword v48, off, s[20:23], 0 offset:72 ; 4-byte Folded Spill
	v_lshlrev_b32_e32 v83, 5, v5
	v_or_b32_e32 v1, v83, v19
	v_lshl_add_u32 v85, v1, 2, v15
	v_add_u32_e32 v1, 24, v22
	v_cvt_f64_u32_e32 v[2:3], v1
	v_min_f64 v[2:3], v[2:3], v[8:9]
	v_cvt_i32_f64_e32 v1, v[2:3]
	v_mul_lo_u32 v87, s4, v1
	v_or_b32_e32 v1, v89, v19
	v_lshl_add_u32 v91, v1, 2, v15
	v_add_u32_e32 v1, 32, v22
	v_cvt_f64_u32_e32 v[2:3], v1
	v_min_f64 v[2:3], v[2:3], v[8:9]
	v_cvt_i32_f64_e32 v1, v[2:3]
	v_mul_lo_u32 v93, s4, v1
	;; [unrolled: 7-line block ×5, first 2 shown]
	v_or_b32_e32 v1, v113, v19
	v_lshl_add_u32 v115, v1, 2, v15
	v_lshlrev_b32_e32 v1, 2, v24
	v_add3_u32 v117, v1, v0, s9
	v_add_u32_e32 v1, 32, v80
	v_lshrrev_b32_e32 v119, 3, v1
	v_lshlrev_b32_e32 v2, 2, v1
	v_and_b32_e32 v1, 60, v119
	v_add3_u32 v121, v0, v1, s9
	v_add_u32_e32 v1, 64, v80
	v_lshlrev_b32_e32 v3, 2, v1
	v_lshrrev_b32_e32 v1, 3, v1
	v_and_b32_e32 v5, 60, v1
	v_add3_u32 v123, v0, v5, s9
	v_add_u32_e32 v5, 0x60, v80
	v_lshlrev_b32_e32 v7, 2, v5
	v_lshrrev_b32_e32 v5, 3, v5
	v_and_b32_e32 v8, 60, v5
	v_add3_u32 v125, v0, v8, s9
	v_mov_b32_e32 v8, 0x1080
	v_mad_u32_u24 v147, v80, s1, v8
	v_mov_b32_e32 v8, 0x2100
	v_mad_u32_u24 v149, v80, s1, v8
	;; [unrolled: 2-line block ×3, first 2 shown]
	s_mov_b32 s1, s0
	v_mov_b32_e32 v8, 0x6a40
	v_pk_mov_b32 v[66:67], s[0:1], s[0:1] op_sel:[0,1]
	v_lshl_add_u32 v155, v48, 4, v8
	v_lshlrev_b32_e32 v169, 2, v5
	v_lshlrev_b32_e32 v170, 2, v1
	;; [unrolled: 1-line block ×3, first 2 shown]
	s_mov_b32 s1, 0x30303030
	v_lshlrev_b32_e32 v177, 2, v2
	v_lshlrev_b32_e32 v178, 2, v3
	;; [unrolled: 1-line block ×3, first 2 shown]
	v_pk_mov_b32 v[42:43], v[66:67], v[66:67] op_sel:[0,1]
	v_pk_mov_b32 v[34:35], v[66:67], v[66:67] op_sel:[0,1]
	;; [unrolled: 1-line block ×15, first 2 shown]
.LBB132_5:                              ; =>This Loop Header: Depth=1
                                        ;     Child Loop BB132_6 Depth 2
                                        ;     Child Loop BB132_8 Depth 2
	buffer_load_dword v4, off, s[20:23], 0  ; 4-byte Folded Reload
	buffer_load_dword v5, off, s[20:23], 0 offset:4 ; 4-byte Folded Reload
	s_mul_i32 s4, s0, 0x90
	s_mul_hi_u32 s5, s0, 0x90
	s_add_u32 s4, s11, s4
	s_addc_u32 s5, s16, s5
	v_pk_mov_b32 v[0:1], s[4:5], s[4:5] op_sel:[0,1]
	v_mad_u64_u32 v[2:3], s[4:5], v72, s8, v[0:1]
	s_lshl_b32 s9, s0, 3
	v_add_u32_e32 v143, s9, v128
	s_mov_b32 s18, 0
	s_waitcnt vmcnt(1)
	v_add_co_u32_e32 v2, vcc, v2, v4
	buffer_load_dword v4, off, s[20:23], 0 offset:8 ; 4-byte Folded Reload
	buffer_load_dword v5, off, s[20:23], 0 offset:12 ; 4-byte Folded Reload
	;; [unrolled: 1-line block ×16, first 2 shown]
	v_addc_co_u32_e32 v3, vcc, 0, v3, vcc
	v_add_co_u32_e32 v2, vcc, 16, v2
	v_addc_co_u32_e32 v3, vcc, 0, v3, vcc
	s_waitcnt vmcnt(14)
	v_mad_i64_i32 v[4:5], s[4:5], v4, s8, v[2:3]
	s_waitcnt vmcnt(12)
	v_mad_i64_i32 v[6:7], s[4:5], v6, s8, v[2:3]
	;; [unrolled: 2-line block ×5, first 2 shown]
	v_mad_i64_i32 v[10:11], s[4:5], v10, s8, v[2:3]
	v_mad_i64_i32 v[12:13], s[4:5], v12, s8, v[2:3]
	v_mad_i64_i32 v[14:15], s[4:5], v14, s8, v[2:3]
	global_load_dword v48, v[4:5], off
	global_load_dword v49, v[6:7], off
	;; [unrolled: 1-line block ×7, first 2 shown]
	s_nop 0
	global_load_dword v18, v[18:19], off
	v_mad_i64_i32 v[4:5], s[4:5], v88, s8, v[2:3]
	v_mad_i64_i32 v[16:17], s[4:5], v112, s8, v[2:3]
	;; [unrolled: 1-line block ×8, first 2 shown]
	global_load_dword v19, v[4:5], off
	global_load_dword v59, v[6:7], off
	;; [unrolled: 1-line block ×6, first 2 shown]
	s_nop 0
	global_load_dword v16, v[16:17], off
	s_nop 0
	global_load_dword v17, v[2:3], off
	v_mad_i64_i32 v[4:5], s[4:5], v122, s8, v[0:1]
	v_add_co_u32_e32 v6, vcc, 4, v4
	v_addc_co_u32_e32 v7, vcc, 0, v5, vcc
	v_add_co_u32_e32 v4, vcc, v6, v173
	v_addc_co_u32_e32 v5, vcc, 0, v7, vcc
	v_add_co_u32_e32 v6, vcc, v6, v174
	v_mad_i64_i32 v[2:3], s[4:5], v120, s8, v[0:1]
	v_addc_co_u32_e32 v7, vcc, 0, v7, vcc
	v_mad_i64_i32 v[0:1], s[4:5], v124, s8, v[0:1]
	v_add_co_u32_e32 v8, vcc, 4, v0
	v_addc_co_u32_e32 v9, vcc, 0, v1, vcc
	v_add_co_u32_e32 v0, vcc, v8, v173
	v_addc_co_u32_e32 v1, vcc, 0, v9, vcc
	;; [unrolled: 2-line block ×3, first 2 shown]
	global_load_dword v131, v[2:3], off
	global_load_dword v132, v[4:5], off
	;; [unrolled: 1-line block ×5, first 2 shown]
	v_add_u32_e32 v14, s9, v76
	v_add_u32_e32 v0, v14, v71
	;; [unrolled: 1-line block ×6, first 2 shown]
	v_mad_i64_i32 v[0:1], s[4:5], v0, 36, v[126:127]
	v_mad_i64_i32 v[2:3], s[4:5], v2, 36, v[126:127]
	;; [unrolled: 1-line block ×5, first 2 shown]
	v_add_u32_e32 v10, v14, v99
	v_add_u32_e32 v12, v14, v105
	;; [unrolled: 1-line block ×3, first 2 shown]
	v_mad_i64_i32 v[10:11], s[4:5], v10, 36, v[126:127]
	v_mad_i64_i32 v[12:13], s[4:5], v12, 36, v[126:127]
	v_mad_i64_i32 v[14:15], s[4:5], v14, 36, v[126:127]
	global_load_dword v136, v[0:1], off offset:4
	s_nop 0
	global_load_dword v2, v[2:3], off offset:4
	s_nop 0
	;; [unrolled: 2-line block ×3, first 2 shown]
	global_load_dword v4, v[6:7], off offset:4
	global_load_dword v5, v[8:9], off offset:4
	s_nop 0
	global_load_dword v6, v[10:11], off offset:4
	global_load_dword v7, v[12:13], off offset:4
	;; [unrolled: 1-line block ×3, first 2 shown]
	v_mad_u64_u32 v[0:1], s[4:5], v143, 36, s[2:3]
	global_load_dword v0, v[0:1], off
	s_waitcnt vmcnt(29)
	ds_write_b32 v56, v48
	s_waitcnt vmcnt(28)
	ds_write_b32 v60, v49
	;; [unrolled: 2-line block ×17, first 2 shown]
	s_waitcnt vmcnt(12)
	v_ashrrev_i32_e32 v1, v61, v132
	v_and_b32_e32 v1, 0xf0f0f0f, v1
	s_waitcnt vmcnt(11)
	v_ashrrev_i32_e32 v9, v63, v133
	v_and_or_b32 v1, v9, s1, v1
	ds_write_b32 v175, v1
	s_waitcnt vmcnt(10)
	v_ashrrev_i32_e32 v1, v61, v134
	v_and_b32_e32 v1, 0xf0f0f0f, v1
	s_waitcnt vmcnt(9)
	v_ashrrev_i32_e32 v9, v63, v135
	v_and_or_b32 v1, v9, s1, v1
	ds_write_b32 v176, v1
	s_waitcnt vmcnt(8)
	ds_write_b32 v84, v136
	s_waitcnt vmcnt(7)
	;; [unrolled: 2-line block ×9, first 2 shown]
	ds_write_b32 v65, v0
	s_waitcnt lgkmcnt(0)
	s_barrier
	ds_read_b32 v0, v117
	ds_read_b32 v1, v121 offset:128
	ds_read_b32 v2, v123 offset:256
	;; [unrolled: 1-line block ×3, first 2 shown]
	s_mov_b64 s[4:5], -1
	s_waitcnt lgkmcnt(3)
	v_cvt_f32_f16_e32 v16, v0
	v_cvt_f32_f16_sdwa v18, v0 dst_sel:DWORD dst_unused:UNUSED_PAD src0_sel:WORD_1
	s_waitcnt lgkmcnt(2)
	v_cvt_f32_f16_e32 v130, v1
	v_cvt_f32_f16_sdwa v132, v1 dst_sel:DWORD dst_unused:UNUSED_PAD src0_sel:WORD_1
	;; [unrolled: 3-line block ×4, first 2 shown]
	v_mov_b32_e32 v17, v16
	v_mov_b32_e32 v19, v18
	;; [unrolled: 1-line block ×8, first 2 shown]
.LBB132_6:                              ;   Parent Loop BB132_5 Depth=1
                                        ; =>  This Inner Loop Header: Depth=2
	s_lshl_b32 s17, s18, 1
	s_lshr_b32 s19, s18, 2
	v_or_b32_e32 v0, s17, v57
	s_lshl_b32 s18, s18, 2
	v_lshlrev_b32_e32 v1, 2, v0
	v_add_u32_e32 v49, s18, v129
	v_lshrrev_b32_e32 v48, 1, v0
	ds_read_b128 v[12:15], v1 offset:16896
	ds_read_b128 v[8:11], v1 offset:16912
	ds_read_b128 v[4:7], v1 offset:16928
	ds_read_b128 v[0:3], v1 offset:16944
	ds_read_b64 v[158:159], v48 offset:27200
	ds_read2_b32 v[50:51], v49 offset1:1
	ds_read2_b32 v[52:53], v49 offset0:2 offset1:3
	ds_read2_b32 v[144:145], v49 offset0:4 offset1:5
	;; [unrolled: 1-line block ×3, first 2 shown]
	s_addk_i32 s19, 0x6200
	s_waitcnt lgkmcnt(3)
	v_and_b32_e32 v193, 0xf0f0f0f, v50
	v_lshrrev_b32_e32 v50, 4, v50
	v_add3_u32 v48, s19, v172, v180
	v_and_b32_e32 v192, 0xf0f0f0f, v50
	v_lshrrev_b32_e32 v50, 4, v51
	ds_read_u16 v49, v48
	ds_read_u8 v58, v48 offset:8
	ds_read_u8 v48, v48 offset:9
	v_and_b32_e32 v212, 0xf0f0f0f, v50
	s_waitcnt lgkmcnt(5)
	v_lshrrev_b32_e32 v50, 4, v52
	v_and_b32_e32 v213, 0xf0f0f0f, v50
	v_lshrrev_b32_e32 v50, 4, v53
	v_and_b32_e32 v214, 0xf0f0f0f, v50
	s_waitcnt lgkmcnt(4)
	v_lshrrev_b32_e32 v50, 4, v144
	v_and_b32_e32 v215, 0xf0f0f0f, v50
	v_lshrrev_b32_e32 v50, 4, v145
	s_waitcnt lgkmcnt(2)
	v_and_b32_e32 v191, 0xff, v49
	v_and_b32_e32 v216, 0xf0f0f0f, v50
	v_lshrrev_b32_e32 v50, 4, v160
	v_lshrrev_b16_e32 v211, 8, v49
	v_add_u32_e32 v49, s18, v147
	v_and_b32_e32 v195, 0xf0f0f0f, v52
	v_and_b32_e32 v196, 0xf0f0f0f, v53
	;; [unrolled: 1-line block ×3, first 2 shown]
	v_lshrrev_b32_e32 v50, 4, v161
	s_waitcnt lgkmcnt(0)
	v_cvt_f32_ubyte0_e32 v150, v48
	v_add3_u32 v48, s19, v171, v177
	ds_read2_b32 v[52:53], v49 offset1:1
	v_and_b32_e32 v197, 0xf0f0f0f, v144
	v_and_b32_e32 v198, 0xf0f0f0f, v145
	ds_read2_b32 v[144:145], v49 offset0:2 offset1:3
	v_and_b32_e32 v199, 0xf0f0f0f, v160
	v_and_b32_e32 v200, 0xf0f0f0f, v161
	ds_read2_b32 v[160:161], v49 offset0:4 offset1:5
	ds_read2_b32 v[162:163], v49 offset0:6 offset1:7
	v_and_b32_e32 v218, 0xf0f0f0f, v50
	ds_read_u16 v49, v48
	ds_read_u8 v50, v48 offset:8
	ds_read_u8 v48, v48 offset:9
	s_waitcnt lgkmcnt(5)
	v_and_b32_e32 v205, 0xf0f0f0f, v144
	v_and_b32_e32 v206, 0xf0f0f0f, v145
	s_waitcnt lgkmcnt(2)
	v_and_b32_e32 v201, 0xff, v49
	s_waitcnt lgkmcnt(1)
	v_cvt_f32_ubyte0_e32 v148, v50
	v_lshrrev_b32_e32 v50, 4, v52
	v_and_b32_e32 v202, 0xf0f0f0f, v50
	v_lshrrev_b32_e32 v50, 4, v53
	v_and_b32_e32 v221, 0xf0f0f0f, v50
	;; [unrolled: 2-line block ×6, first 2 shown]
	v_lshrrev_b32_e32 v50, 4, v162
	v_lshrrev_b16_e32 v225, 8, v49
	v_add_u32_e32 v49, s18, v149
	v_and_b32_e32 v228, 0xf0f0f0f, v50
	v_lshrrev_b32_e32 v50, 4, v163
	s_waitcnt lgkmcnt(0)
	v_cvt_f32_ubyte0_e32 v154, v48
	v_add3_u32 v48, s19, v170, v178
	ds_read2_b32 v[144:145], v49 offset1:1
	v_and_b32_e32 v207, 0xf0f0f0f, v160
	v_and_b32_e32 v208, 0xf0f0f0f, v161
	ds_read2_b32 v[160:161], v49 offset0:2 offset1:3
	v_and_b32_e32 v209, 0xf0f0f0f, v162
	v_and_b32_e32 v210, 0xf0f0f0f, v163
	ds_read2_b32 v[162:163], v49 offset0:4 offset1:5
	ds_read2_b32 v[164:165], v49 offset0:6 offset1:7
	v_and_b32_e32 v229, 0xf0f0f0f, v50
	ds_read_u16 v49, v48
	ds_read_u8 v50, v48 offset:8
	ds_read_u8 v48, v48 offset:9
	s_waitcnt lgkmcnt(5)
	v_and_b32_e32 v231, 0xf0f0f0f, v160
	v_and_b32_e32 v232, 0xf0f0f0f, v161
	s_waitcnt lgkmcnt(2)
	v_and_b32_e32 v219, 0xff, v49
	s_waitcnt lgkmcnt(1)
	v_cvt_f32_ubyte0_e32 v152, v50
	v_lshrrev_b32_e32 v50, 4, v144
	v_and_b32_e32 v220, 0xf0f0f0f, v50
	v_lshrrev_b32_e32 v50, 4, v145
	v_and_b32_e32 v237, 0xf0f0f0f, v50
	v_lshrrev_b32_e32 v50, 4, v160
	v_lshrrev_b16_e32 v241, 8, v49
	v_add_u32_e32 v49, s18, v151
	v_and_b32_e32 v238, 0xf0f0f0f, v50
	v_lshrrev_b32_e32 v50, 4, v161
	ds_read2_b32 v[160:161], v49 offset1:1
	v_and_b32_e32 v239, 0xf0f0f0f, v50
	v_lshrrev_b32_e32 v50, 4, v162
	v_and_b32_e32 v240, 0xf0f0f0f, v50
	v_lshrrev_b32_e32 v50, 4, v163
	;; [unrolled: 2-line block ×4, first 2 shown]
	v_mov_b32_e32 v252, 0
	v_and_b32_e32 v190, 0xf0f0f0f, v52
	v_mov_b32_e32 v253, 0
	v_and_b32_e32 v203, 0xf0f0f0f, v144
	;; [unrolled: 2-line block ×3, first 2 shown]
	s_waitcnt lgkmcnt(0)
	v_and_b32_e32 v226, 0xf0f0f0f, v160
	v_mov_b32_e32 v50, 0
	v_dot4c_i32_i8_e32 v252, v193, v12
	v_and_b32_e32 v194, 0xf0f0f0f, v51
	v_dot4c_i32_i8_e32 v253, v190, v12
	v_and_b32_e32 v204, 0xf0f0f0f, v53
	;; [unrolled: 2-line block ×4, first 2 shown]
	v_dot4c_i32_i8_e32 v252, v194, v13
	v_dot4c_i32_i8_e32 v253, v204, v13
	;; [unrolled: 1-line block ×4, first 2 shown]
	ds_read2_b32 v[12:13], v49 offset0:2 offset1:3
	v_dot4c_i32_i8_e32 v252, v195, v14
	v_dot4c_i32_i8_e32 v253, v205, v14
	;; [unrolled: 1-line block ×4, first 2 shown]
	s_waitcnt lgkmcnt(0)
	v_and_b32_e32 v246, 0xf0f0f0f, v12
	v_dot4c_i32_i8_e32 v50, v246, v14
	v_and_b32_e32 v247, 0xf0f0f0f, v13
	v_dot4c_i32_i8_e32 v253, v206, v15
	v_dot4c_i32_i8_e32 v255, v232, v15
	;; [unrolled: 1-line block ×3, first 2 shown]
	ds_read2_b32 v[14:15], v49 offset0:4 offset1:5
	v_and_b32_e32 v233, 0xf0f0f0f, v162
	v_dot4c_i32_i8_e32 v252, v197, v8
	v_dot4c_i32_i8_e32 v253, v207, v8
	;; [unrolled: 1-line block ×3, first 2 shown]
	s_waitcnt lgkmcnt(0)
	v_and_b32_e32 v248, 0xf0f0f0f, v14
	v_and_b32_e32 v234, 0xf0f0f0f, v163
	v_dot4c_i32_i8_e32 v50, v248, v8
	v_and_b32_e32 v249, 0xf0f0f0f, v15
	v_dot4c_i32_i8_e32 v252, v198, v9
	v_dot4c_i32_i8_e32 v253, v208, v9
	;; [unrolled: 1-line block ×4, first 2 shown]
	ds_read2_b32 v[8:9], v49 offset0:6 offset1:7
	v_and_b32_e32 v235, 0xf0f0f0f, v164
	v_dot4c_i32_i8_e32 v252, v199, v10
	v_dot4c_i32_i8_e32 v253, v209, v10
	;; [unrolled: 1-line block ×3, first 2 shown]
	s_waitcnt lgkmcnt(0)
	v_and_b32_e32 v250, 0xf0f0f0f, v8
	v_and_b32_e32 v236, 0xf0f0f0f, v165
	v_cvt_f32_ubyte0_e32 v156, v48
	v_add3_u32 v48, s19, v169, v179
	v_dot4c_i32_i8_e32 v50, v250, v10
	v_and_b32_e32 v251, 0xf0f0f0f, v9
	v_dot4c_i32_i8_e32 v252, v200, v11
	v_dot4c_i32_i8_e32 v253, v210, v11
	;; [unrolled: 1-line block ×4, first 2 shown]
	ds_read_u16 v10, v48
	ds_read_u8 v11, v48 offset:8
	ds_read_u8 v48, v48 offset:9
	v_mov_b32_e32 v254, 0
	v_mov_b32_e32 v51, 0
	;; [unrolled: 1-line block ×3, first 2 shown]
	s_waitcnt lgkmcnt(1)
	v_cvt_f32_ubyte0_e32 v144, v11
	v_lshrrev_b32_e32 v11, 4, v160
	v_and_b32_e32 v188, 0xf0f0f0f, v11
	v_mov_b32_e32 v52, 0
	v_dot4c_i32_i8_e32 v254, v192, v4
	v_dot4c_i32_i8_e32 v51, v202, v4
	;; [unrolled: 1-line block ×4, first 2 shown]
	v_lshrrev_b32_e32 v4, 4, v161
	v_and_b32_e32 v189, 0xf0f0f0f, v4
	v_lshrrev_b32_e32 v4, 4, v12
	v_dot4c_i32_i8_e32 v254, v212, v5
	v_dot4c_i32_i8_e32 v51, v221, v5
	v_dot4c_i32_i8_e32 v53, v237, v5
	v_dot4c_i32_i8_e32 v52, v189, v5
	v_and_b32_e32 v187, 0xf0f0f0f, v4
	v_lshrrev_b32_e32 v4, 4, v13
	v_dot4c_i32_i8_e32 v254, v213, v6
	v_dot4c_i32_i8_e32 v51, v222, v6
	v_dot4c_i32_i8_e32 v53, v238, v6
	v_dot4c_i32_i8_e32 v52, v187, v6
	;; [unrolled: 6-line block ×3, first 2 shown]
	v_and_b32_e32 v183, 0xf0f0f0f, v4
	v_dot4c_i32_i8_e32 v254, v215, v0
	v_dot4c_i32_i8_e32 v51, v224, v0
	;; [unrolled: 1-line block ×4, first 2 shown]
	v_lshrrev_b32_e32 v0, 4, v15
	v_and_b32_e32 v184, 0xf0f0f0f, v0
	v_lshrrev_b32_e32 v0, 4, v8
	v_and_b32_e32 v185, 0xf0f0f0f, v0
	v_lshrrev_b32_e32 v0, 4, v9
	v_dot4c_i32_i8_e32 v254, v216, v1
	v_dot4c_i32_i8_e32 v51, v227, v1
	;; [unrolled: 1-line block ×4, first 2 shown]
	v_and_b32_e32 v186, 0xf0f0f0f, v0
	v_or_b32_e32 v0, s17, v77
	v_dot4c_i32_i8_e32 v254, v217, v2
	v_dot4c_i32_i8_e32 v51, v228, v2
	;; [unrolled: 1-line block ×4, first 2 shown]
	s_waitcnt lgkmcnt(0)
	v_cvt_f32_ubyte0_e32 v142, v48
	v_lshlrev_b32_e32 v1, 2, v0
	v_lshrrev_b32_e32 v48, 1, v0
	v_dot4c_i32_i8_e32 v254, v218, v3
	v_dot4c_i32_i8_e32 v51, v229, v3
	;; [unrolled: 1-line block ×3, first 2 shown]
	v_and_b32_e32 v145, 0xff, v10
	v_dot4c_i32_i8_e32 v52, v186, v3
	v_lshrrev_b16_e32 v181, 8, v10
	ds_read_b128 v[12:15], v1 offset:16896
	ds_read_b128 v[8:11], v1 offset:16912
	;; [unrolled: 1-line block ×4, first 2 shown]
	ds_read_b64 v[162:163], v48 offset:27200
	v_mov_b32_e32 v48, 0
	s_waitcnt lgkmcnt(4)
	v_dot4c_i32_i8_e32 v48, v193, v12
	v_dot4c_i32_i8_e32 v48, v194, v13
	v_dot4c_i32_i8_e32 v48, v195, v14
	v_dot4c_i32_i8_e32 v48, v196, v15
	s_waitcnt lgkmcnt(3)
	v_dot4c_i32_i8_e32 v48, v197, v8
	v_mov_b32_e32 v49, 0
	v_dot4c_i32_i8_e32 v48, v198, v9
	s_waitcnt lgkmcnt(2)
	v_dot4c_i32_i8_e32 v49, v192, v4
	v_dot4c_i32_i8_e32 v48, v199, v10
	;; [unrolled: 1-line block ×6, first 2 shown]
	s_waitcnt lgkmcnt(1)
	v_dot4c_i32_i8_e32 v49, v215, v0
	v_mul_lo_u32 v48, v48, v191
	s_waitcnt lgkmcnt(0)
	v_cvt_f32_f16_e32 v165, v162
	v_cvt_f32_f16_sdwa v167, v162 dst_sel:DWORD dst_unused:UNUSED_PAD src0_sel:WORD_1
	v_cvt_f32_f16_e32 v160, v159
	v_cvt_f32_f16_sdwa v162, v159 dst_sel:DWORD dst_unused:UNUSED_PAD src0_sel:WORD_1
	v_cvt_f32_i32_e32 v159, v48
	v_mul_lo_u32 v48, v254, v211
	v_dot4c_i32_i8_e32 v49, v216, v1
	v_cvt_f32_i32_e32 v68, v48
	v_mov_b32_e32 v48, 0
	v_dot4c_i32_i8_e32 v49, v217, v2
	v_dot4c_i32_i8_e32 v48, v190, v12
	v_cvt_f32_ubyte0_e32 v146, v58
	v_dot4c_i32_i8_e32 v49, v218, v3
	v_cvt_f32_f16_sdwa v166, v158 dst_sel:DWORD dst_unused:UNUSED_PAD src0_sel:WORD_1
	v_mul_lo_u32 v58, v252, v191
	v_dot4c_i32_i8_e32 v48, v204, v13
	v_cvt_f32_f16_e32 v164, v158
	v_cvt_f32_f16_e32 v161, v163
	v_cvt_f32_f16_sdwa v163, v163 dst_sel:DWORD dst_unused:UNUSED_PAD src0_sel:WORD_1
	v_cvt_f32_i32_e32 v158, v58
	v_mul_lo_u32 v49, v49, v211
	v_dot4c_i32_i8_e32 v48, v205, v14
	v_cvt_f32_i32_e32 v69, v49
	v_dot4c_i32_i8_e32 v48, v206, v15
	v_dot4c_i32_i8_e32 v48, v207, v8
	v_mov_b32_e32 v49, 0
	v_pk_fma_f32 v[58:59], v[146:147], v[166:167], 0 op_sel_hi:[0,1,0]
	v_dot4c_i32_i8_e32 v48, v208, v9
	v_dot4c_i32_i8_e32 v49, v202, v4
	v_pk_fma_f32 v[158:159], v[164:165], v[158:159], 0 op_sel_hi:[1,1,0]
	v_pk_fma_f32 v[58:59], v[150:151], v[162:163], v[58:59] op_sel_hi:[0,1,1]
	v_dot4c_i32_i8_e32 v48, v209, v10
	v_dot4c_i32_i8_e32 v49, v221, v5
	v_pk_fma_f32 v[68:69], v[160:161], v[68:69], v[158:159]
	v_pk_mul_f32 v[58:59], v[58:59], v[18:19]
	v_dot4c_i32_i8_e32 v48, v210, v11
	v_dot4c_i32_i8_e32 v49, v222, v6
	v_pk_fma_f32 v[58:59], v[68:69], v[16:17], v[58:59] neg_lo:[0,0,1] neg_hi:[0,0,1]
	v_dot4c_i32_i8_e32 v49, v223, v7
	v_mul_lo_u32 v48, v48, v201
	v_pk_add_f32 v[66:67], v[66:67], v[58:59]
	v_dot4c_i32_i8_e32 v49, v224, v0
	v_cvt_f32_i32_e32 v59, v48
	v_mul_lo_u32 v48, v51, v225
	v_dot4c_i32_i8_e32 v49, v227, v1
	v_cvt_f32_i32_e32 v158, v48
	v_mov_b32_e32 v48, 0
	v_dot4c_i32_i8_e32 v49, v228, v2
	v_dot4c_i32_i8_e32 v48, v203, v12
	;; [unrolled: 1-line block ×3, first 2 shown]
	v_mul_lo_u32 v58, v253, v201
	v_dot4c_i32_i8_e32 v48, v230, v13
	v_cvt_f32_i32_e32 v58, v58
	v_mul_lo_u32 v49, v49, v225
	v_dot4c_i32_i8_e32 v48, v231, v14
	v_cvt_f32_i32_e32 v159, v49
	v_dot4c_i32_i8_e32 v48, v232, v15
	v_dot4c_i32_i8_e32 v48, v233, v8
	v_pk_fma_f32 v[68:69], v[148:149], v[166:167], 0 op_sel_hi:[0,1,0]
	v_dot4c_i32_i8_e32 v48, v234, v9
	v_pk_fma_f32 v[58:59], v[164:165], v[58:59], 0 op_sel_hi:[1,1,0]
	v_pk_fma_f32 v[68:69], v[154:155], v[162:163], v[68:69] op_sel_hi:[0,1,1]
	v_dot4c_i32_i8_e32 v48, v235, v10
	v_pk_fma_f32 v[58:59], v[160:161], v[158:159], v[58:59]
	v_pk_mul_f32 v[68:69], v[68:69], v[132:133]
	v_dot4c_i32_i8_e32 v48, v236, v11
	v_pk_fma_f32 v[58:59], v[58:59], v[130:131], v[68:69] neg_lo:[0,0,1] neg_hi:[0,0,1]
	v_pk_add_f32 v[54:55], v[54:55], v[58:59]
	v_mov_b32_e32 v49, 0
	v_mul_lo_u32 v48, v48, v219
	v_cvt_f32_i32_e32 v59, v48
	v_mul_lo_u32 v48, v53, v241
	v_cvt_f32_i32_e32 v158, v48
	v_mov_b32_e32 v48, 0
	v_dot4c_i32_i8_e32 v48, v226, v12
	v_dot4c_i32_i8_e32 v48, v245, v13
	;; [unrolled: 1-line block ×5, first 2 shown]
	v_mov_b32_e32 v8, 0
	v_dot4c_i32_i8_e32 v8, v188, v4
	v_dot4c_i32_i8_e32 v8, v189, v5
	v_dot4c_i32_i8_e32 v49, v220, v4
	v_dot4c_i32_i8_e32 v8, v187, v6
	v_dot4c_i32_i8_e32 v49, v237, v5
	v_dot4c_i32_i8_e32 v8, v182, v7
	v_dot4c_i32_i8_e32 v49, v238, v6
	v_dot4c_i32_i8_e32 v48, v249, v9
	v_dot4c_i32_i8_e32 v8, v183, v0
	v_dot4c_i32_i8_e32 v49, v239, v7
	v_dot4c_i32_i8_e32 v48, v250, v10
	v_dot4c_i32_i8_e32 v8, v184, v1
	v_dot4c_i32_i8_e32 v49, v240, v0
	v_dot4c_i32_i8_e32 v48, v251, v11
	v_dot4c_i32_i8_e32 v8, v185, v2
	v_dot4c_i32_i8_e32 v49, v242, v1
	v_dot4c_i32_i8_e32 v8, v186, v3
	v_mul_lo_u32 v0, v50, v145
	v_mul_lo_u32 v1, v48, v145
	v_cvt_f32_i32_e32 v1, v1
	v_cvt_f32_i32_e32 v0, v0
	v_mul_lo_u32 v4, v52, v181
	v_mul_lo_u32 v5, v8, v181
	v_cvt_f32_i32_e32 v5, v5
	v_cvt_f32_i32_e32 v4, v4
	v_dot4c_i32_i8_e32 v49, v243, v2
	v_dot4c_i32_i8_e32 v49, v244, v3
	v_mul_lo_u32 v51, v255, v219
	v_pk_fma_f32 v[2:3], v[144:145], v[166:167], 0 op_sel_hi:[0,1,0]
	v_cvt_f32_i32_e32 v58, v51
	v_mul_lo_u32 v49, v49, v241
	v_pk_fma_f32 v[0:1], v[164:165], v[0:1], 0 op_sel_hi:[1,1,0]
	v_pk_fma_f32 v[2:3], v[142:143], v[162:163], v[2:3] op_sel_hi:[0,1,1]
	v_cvt_f32_i32_e32 v159, v49
	v_pk_fma_f32 v[0:1], v[160:161], v[4:5], v[0:1]
	v_pk_mul_f32 v[2:3], v[2:3], v[140:141]
	v_pk_fma_f32 v[0:1], v[0:1], v[138:139], v[2:3] neg_lo:[0,0,1] neg_hi:[0,0,1]
	v_pk_add_f32 v[44:45], v[44:45], v[0:1]
	v_or_b32_e32 v0, s17, v83
	v_pk_fma_f32 v[58:59], v[164:165], v[58:59], 0 op_sel_hi:[1,1,0]
	v_lshlrev_b32_e32 v1, 2, v0
	v_pk_fma_f32 v[58:59], v[160:161], v[158:159], v[58:59]
	v_lshrrev_b32_e32 v48, 1, v0
	ds_read_b128 v[12:15], v1 offset:16896
	ds_read_b128 v[8:11], v1 offset:16912
	;; [unrolled: 1-line block ×4, first 2 shown]
	ds_read_b64 v[158:159], v48 offset:27200
	v_mov_b32_e32 v48, 0
	v_mov_b32_e32 v49, 0
	;; [unrolled: 1-line block ×8, first 2 shown]
	s_waitcnt lgkmcnt(4)
	v_dot4c_i32_i8_e32 v48, v193, v12
	s_waitcnt lgkmcnt(2)
	v_dot4c_i32_i8_e32 v49, v192, v4
	v_dot4c_i32_i8_e32 v62, v190, v12
	;; [unrolled: 1-line block ×15, first 2 shown]
	v_pk_fma_f32 v[68:69], v[152:153], v[166:167], 0 op_sel_hi:[0,1,0]
	v_dot4c_i32_i8_e32 v48, v195, v14
	v_dot4c_i32_i8_e32 v49, v213, v6
	;; [unrolled: 1-line block ×8, first 2 shown]
	v_pk_fma_f32 v[68:69], v[156:157], v[162:163], v[68:69] op_sel_hi:[0,1,1]
	v_dot4c_i32_i8_e32 v48, v196, v15
	v_dot4c_i32_i8_e32 v49, v214, v7
	v_dot4c_i32_i8_e32 v62, v206, v15
	v_dot4c_i32_i8_e32 v252, v223, v7
	v_dot4c_i32_i8_e32 v52, v232, v15
	v_dot4c_i32_i8_e32 v53, v239, v7
	v_dot4c_i32_i8_e32 v50, v247, v15
	v_dot4c_i32_i8_e32 v51, v182, v7
	v_pk_mul_f32 v[68:69], v[68:69], v[136:137]
	v_dot4c_i32_i8_e32 v48, v197, v8
	s_waitcnt lgkmcnt(1)
	v_dot4c_i32_i8_e32 v49, v215, v0
	v_dot4c_i32_i8_e32 v62, v207, v8
	;; [unrolled: 1-line block ×7, first 2 shown]
	v_pk_fma_f32 v[58:59], v[58:59], v[134:135], v[68:69] neg_lo:[0,0,1] neg_hi:[0,0,1]
	v_dot4c_i32_i8_e32 v48, v198, v9
	v_dot4c_i32_i8_e32 v49, v216, v1
	;; [unrolled: 1-line block ×8, first 2 shown]
	v_or_b32_e32 v0, s17, v89
	v_pk_add_f32 v[46:47], v[46:47], v[58:59]
	v_dot4c_i32_i8_e32 v48, v199, v10
	v_dot4c_i32_i8_e32 v49, v217, v2
	;; [unrolled: 1-line block ×8, first 2 shown]
	v_lshlrev_b32_e32 v1, 2, v0
	v_lshrrev_b32_e32 v58, 1, v0
	v_dot4c_i32_i8_e32 v48, v200, v11
	v_dot4c_i32_i8_e32 v49, v218, v3
	;; [unrolled: 1-line block ×8, first 2 shown]
	ds_read_b128 v[12:15], v1 offset:16896
	ds_read_b128 v[8:11], v1 offset:16912
	;; [unrolled: 1-line block ×4, first 2 shown]
	ds_read_b64 v[58:59], v58 offset:27200
	v_mov_b32_e32 v68, 0
	s_waitcnt lgkmcnt(4)
	v_dot4c_i32_i8_e32 v68, v193, v12
	v_dot4c_i32_i8_e32 v68, v194, v13
	;; [unrolled: 1-line block ×4, first 2 shown]
	s_waitcnt lgkmcnt(3)
	v_dot4c_i32_i8_e32 v68, v197, v8
	v_mov_b32_e32 v253, 0
	v_dot4c_i32_i8_e32 v68, v198, v9
	s_waitcnt lgkmcnt(2)
	v_dot4c_i32_i8_e32 v253, v192, v4
	v_dot4c_i32_i8_e32 v68, v199, v10
	;; [unrolled: 1-line block ×6, first 2 shown]
	s_waitcnt lgkmcnt(0)
	v_cvt_f32_f16_e32 v165, v58
	v_cvt_f32_f16_sdwa v167, v58 dst_sel:DWORD dst_unused:UNUSED_PAD src0_sel:WORD_1
	v_mul_lo_u32 v48, v48, v191
	v_mul_lo_u32 v58, v68, v191
	v_dot4c_i32_i8_e32 v253, v215, v0
	v_cvt_f32_f16_e32 v161, v59
	v_cvt_f32_f16_sdwa v163, v59 dst_sel:DWORD dst_unused:UNUSED_PAD src0_sel:WORD_1
	v_cvt_f32_i32_e32 v59, v58
	v_cvt_f32_i32_e32 v58, v48
	v_mul_lo_u32 v48, v49, v211
	v_dot4c_i32_i8_e32 v253, v216, v1
	v_cvt_f32_f16_e32 v164, v158
	v_cvt_f32_f16_sdwa v166, v158 dst_sel:DWORD dst_unused:UNUSED_PAD src0_sel:WORD_1
	v_cvt_f32_i32_e32 v158, v48
	v_mov_b32_e32 v48, 0
	v_dot4c_i32_i8_e32 v253, v217, v2
	v_dot4c_i32_i8_e32 v48, v190, v12
	;; [unrolled: 1-line block ×4, first 2 shown]
	v_cvt_f32_f16_sdwa v162, v159 dst_sel:DWORD dst_unused:UNUSED_PAD src0_sel:WORD_1
	v_dot4c_i32_i8_e32 v48, v205, v14
	v_mul_lo_u32 v49, v253, v211
	v_cvt_f32_f16_e32 v160, v159
	v_cvt_f32_i32_e32 v159, v49
	v_dot4c_i32_i8_e32 v48, v206, v15
	v_dot4c_i32_i8_e32 v48, v207, v8
	v_mov_b32_e32 v49, 0
	v_pk_fma_f32 v[68:69], v[146:147], v[166:167], 0 op_sel_hi:[0,1,0]
	v_dot4c_i32_i8_e32 v48, v208, v9
	v_dot4c_i32_i8_e32 v49, v202, v4
	v_pk_fma_f32 v[58:59], v[58:59], v[164:165], 0 op_sel_hi:[1,1,0]
	v_pk_fma_f32 v[68:69], v[150:151], v[162:163], v[68:69] op_sel_hi:[0,1,1]
	v_dot4c_i32_i8_e32 v48, v209, v10
	v_dot4c_i32_i8_e32 v49, v221, v5
	v_pk_fma_f32 v[58:59], v[158:159], v[160:161], v[58:59]
	v_pk_mul_f32 v[68:69], v[68:69], v[18:19]
	v_dot4c_i32_i8_e32 v48, v210, v11
	v_dot4c_i32_i8_e32 v49, v222, v6
	v_pk_fma_f32 v[58:59], v[58:59], v[16:17], v[68:69] neg_lo:[0,0,1] neg_hi:[0,0,1]
	v_dot4c_i32_i8_e32 v49, v223, v7
	v_mul_lo_u32 v48, v48, v201
	v_pk_add_f32 v[42:43], v[42:43], v[58:59]
	v_dot4c_i32_i8_e32 v49, v224, v0
	v_cvt_f32_i32_e32 v59, v48
	v_mul_lo_u32 v48, v252, v225
	v_dot4c_i32_i8_e32 v49, v227, v1
	v_cvt_f32_i32_e32 v158, v48
	v_mov_b32_e32 v48, 0
	v_dot4c_i32_i8_e32 v49, v228, v2
	v_dot4c_i32_i8_e32 v48, v203, v12
	;; [unrolled: 1-line block ×3, first 2 shown]
	v_mul_lo_u32 v58, v62, v201
	v_dot4c_i32_i8_e32 v48, v230, v13
	v_cvt_f32_i32_e32 v58, v58
	v_mul_lo_u32 v49, v49, v225
	v_dot4c_i32_i8_e32 v48, v231, v14
	v_cvt_f32_i32_e32 v159, v49
	v_dot4c_i32_i8_e32 v48, v232, v15
	v_dot4c_i32_i8_e32 v48, v233, v8
	v_pk_fma_f32 v[68:69], v[148:149], v[166:167], 0 op_sel_hi:[0,1,0]
	v_dot4c_i32_i8_e32 v48, v234, v9
	v_pk_fma_f32 v[58:59], v[58:59], v[164:165], 0 op_sel_hi:[1,1,0]
	v_pk_fma_f32 v[68:69], v[154:155], v[162:163], v[68:69] op_sel_hi:[0,1,1]
	v_dot4c_i32_i8_e32 v48, v235, v10
	v_pk_fma_f32 v[58:59], v[158:159], v[160:161], v[58:59]
	v_pk_mul_f32 v[68:69], v[68:69], v[132:133]
	v_dot4c_i32_i8_e32 v48, v236, v11
	v_pk_fma_f32 v[58:59], v[58:59], v[130:131], v[68:69] neg_lo:[0,0,1] neg_hi:[0,0,1]
	v_pk_add_f32 v[40:41], v[40:41], v[58:59]
	v_mul_lo_u32 v52, v52, v219
	v_mul_lo_u32 v48, v48, v219
	v_cvt_f32_i32_e32 v59, v48
	v_mul_lo_u32 v48, v53, v241
	v_cvt_f32_i32_e32 v58, v52
	v_cvt_f32_i32_e32 v52, v48
	v_mov_b32_e32 v48, 0
	v_dot4c_i32_i8_e32 v48, v226, v12
	v_dot4c_i32_i8_e32 v48, v245, v13
	;; [unrolled: 1-line block ×5, first 2 shown]
	v_mov_b32_e32 v8, 0
	v_dot4c_i32_i8_e32 v8, v188, v4
	v_mov_b32_e32 v49, 0
	v_dot4c_i32_i8_e32 v8, v189, v5
	v_dot4c_i32_i8_e32 v49, v220, v4
	;; [unrolled: 1-line block ×16, first 2 shown]
	v_mul_lo_u32 v0, v50, v145
	v_mul_lo_u32 v1, v48, v145
	v_cvt_f32_i32_e32 v1, v1
	v_cvt_f32_i32_e32 v0, v0
	v_mul_lo_u32 v4, v51, v181
	v_mul_lo_u32 v5, v8, v181
	v_dot4c_i32_i8_e32 v49, v243, v2
	v_cvt_f32_i32_e32 v5, v5
	v_cvt_f32_i32_e32 v4, v4
	v_dot4c_i32_i8_e32 v49, v244, v3
	v_pk_fma_f32 v[2:3], v[144:145], v[166:167], 0 op_sel_hi:[0,1,0]
	v_pk_fma_f32 v[0:1], v[0:1], v[164:165], 0 op_sel_hi:[1,1,0]
	;; [unrolled: 1-line block ×3, first 2 shown]
	v_mul_lo_u32 v49, v49, v241
	v_cvt_f32_i32_e32 v53, v49
	v_pk_fma_f32 v[0:1], v[4:5], v[160:161], v[0:1]
	v_pk_mul_f32 v[2:3], v[2:3], v[140:141]
	v_pk_fma_f32 v[0:1], v[0:1], v[138:139], v[2:3] neg_lo:[0,0,1] neg_hi:[0,0,1]
	v_pk_fma_f32 v[58:59], v[58:59], v[164:165], 0 op_sel_hi:[1,1,0]
	v_pk_fma_f32 v[68:69], v[152:153], v[166:167], 0 op_sel_hi:[0,1,0]
	v_pk_add_f32 v[36:37], v[36:37], v[0:1]
	v_or_b32_e32 v0, s17, v95
	v_pk_fma_f32 v[52:53], v[52:53], v[160:161], v[58:59]
	v_pk_fma_f32 v[58:59], v[156:157], v[162:163], v[68:69] op_sel_hi:[0,1,1]
	v_lshlrev_b32_e32 v1, 2, v0
	v_pk_mul_f32 v[58:59], v[58:59], v[136:137]
	v_lshrrev_b32_e32 v48, 1, v0
	ds_read_b128 v[12:15], v1 offset:16896
	ds_read_b128 v[8:11], v1 offset:16912
	;; [unrolled: 1-line block ×4, first 2 shown]
	ds_read_b64 v[158:159], v48 offset:27200
	v_pk_fma_f32 v[52:53], v[52:53], v[134:135], v[58:59] neg_lo:[0,0,1] neg_hi:[0,0,1]
	v_pk_add_f32 v[38:39], v[38:39], v[52:53]
	v_mov_b32_e32 v48, 0
	v_mov_b32_e32 v49, 0
	;; [unrolled: 1-line block ×8, first 2 shown]
	s_waitcnt lgkmcnt(4)
	v_dot4c_i32_i8_e32 v48, v193, v12
	s_waitcnt lgkmcnt(2)
	v_dot4c_i32_i8_e32 v49, v192, v4
	v_dot4c_i32_i8_e32 v62, v190, v12
	;; [unrolled: 1-line block ×32, first 2 shown]
	s_waitcnt lgkmcnt(1)
	v_dot4c_i32_i8_e32 v49, v215, v0
	v_dot4c_i32_i8_e32 v62, v207, v8
	;; [unrolled: 1-line block ×15, first 2 shown]
	v_or_b32_e32 v0, s17, v101
	v_dot4c_i32_i8_e32 v48, v199, v10
	v_dot4c_i32_i8_e32 v49, v217, v2
	;; [unrolled: 1-line block ×8, first 2 shown]
	v_lshlrev_b32_e32 v1, 2, v0
	v_lshrrev_b32_e32 v58, 1, v0
	v_dot4c_i32_i8_e32 v48, v200, v11
	v_dot4c_i32_i8_e32 v49, v218, v3
	;; [unrolled: 1-line block ×8, first 2 shown]
	ds_read_b128 v[12:15], v1 offset:16896
	ds_read_b128 v[8:11], v1 offset:16912
	;; [unrolled: 1-line block ×4, first 2 shown]
	ds_read_b64 v[58:59], v58 offset:27200
	v_mov_b32_e32 v68, 0
	s_waitcnt lgkmcnt(4)
	v_dot4c_i32_i8_e32 v68, v193, v12
	v_dot4c_i32_i8_e32 v68, v194, v13
	;; [unrolled: 1-line block ×4, first 2 shown]
	s_waitcnt lgkmcnt(3)
	v_dot4c_i32_i8_e32 v68, v197, v8
	v_mov_b32_e32 v253, 0
	v_dot4c_i32_i8_e32 v68, v198, v9
	s_waitcnt lgkmcnt(2)
	v_dot4c_i32_i8_e32 v253, v192, v4
	v_dot4c_i32_i8_e32 v68, v199, v10
	;; [unrolled: 1-line block ×6, first 2 shown]
	s_waitcnt lgkmcnt(0)
	v_cvt_f32_f16_e32 v165, v58
	v_cvt_f32_f16_sdwa v167, v58 dst_sel:DWORD dst_unused:UNUSED_PAD src0_sel:WORD_1
	v_mul_lo_u32 v48, v48, v191
	v_mul_lo_u32 v58, v68, v191
	v_dot4c_i32_i8_e32 v253, v215, v0
	v_cvt_f32_f16_e32 v161, v59
	v_cvt_f32_f16_sdwa v163, v59 dst_sel:DWORD dst_unused:UNUSED_PAD src0_sel:WORD_1
	v_cvt_f32_i32_e32 v59, v58
	v_cvt_f32_i32_e32 v58, v48
	v_mul_lo_u32 v48, v49, v211
	v_dot4c_i32_i8_e32 v253, v216, v1
	v_cvt_f32_f16_e32 v164, v158
	v_cvt_f32_f16_sdwa v166, v158 dst_sel:DWORD dst_unused:UNUSED_PAD src0_sel:WORD_1
	v_cvt_f32_i32_e32 v158, v48
	v_mov_b32_e32 v48, 0
	v_dot4c_i32_i8_e32 v253, v217, v2
	v_dot4c_i32_i8_e32 v48, v190, v12
	;; [unrolled: 1-line block ×4, first 2 shown]
	v_cvt_f32_f16_sdwa v162, v159 dst_sel:DWORD dst_unused:UNUSED_PAD src0_sel:WORD_1
	v_dot4c_i32_i8_e32 v48, v205, v14
	v_mul_lo_u32 v49, v253, v211
	v_cvt_f32_f16_e32 v160, v159
	v_cvt_f32_i32_e32 v159, v49
	v_dot4c_i32_i8_e32 v48, v206, v15
	v_dot4c_i32_i8_e32 v48, v207, v8
	v_mov_b32_e32 v49, 0
	v_pk_fma_f32 v[68:69], v[146:147], v[166:167], 0 op_sel_hi:[0,1,0]
	v_dot4c_i32_i8_e32 v48, v208, v9
	v_dot4c_i32_i8_e32 v49, v202, v4
	v_pk_fma_f32 v[58:59], v[58:59], v[164:165], 0 op_sel_hi:[1,1,0]
	v_pk_fma_f32 v[68:69], v[150:151], v[162:163], v[68:69] op_sel_hi:[0,1,1]
	v_dot4c_i32_i8_e32 v48, v209, v10
	v_dot4c_i32_i8_e32 v49, v221, v5
	v_pk_fma_f32 v[58:59], v[158:159], v[160:161], v[58:59]
	v_pk_mul_f32 v[68:69], v[68:69], v[18:19]
	v_dot4c_i32_i8_e32 v48, v210, v11
	v_dot4c_i32_i8_e32 v49, v222, v6
	v_pk_fma_f32 v[58:59], v[58:59], v[16:17], v[68:69] neg_lo:[0,0,1] neg_hi:[0,0,1]
	v_dot4c_i32_i8_e32 v49, v223, v7
	v_mul_lo_u32 v48, v48, v201
	v_pk_add_f32 v[34:35], v[34:35], v[58:59]
	v_dot4c_i32_i8_e32 v49, v224, v0
	v_cvt_f32_i32_e32 v59, v48
	v_mul_lo_u32 v48, v252, v225
	v_dot4c_i32_i8_e32 v49, v227, v1
	v_cvt_f32_i32_e32 v158, v48
	v_mov_b32_e32 v48, 0
	v_dot4c_i32_i8_e32 v49, v228, v2
	v_dot4c_i32_i8_e32 v48, v203, v12
	;; [unrolled: 1-line block ×3, first 2 shown]
	v_mul_lo_u32 v58, v62, v201
	v_dot4c_i32_i8_e32 v48, v230, v13
	v_cvt_f32_i32_e32 v58, v58
	v_mul_lo_u32 v49, v49, v225
	v_dot4c_i32_i8_e32 v48, v231, v14
	v_cvt_f32_i32_e32 v159, v49
	v_dot4c_i32_i8_e32 v48, v232, v15
	v_dot4c_i32_i8_e32 v48, v233, v8
	v_pk_fma_f32 v[68:69], v[148:149], v[166:167], 0 op_sel_hi:[0,1,0]
	v_dot4c_i32_i8_e32 v48, v234, v9
	v_pk_fma_f32 v[58:59], v[58:59], v[164:165], 0 op_sel_hi:[1,1,0]
	v_pk_fma_f32 v[68:69], v[154:155], v[162:163], v[68:69] op_sel_hi:[0,1,1]
	v_dot4c_i32_i8_e32 v48, v235, v10
	v_pk_fma_f32 v[58:59], v[158:159], v[160:161], v[58:59]
	v_pk_mul_f32 v[68:69], v[68:69], v[132:133]
	v_dot4c_i32_i8_e32 v48, v236, v11
	v_pk_fma_f32 v[58:59], v[58:59], v[130:131], v[68:69] neg_lo:[0,0,1] neg_hi:[0,0,1]
	v_pk_add_f32 v[32:33], v[32:33], v[58:59]
	v_mul_lo_u32 v52, v52, v219
	v_mul_lo_u32 v48, v48, v219
	v_cvt_f32_i32_e32 v59, v48
	v_mul_lo_u32 v48, v53, v241
	v_cvt_f32_i32_e32 v58, v52
	v_cvt_f32_i32_e32 v52, v48
	v_mov_b32_e32 v48, 0
	v_dot4c_i32_i8_e32 v48, v226, v12
	v_dot4c_i32_i8_e32 v48, v245, v13
	;; [unrolled: 1-line block ×5, first 2 shown]
	v_mov_b32_e32 v8, 0
	v_dot4c_i32_i8_e32 v8, v188, v4
	v_mov_b32_e32 v49, 0
	v_dot4c_i32_i8_e32 v8, v189, v5
	v_dot4c_i32_i8_e32 v49, v220, v4
	;; [unrolled: 1-line block ×16, first 2 shown]
	v_mul_lo_u32 v0, v50, v145
	v_mul_lo_u32 v1, v48, v145
	v_cvt_f32_i32_e32 v1, v1
	v_cvt_f32_i32_e32 v0, v0
	v_mul_lo_u32 v4, v51, v181
	v_mul_lo_u32 v5, v8, v181
	v_cvt_f32_i32_e32 v5, v5
	v_cvt_f32_i32_e32 v4, v4
	v_dot4c_i32_i8_e32 v49, v243, v2
	v_dot4c_i32_i8_e32 v49, v244, v3
	v_pk_fma_f32 v[2:3], v[144:145], v[166:167], 0 op_sel_hi:[0,1,0]
	v_pk_fma_f32 v[0:1], v[0:1], v[164:165], 0 op_sel_hi:[1,1,0]
	;; [unrolled: 1-line block ×3, first 2 shown]
	v_pk_fma_f32 v[0:1], v[4:5], v[160:161], v[0:1]
	v_pk_mul_f32 v[2:3], v[2:3], v[140:141]
	v_pk_fma_f32 v[0:1], v[0:1], v[138:139], v[2:3] neg_lo:[0,0,1] neg_hi:[0,0,1]
	v_pk_add_f32 v[28:29], v[28:29], v[0:1]
	v_or_b32_e32 v0, s17, v107
	v_lshlrev_b32_e32 v1, 2, v0
	v_pk_fma_f32 v[68:69], v[152:153], v[166:167], 0 op_sel_hi:[0,1,0]
	v_lshrrev_b32_e32 v48, 1, v0
	ds_read_b128 v[12:15], v1 offset:16896
	ds_read_b128 v[8:11], v1 offset:16912
	;; [unrolled: 1-line block ×4, first 2 shown]
	ds_read_b64 v[166:167], v48 offset:27200
	v_mul_lo_u32 v49, v49, v241
	v_cvt_f32_i32_e32 v53, v49
	v_mov_b32_e32 v48, 0
	v_mov_b32_e32 v49, 0
	;; [unrolled: 1-line block ×8, first 2 shown]
	s_waitcnt lgkmcnt(4)
	v_dot4c_i32_i8_e32 v48, v193, v12
	s_waitcnt lgkmcnt(2)
	v_dot4c_i32_i8_e32 v49, v192, v4
	v_dot4c_i32_i8_e32 v62, v190, v12
	;; [unrolled: 1-line block ×15, first 2 shown]
	v_pk_fma_f32 v[58:59], v[58:59], v[164:165], 0 op_sel_hi:[1,1,0]
	v_dot4c_i32_i8_e32 v48, v195, v14
	v_dot4c_i32_i8_e32 v49, v213, v6
	;; [unrolled: 1-line block ×8, first 2 shown]
	v_pk_fma_f32 v[52:53], v[52:53], v[160:161], v[58:59]
	v_pk_fma_f32 v[58:59], v[156:157], v[162:163], v[68:69] op_sel_hi:[0,1,1]
	v_dot4c_i32_i8_e32 v48, v196, v15
	v_dot4c_i32_i8_e32 v49, v214, v7
	v_dot4c_i32_i8_e32 v62, v206, v15
	v_dot4c_i32_i8_e32 v254, v223, v7
	v_dot4c_i32_i8_e32 v50, v232, v15
	v_dot4c_i32_i8_e32 v51, v239, v7
	v_dot4c_i32_i8_e32 v253, v247, v15
	v_dot4c_i32_i8_e32 v252, v182, v7
	v_pk_mul_f32 v[58:59], v[58:59], v[136:137]
	v_dot4c_i32_i8_e32 v48, v197, v8
	s_waitcnt lgkmcnt(1)
	v_dot4c_i32_i8_e32 v49, v215, v0
	v_dot4c_i32_i8_e32 v62, v207, v8
	;; [unrolled: 1-line block ×7, first 2 shown]
	v_pk_fma_f32 v[52:53], v[52:53], v[134:135], v[58:59] neg_lo:[0,0,1] neg_hi:[0,0,1]
	v_dot4c_i32_i8_e32 v48, v198, v9
	v_dot4c_i32_i8_e32 v49, v216, v1
	;; [unrolled: 1-line block ×8, first 2 shown]
	v_or_b32_e32 v0, s17, v113
	v_pk_add_f32 v[30:31], v[30:31], v[52:53]
	v_dot4c_i32_i8_e32 v48, v199, v10
	v_dot4c_i32_i8_e32 v49, v217, v2
	;; [unrolled: 1-line block ×8, first 2 shown]
	v_lshlrev_b32_e32 v1, 2, v0
	v_lshrrev_b32_e32 v52, 1, v0
	v_dot4c_i32_i8_e32 v48, v200, v11
	v_dot4c_i32_i8_e32 v49, v218, v3
	;; [unrolled: 1-line block ×8, first 2 shown]
	ds_read_b128 v[12:15], v1 offset:16896
	ds_read_b128 v[8:11], v1 offset:16912
	;; [unrolled: 1-line block ×4, first 2 shown]
	ds_read_b64 v[52:53], v52 offset:27200
	v_mov_b32_e32 v58, 0
	s_waitcnt lgkmcnt(4)
	v_dot4c_i32_i8_e32 v58, v193, v12
	v_dot4c_i32_i8_e32 v58, v194, v13
	v_mov_b32_e32 v68, 0
	v_dot4c_i32_i8_e32 v58, v195, v14
	s_waitcnt lgkmcnt(2)
	v_dot4c_i32_i8_e32 v68, v192, v4
	v_dot4c_i32_i8_e32 v58, v196, v15
	;; [unrolled: 1-line block ×8, first 2 shown]
	s_waitcnt lgkmcnt(1)
	v_dot4c_i32_i8_e32 v68, v215, v0
	v_dot4c_i32_i8_e32 v58, v200, v11
	;; [unrolled: 1-line block ×4, first 2 shown]
	s_waitcnt lgkmcnt(0)
	v_cvt_f32_f16_e32 v165, v52
	v_cvt_f32_f16_sdwa v163, v52 dst_sel:DWORD dst_unused:UNUSED_PAD src0_sel:WORD_1
	v_mul_lo_u32 v48, v48, v191
	v_mul_lo_u32 v52, v58, v191
	v_dot4c_i32_i8_e32 v68, v218, v3
	v_cvt_f32_f16_e32 v161, v53
	v_cvt_f32_f16_sdwa v159, v53 dst_sel:DWORD dst_unused:UNUSED_PAD src0_sel:WORD_1
	v_cvt_f32_i32_e32 v53, v52
	v_cvt_f32_i32_e32 v52, v48
	v_mul_lo_u32 v48, v49, v211
	v_mul_lo_u32 v49, v68, v211
	v_cvt_f32_i32_e32 v68, v48
	v_mov_b32_e32 v48, 0
	v_dot4c_i32_i8_e32 v48, v190, v12
	v_cvt_f32_f16_sdwa v162, v166 dst_sel:DWORD dst_unused:UNUSED_PAD src0_sel:WORD_1
	v_dot4c_i32_i8_e32 v48, v204, v13
	v_cvt_f32_f16_e32 v164, v166
	v_cvt_f32_f16_sdwa v158, v167 dst_sel:DWORD dst_unused:UNUSED_PAD src0_sel:WORD_1
	v_dot4c_i32_i8_e32 v48, v205, v14
	v_cvt_f32_f16_e32 v160, v167
	v_cvt_f32_i32_e32 v69, v49
	v_dot4c_i32_i8_e32 v48, v206, v15
	v_dot4c_i32_i8_e32 v48, v207, v8
	v_mov_b32_e32 v49, 0
	v_pk_fma_f32 v[58:59], v[146:147], v[162:163], 0 op_sel_hi:[0,1,0]
	v_dot4c_i32_i8_e32 v48, v208, v9
	v_dot4c_i32_i8_e32 v49, v202, v4
	v_pk_fma_f32 v[52:53], v[52:53], v[164:165], 0 op_sel_hi:[1,1,0]
	v_pk_fma_f32 v[58:59], v[150:151], v[158:159], v[58:59] op_sel_hi:[0,1,1]
	v_dot4c_i32_i8_e32 v48, v209, v10
	v_dot4c_i32_i8_e32 v49, v221, v5
	v_pk_fma_f32 v[52:53], v[68:69], v[160:161], v[52:53]
	v_pk_mul_f32 v[58:59], v[58:59], v[18:19]
	v_dot4c_i32_i8_e32 v48, v210, v11
	v_dot4c_i32_i8_e32 v49, v222, v6
	v_pk_fma_f32 v[52:53], v[52:53], v[16:17], v[58:59] neg_lo:[0,0,1] neg_hi:[0,0,1]
	v_dot4c_i32_i8_e32 v49, v223, v7
	v_mul_lo_u32 v48, v48, v201
	v_pk_add_f32 v[26:27], v[26:27], v[52:53]
	v_dot4c_i32_i8_e32 v49, v224, v0
	v_cvt_f32_i32_e32 v53, v48
	v_mul_lo_u32 v48, v254, v225
	v_dot4c_i32_i8_e32 v49, v227, v1
	v_cvt_f32_i32_e32 v68, v48
	v_mov_b32_e32 v48, 0
	v_mov_b32_e32 v146, 0
	v_dot4c_i32_i8_e32 v49, v228, v2
	v_dot4c_i32_i8_e32 v48, v203, v12
	;; [unrolled: 1-line block ×7, first 2 shown]
	v_mul_lo_u32 v49, v49, v225
	v_dot4c_i32_i8_e32 v146, v246, v14
	v_cvt_f32_i32_e32 v69, v49
	v_dot4c_i32_i8_e32 v48, v232, v15
	v_mov_b32_e32 v49, 0
	v_dot4c_i32_i8_e32 v146, v247, v15
	v_mul_lo_u32 v52, v62, v201
	v_dot4c_i32_i8_e32 v48, v233, v8
	v_dot4c_i32_i8_e32 v49, v220, v4
	v_dot4c_i32_i8_e32 v146, v248, v8
	v_mov_b32_e32 v8, 0
	v_cvt_f32_i32_e32 v52, v52
	v_dot4c_i32_i8_e32 v49, v237, v5
	v_dot4c_i32_i8_e32 v8, v188, v4
	;; [unrolled: 1-line block ×6, first 2 shown]
	v_pk_fma_f32 v[58:59], v[148:149], v[162:163], 0 op_sel_hi:[0,1,0]
	v_dot4c_i32_i8_e32 v48, v234, v9
	v_dot4c_i32_i8_e32 v49, v240, v0
	;; [unrolled: 1-line block ×3, first 2 shown]
	v_pk_fma_f32 v[52:53], v[52:53], v[164:165], 0 op_sel_hi:[1,1,0]
	v_pk_fma_f32 v[58:59], v[154:155], v[158:159], v[58:59] op_sel_hi:[0,1,1]
	v_dot4c_i32_i8_e32 v48, v235, v10
	v_dot4c_i32_i8_e32 v49, v242, v1
	;; [unrolled: 1-line block ×4, first 2 shown]
	v_pk_fma_f32 v[52:53], v[68:69], v[160:161], v[52:53]
	v_pk_mul_f32 v[58:59], v[58:59], v[132:133]
	v_dot4c_i32_i8_e32 v48, v236, v11
	v_dot4c_i32_i8_e32 v49, v243, v2
	;; [unrolled: 1-line block ×4, first 2 shown]
	v_pk_fma_f32 v[52:53], v[52:53], v[130:131], v[58:59] neg_lo:[0,0,1] neg_hi:[0,0,1]
	v_dot4c_i32_i8_e32 v49, v244, v3
	v_mul_lo_u32 v50, v50, v219
	v_mul_lo_u32 v48, v48, v219
	v_dot4c_i32_i8_e32 v146, v251, v11
	v_dot4c_i32_i8_e32 v8, v185, v2
	v_pk_add_f32 v[24:25], v[24:25], v[52:53]
	v_cvt_f32_i32_e32 v53, v48
	v_cvt_f32_i32_e32 v52, v50
	v_mul_lo_u32 v48, v51, v241
	v_mul_lo_u32 v49, v49, v241
	v_dot4c_i32_i8_e32 v8, v186, v3
	v_mul_lo_u32 v0, v253, v145
	v_mul_lo_u32 v1, v146, v145
	v_cvt_f32_i32_e32 v51, v49
	v_cvt_f32_i32_e32 v50, v48
	v_cvt_f32_i32_e32 v1, v1
	v_cvt_f32_i32_e32 v0, v0
	v_mul_lo_u32 v4, v252, v181
	v_mul_lo_u32 v5, v8, v181
	v_cvt_f32_i32_e32 v5, v5
	v_cvt_f32_i32_e32 v4, v4
	v_pk_fma_f32 v[52:53], v[52:53], v[164:165], 0 op_sel_hi:[1,1,0]
	v_pk_fma_f32 v[58:59], v[152:153], v[162:163], 0 op_sel_hi:[0,1,0]
	;; [unrolled: 1-line block ×3, first 2 shown]
	v_pk_fma_f32 v[50:51], v[50:51], v[160:161], v[52:53]
	v_pk_fma_f32 v[52:53], v[156:157], v[158:159], v[58:59] op_sel_hi:[0,1,1]
	v_pk_fma_f32 v[0:1], v[0:1], v[164:165], 0 op_sel_hi:[1,1,0]
	;; [unrolled: 1-line block ×3, first 2 shown]
	v_pk_mul_f32 v[52:53], v[52:53], v[136:137]
	v_pk_fma_f32 v[0:1], v[4:5], v[160:161], v[0:1]
	v_pk_mul_f32 v[2:3], v[2:3], v[140:141]
	v_pk_fma_f32 v[50:51], v[50:51], v[134:135], v[52:53] neg_lo:[0,0,1] neg_hi:[0,0,1]
	v_pk_fma_f32 v[0:1], v[0:1], v[138:139], v[2:3] neg_lo:[0,0,1] neg_hi:[0,0,1]
	v_pk_add_f32 v[22:23], v[22:23], v[50:51]
	v_pk_add_f32 v[20:21], v[20:21], v[0:1]
	s_mov_b32 s18, 8
	s_and_b64 vcc, exec, s[4:5]
	s_mov_b64 s[4:5], 0
	s_cbranch_vccnz .LBB132_6
; %bb.7:                                ;   in Loop: Header=BB132_5 Depth=1
	v_add_u32_e32 v14, s9, v119
	v_add_u32_e32 v0, v14, v71
	;; [unrolled: 1-line block ×6, first 2 shown]
	v_mad_i64_i32 v[0:1], s[4:5], v0, 36, v[126:127]
	v_mad_i64_i32 v[2:3], s[4:5], v2, 36, v[126:127]
	;; [unrolled: 1-line block ×5, first 2 shown]
	v_add_u32_e32 v10, v14, v99
	v_add_u32_e32 v12, v14, v105
	;; [unrolled: 1-line block ×3, first 2 shown]
	s_barrier
	v_mad_i64_i32 v[10:11], s[4:5], v10, 36, v[126:127]
	v_mad_i64_i32 v[12:13], s[4:5], v12, 36, v[126:127]
	;; [unrolled: 1-line block ×3, first 2 shown]
	global_load_dword v16, v[0:1], off offset:4
	s_nop 0
	global_load_dword v2, v[2:3], off offset:4
	s_nop 0
	;; [unrolled: 2-line block ×3, first 2 shown]
	global_load_dword v4, v[6:7], off offset:4
	global_load_dword v5, v[8:9], off offset:4
	s_nop 0
	global_load_dword v6, v[10:11], off offset:4
	global_load_dword v7, v[12:13], off offset:4
	;; [unrolled: 1-line block ×3, first 2 shown]
	v_add_u32_e32 v0, 4, v143
	v_mad_u64_u32 v[0:1], s[4:5], v0, 36, s[2:3]
	global_load_dword v0, v[0:1], off
	s_mov_b32 s4, 16
	s_mov_b32 s5, 0
	v_mov_b32_e32 v159, v157
	v_mov_b32_e32 v161, v155
	s_mov_b32 s9, 0
	v_mov_b32_e32 v181, v153
	s_waitcnt vmcnt(8)
	ds_write_b32 v84, v16
	s_waitcnt vmcnt(7)
	ds_write_b32 v79, v2
	s_waitcnt vmcnt(6)
	ds_write_b32 v85, v3
	s_waitcnt vmcnt(5)
	ds_write_b32 v91, v4
	s_waitcnt vmcnt(4)
	ds_write_b32 v97, v5
	s_waitcnt vmcnt(3)
	ds_write_b32 v103, v6
	s_waitcnt vmcnt(2)
	ds_write_b32 v109, v7
	s_waitcnt vmcnt(1)
	ds_write_b32 v115, v8
	s_waitcnt vmcnt(0)
	ds_write_b32 v65, v0
	s_waitcnt lgkmcnt(0)
	s_barrier
	ds_read_b32 v0, v117
	ds_read_b32 v1, v121 offset:128
	ds_read_b32 v2, v123 offset:256
	;; [unrolled: 1-line block ×3, first 2 shown]
	s_waitcnt lgkmcnt(2)
	v_cvt_f32_f16_e32 v134, v1
	v_cvt_f32_f16_e32 v130, v0
	v_cvt_f32_f16_sdwa v132, v0 dst_sel:DWORD dst_unused:UNUSED_PAD src0_sel:WORD_1
	v_cvt_f32_f16_sdwa v136, v1 dst_sel:DWORD dst_unused:UNUSED_PAD src0_sel:WORD_1
	s_waitcnt lgkmcnt(1)
	v_cvt_f32_f16_e32 v138, v2
	v_cvt_f32_f16_sdwa v140, v2 dst_sel:DWORD dst_unused:UNUSED_PAD src0_sel:WORD_1
	s_waitcnt lgkmcnt(0)
	v_cvt_f32_f16_e32 v142, v3
	v_cvt_f32_f16_sdwa v144, v3 dst_sel:DWORD dst_unused:UNUSED_PAD src0_sel:WORD_1
	v_mov_b32_e32 v131, v130
	v_mov_b32_e32 v133, v132
	;; [unrolled: 1-line block ×8, first 2 shown]
.LBB132_8:                              ;   Parent Loop BB132_5 Depth=1
                                        ; =>  This Inner Loop Header: Depth=2
	ds_read_b128 v[16:19], v159
	ds_read_b128 v[12:15], v159 offset:16
	ds_read_b128 v[8:11], v159 offset:32
	;; [unrolled: 1-line block ×3, first 2 shown]
	ds_read2_b64 v[0:3], v161 offset1:16
	ds_read2_b32 v[58:59], v181 offset1:1
	ds_read2_b32 v[68:69], v181 offset0:2 offset1:3
	ds_read2_b32 v[162:163], v181 offset0:4 offset1:5
	;; [unrolled: 1-line block ×3, first 2 shown]
	s_lshr_b32 s17, s4, 2
	s_and_b32 s17, s17, 0x3ffffffc
	v_add_u32_e32 v52, s5, v168
	v_add3_u32 v48, v172, s17, v52
	ds_read_u16 v49, v48 offset:25088
	ds_read_u16 v48, v48 offset:25096
	s_waitcnt lgkmcnt(5)
	v_lshrrev_b32_e32 v50, 4, v58
	v_and_b32_e32 v212, 0xf0f0f0f, v50
	v_lshrrev_b32_e32 v50, 4, v59
	v_and_b32_e32 v222, 0xf0f0f0f, v50
	s_waitcnt lgkmcnt(4)
	v_lshrrev_b32_e32 v50, 4, v68
	s_waitcnt lgkmcnt(1)
	v_and_b32_e32 v208, 0xff, v49
	v_and_b32_e32 v223, 0xf0f0f0f, v50
	v_lshrrev_b32_e32 v50, 4, v69
	v_lshrrev_b16_e32 v221, 8, v49
	v_add_u32_e32 v49, 0x1080, v181
	v_and_b32_e32 v199, 0xf0f0f0f, v58
	v_and_b32_e32 v198, 0xf0f0f0f, v59
	;; [unrolled: 1-line block ×3, first 2 shown]
	v_lshrrev_b32_e32 v50, 4, v162
	ds_read2_b32 v[58:59], v49 offset1:1
	v_add_u32_e32 v49, 0x1088, v181
	v_and_b32_e32 v201, 0xf0f0f0f, v68
	v_and_b32_e32 v202, 0xf0f0f0f, v69
	;; [unrolled: 1-line block ×3, first 2 shown]
	v_lshrrev_b32_e32 v50, 4, v163
	ds_read2_b32 v[68:69], v49 offset1:1
	v_add_u32_e32 v49, 0x1090, v181
	v_and_b32_e32 v205, 0xf0f0f0f, v162
	v_and_b32_e32 v206, 0xf0f0f0f, v163
	s_waitcnt lgkmcnt(2)
	v_cvt_f32_ubyte0_e32 v150, v48
	v_and_b32_e32 v226, 0xf0f0f0f, v50
	v_lshrrev_b32_e32 v50, 4, v164
	v_cvt_f32_ubyte1_e32 v154, v48
	v_add3_u32 v48, v171, s17, v52
	ds_read2_b32 v[162:163], v49 offset1:1
	v_add_u32_e32 v49, 0x1098, v181
	v_and_b32_e32 v210, 0xf0f0f0f, v164
	v_and_b32_e32 v211, 0xf0f0f0f, v165
	v_and_b32_e32 v227, 0xf0f0f0f, v50
	v_lshrrev_b32_e32 v50, 4, v165
	ds_read2_b32 v[164:165], v49 offset1:1
	ds_read_u16 v49, v48 offset:25600
	ds_read_u16 v48, v48 offset:25608
	s_waitcnt lgkmcnt(5)
	v_lshrrev_b32_e32 v53, 4, v59
	v_and_b32_e32 v232, 0xf0f0f0f, v53
	s_waitcnt lgkmcnt(4)
	v_lshrrev_b32_e32 v53, 4, v68
	s_waitcnt lgkmcnt(1)
	v_and_b32_e32 v215, 0xff, v49
	v_and_b32_e32 v234, 0xf0f0f0f, v53
	v_lshrrev_b32_e32 v53, 4, v69
	v_lshrrev_b16_e32 v239, 8, v49
	v_add_u32_e32 v49, 0x2100, v181
	v_and_b32_e32 v230, 0xf0f0f0f, v50
	v_and_b32_e32 v200, 0xf0f0f0f, v58
	;; [unrolled: 1-line block ×3, first 2 shown]
	v_lshrrev_b32_e32 v50, 4, v58
	v_and_b32_e32 v236, 0xf0f0f0f, v53
	v_lshrrev_b32_e32 v53, 4, v162
	ds_read2_b32 v[58:59], v49 offset1:1
	v_add_u32_e32 v49, 0x2108, v181
	v_and_b32_e32 v207, 0xf0f0f0f, v68
	v_and_b32_e32 v209, 0xf0f0f0f, v69
	;; [unrolled: 1-line block ×3, first 2 shown]
	v_lshrrev_b32_e32 v53, 4, v163
	ds_read2_b32 v[68:69], v49 offset1:1
	v_add_u32_e32 v49, 0x2110, v181
	v_and_b32_e32 v213, 0xf0f0f0f, v162
	v_and_b32_e32 v214, 0xf0f0f0f, v163
	s_waitcnt lgkmcnt(2)
	v_cvt_f32_ubyte0_e32 v152, v48
	v_and_b32_e32 v241, 0xf0f0f0f, v53
	v_lshrrev_b32_e32 v53, 4, v164
	v_cvt_f32_ubyte1_e32 v158, v48
	v_add3_u32 v48, v170, s17, v52
	ds_read2_b32 v[162:163], v49 offset1:1
	v_add_u32_e32 v49, 0x2118, v181
	v_and_b32_e32 v216, 0xf0f0f0f, v164
	v_and_b32_e32 v217, 0xf0f0f0f, v165
	;; [unrolled: 1-line block ×3, first 2 shown]
	v_lshrrev_b32_e32 v53, 4, v165
	ds_read2_b32 v[164:165], v49 offset1:1
	ds_read_u16 v49, v48 offset:26112
	ds_read_u16 v48, v48 offset:26120
	s_waitcnt lgkmcnt(5)
	v_and_b32_e32 v220, 0xf0f0f0f, v59
	v_lshrrev_b32_e32 v59, 4, v59
	v_and_b32_e32 v246, 0xf0f0f0f, v59
	s_waitcnt lgkmcnt(1)
	v_and_b32_e32 v231, 0xff, v49
	v_lshrrev_b32_e32 v59, 4, v68
	v_lshrrev_b16_e32 v250, 8, v49
	v_add_u32_e32 v49, 0x3180, v181
	v_and_b32_e32 v228, 0xf0f0f0f, v68
	v_and_b32_e32 v229, 0xf0f0f0f, v69
	;; [unrolled: 1-line block ×3, first 2 shown]
	v_lshrrev_b32_e32 v59, 4, v69
	ds_read2_b32 v[68:69], v49 offset1:1
	v_mov_b32_e32 v254, 0
	v_mov_b32_e32 v255, 0
	v_and_b32_e32 v244, 0xf0f0f0f, v53
	v_and_b32_e32 v218, 0xf0f0f0f, v58
	v_mov_b32_e32 v53, 0
	s_waitcnt lgkmcnt(1)
	v_cvt_f32_ubyte0_e32 v156, v48
	v_cvt_f32_ubyte1_e32 v160, v48
	v_add3_u32 v48, v169, s17, v52
	s_waitcnt lgkmcnt(0)
	v_and_b32_e32 v245, 0xf0f0f0f, v68
	v_mov_b32_e32 v52, 0
	v_dot4c_i32_i8_e32 v254, v199, v16
	v_dot4c_i32_i8_e32 v255, v200, v16
	;; [unrolled: 1-line block ×4, first 2 shown]
	v_and_b32_e32 v204, 0xf0f0f0f, v69
	v_add_u32_e32 v16, 0x3188, v181
	v_dot4c_i32_i8_e32 v254, v198, v17
	v_dot4c_i32_i8_e32 v255, v203, v17
	;; [unrolled: 1-line block ×4, first 2 shown]
	ds_read2_b32 v[16:17], v16 offset1:1
	v_dot4c_i32_i8_e32 v254, v201, v18
	v_dot4c_i32_i8_e32 v255, v207, v18
	;; [unrolled: 1-line block ×4, first 2 shown]
	s_waitcnt lgkmcnt(0)
	v_and_b32_e32 v193, 0xf0f0f0f, v16
	v_dot4c_i32_i8_e32 v52, v193, v18
	v_and_b32_e32 v192, 0xf0f0f0f, v17
	v_add_u32_e32 v18, 0x3190, v181
	v_dot4c_i32_i8_e32 v255, v209, v19
	v_dot4c_i32_i8_e32 v53, v229, v19
	;; [unrolled: 1-line block ×3, first 2 shown]
	ds_read2_b32 v[18:19], v18 offset1:1
	v_and_b32_e32 v233, 0xf0f0f0f, v162
	v_dot4c_i32_i8_e32 v254, v205, v12
	v_dot4c_i32_i8_e32 v255, v213, v12
	;; [unrolled: 1-line block ×3, first 2 shown]
	s_waitcnt lgkmcnt(0)
	v_and_b32_e32 v194, 0xf0f0f0f, v18
	v_and_b32_e32 v235, 0xf0f0f0f, v163
	v_dot4c_i32_i8_e32 v52, v194, v12
	v_and_b32_e32 v195, 0xf0f0f0f, v19
	v_add_u32_e32 v12, 0x3198, v181
	v_dot4c_i32_i8_e32 v254, v206, v13
	v_dot4c_i32_i8_e32 v255, v214, v13
	;; [unrolled: 1-line block ×4, first 2 shown]
	ds_read2_b32 v[12:13], v12 offset1:1
	v_and_b32_e32 v237, 0xf0f0f0f, v164
	v_dot4c_i32_i8_e32 v254, v210, v14
	v_dot4c_i32_i8_e32 v255, v216, v14
	;; [unrolled: 1-line block ×3, first 2 shown]
	s_waitcnt lgkmcnt(0)
	v_and_b32_e32 v196, 0xf0f0f0f, v12
	v_and_b32_e32 v240, 0xf0f0f0f, v165
	v_dot4c_i32_i8_e32 v52, v196, v14
	v_and_b32_e32 v197, 0xf0f0f0f, v13
	v_dot4c_i32_i8_e32 v254, v211, v15
	v_dot4c_i32_i8_e32 v255, v217, v15
	;; [unrolled: 1-line block ×3, first 2 shown]
	v_lshrrev_b32_e32 v58, 4, v58
	v_dot4c_i32_i8_e32 v52, v197, v15
	ds_read_u16 v14, v48 offset:26624
	ds_read_u16 v15, v48 offset:26632
	v_lshrrev_b32_e32 v48, 4, v68
	v_mov_b32_e32 v51, 0
	v_and_b32_e32 v219, 0xf0f0f0f, v50
	v_mov_b32_e32 v50, 0
	v_and_b32_e32 v243, 0xf0f0f0f, v58
	;; [unrolled: 2-line block ×3, first 2 shown]
	v_mov_b32_e32 v62, 0
	v_dot4c_i32_i8_e32 v51, v212, v8
	v_dot4c_i32_i8_e32 v50, v219, v8
	;; [unrolled: 1-line block ×4, first 2 shown]
	v_lshrrev_b32_e32 v8, 4, v69
	v_and_b32_e32 v191, 0xf0f0f0f, v8
	v_lshrrev_b32_e32 v8, 4, v16
	v_dot4c_i32_i8_e32 v51, v222, v9
	v_dot4c_i32_i8_e32 v50, v232, v9
	;; [unrolled: 1-line block ×4, first 2 shown]
	v_and_b32_e32 v190, 0xf0f0f0f, v8
	v_lshrrev_b32_e32 v8, 4, v17
	v_dot4c_i32_i8_e32 v51, v223, v10
	v_dot4c_i32_i8_e32 v50, v234, v10
	;; [unrolled: 1-line block ×3, first 2 shown]
	v_and_b32_e32 v248, 0xf0f0f0f, v59
	v_lshrrev_b32_e32 v59, 4, v162
	v_dot4c_i32_i8_e32 v62, v190, v10
	v_and_b32_e32 v184, 0xf0f0f0f, v8
	v_lshrrev_b32_e32 v8, 4, v18
	v_dot4c_i32_i8_e32 v51, v224, v11
	v_dot4c_i32_i8_e32 v50, v236, v11
	v_dot4c_i32_i8_e32 v58, v248, v11
	v_and_b32_e32 v249, 0xf0f0f0f, v59
	v_dot4c_i32_i8_e32 v62, v184, v11
	v_and_b32_e32 v185, 0xf0f0f0f, v8
	v_dot4c_i32_i8_e32 v51, v225, v4
	v_dot4c_i32_i8_e32 v50, v238, v4
	;; [unrolled: 1-line block ×3, first 2 shown]
	v_lshrrev_b32_e32 v59, 4, v163
	v_dot4c_i32_i8_e32 v62, v185, v4
	v_lshrrev_b32_e32 v4, 4, v19
	v_and_b32_e32 v251, 0xf0f0f0f, v59
	v_lshrrev_b32_e32 v59, 4, v164
	v_and_b32_e32 v186, 0xf0f0f0f, v4
	v_lshrrev_b32_e32 v4, 4, v12
	v_dot4c_i32_i8_e32 v51, v226, v5
	v_dot4c_i32_i8_e32 v50, v241, v5
	v_dot4c_i32_i8_e32 v58, v251, v5
	v_and_b32_e32 v252, 0xf0f0f0f, v59
	v_lshrrev_b32_e32 v59, 4, v165
	v_dot4c_i32_i8_e32 v62, v186, v5
	v_and_b32_e32 v187, 0xf0f0f0f, v4
	v_lshrrev_b32_e32 v4, 4, v13
	v_dot4c_i32_i8_e32 v51, v227, v6
	v_dot4c_i32_i8_e32 v50, v242, v6
	;; [unrolled: 1-line block ×3, first 2 shown]
	v_and_b32_e32 v253, 0xf0f0f0f, v59
	v_dot4c_i32_i8_e32 v62, v187, v6
	v_and_b32_e32 v189, 0xf0f0f0f, v4
	v_dot4c_i32_i8_e32 v51, v230, v7
	v_dot4c_i32_i8_e32 v50, v244, v7
	;; [unrolled: 1-line block ×3, first 2 shown]
	s_waitcnt lgkmcnt(1)
	v_and_b32_e32 v183, 0xff, v14
	s_waitcnt lgkmcnt(0)
	v_cvt_f32_ubyte0_e32 v148, v15
	v_dot4c_i32_i8_e32 v62, v189, v7
	v_lshrrev_b16_e32 v182, 8, v14
	v_cvt_f32_ubyte1_e32 v146, v15
	ds_read_b128 v[16:19], v159 offset:1024
	ds_read_b128 v[12:15], v159 offset:1040
	;; [unrolled: 1-line block ×4, first 2 shown]
	v_mov_b32_e32 v48, 0
	s_waitcnt lgkmcnt(3)
	v_dot4c_i32_i8_e32 v48, v199, v16
	v_mov_b32_e32 v49, 0
	v_dot4c_i32_i8_e32 v48, v198, v17
	s_waitcnt lgkmcnt(1)
	v_dot4c_i32_i8_e32 v49, v212, v8
	v_dot4c_i32_i8_e32 v48, v201, v18
	;; [unrolled: 1-line block ×8, first 2 shown]
	s_waitcnt lgkmcnt(0)
	v_dot4c_i32_i8_e32 v49, v225, v4
	v_dot4c_i32_i8_e32 v48, v210, v14
	;; [unrolled: 1-line block ×6, first 2 shown]
	v_cvt_f32_f16_e32 v165, v2
	v_cvt_f32_f16_e32 v164, v0
	v_cvt_f32_f16_sdwa v167, v2 dst_sel:DWORD dst_unused:UNUSED_PAD src0_sel:WORD_1
	v_cvt_f32_f16_sdwa v166, v0 dst_sel:DWORD dst_unused:UNUSED_PAD src0_sel:WORD_1
	v_cvt_f32_f16_e32 v162, v1
	v_cvt_f32_f16_sdwa v2, v1 dst_sel:DWORD dst_unused:UNUSED_PAD src0_sel:WORD_1
	v_mul_lo_u32 v0, v254, v208
	v_mul_lo_u32 v1, v48, v208
	v_cvt_f32_i32_e32 v1, v1
	v_cvt_f32_i32_e32 v0, v0
	v_mul_lo_u32 v48, v51, v221
	v_mul_lo_u32 v49, v49, v221
	v_cvt_f32_f16_e32 v163, v3
	v_cvt_f32_f16_sdwa v3, v3 dst_sel:DWORD dst_unused:UNUSED_PAD src0_sel:WORD_1
	v_cvt_f32_i32_e32 v49, v49
	v_cvt_f32_i32_e32 v48, v48
	v_pk_fma_f32 v[0:1], v[164:165], v[0:1], 0 op_sel_hi:[1,1,0]
	v_pk_fma_f32 v[68:69], v[150:151], v[166:167], 0 op_sel_hi:[0,1,0]
	v_mov_b32_e32 v51, 0
	v_pk_fma_f32 v[0:1], v[162:163], v[48:49], v[0:1]
	v_pk_fma_f32 v[48:49], v[154:155], v[2:3], v[68:69] op_sel_hi:[0,1,1]
	v_pk_mul_f32 v[48:49], v[48:49], v[132:133]
	v_pk_fma_f32 v[0:1], v[0:1], v[130:131], v[48:49] neg_lo:[0,0,1] neg_hi:[0,0,1]
	v_pk_add_f32 v[66:67], v[66:67], v[0:1]
	v_mov_b32_e32 v0, 0
	v_dot4c_i32_i8_e32 v0, v200, v16
	v_dot4c_i32_i8_e32 v0, v203, v17
	;; [unrolled: 1-line block ×16, first 2 shown]
	v_mul_lo_u32 v48, v255, v215
	v_mul_lo_u32 v0, v0, v215
	v_cvt_f32_i32_e32 v1, v0
	v_cvt_f32_i32_e32 v0, v48
	v_mul_lo_u32 v50, v50, v239
	v_mul_lo_u32 v51, v51, v239
	v_cvt_f32_i32_e32 v51, v51
	v_cvt_f32_i32_e32 v50, v50
	v_pk_fma_f32 v[48:49], v[152:153], v[166:167], 0 op_sel_hi:[0,1,0]
	v_pk_fma_f32 v[0:1], v[164:165], v[0:1], 0 op_sel_hi:[1,1,0]
	;; [unrolled: 1-line block ×3, first 2 shown]
	v_pk_fma_f32 v[0:1], v[162:163], v[50:51], v[0:1]
	v_pk_mul_f32 v[48:49], v[48:49], v[136:137]
	v_pk_fma_f32 v[0:1], v[0:1], v[134:135], v[48:49] neg_lo:[0,0,1] neg_hi:[0,0,1]
	v_pk_add_f32 v[54:55], v[54:55], v[0:1]
	v_mov_b32_e32 v0, 0
	v_dot4c_i32_i8_e32 v0, v218, v16
	v_mov_b32_e32 v50, 0
	v_dot4c_i32_i8_e32 v0, v220, v17
	v_dot4c_i32_i8_e32 v50, v243, v8
	;; [unrolled: 1-line block ×15, first 2 shown]
	v_mul_lo_u32 v48, v53, v231
	v_mul_lo_u32 v0, v0, v231
	v_cvt_f32_i32_e32 v1, v0
	v_cvt_f32_i32_e32 v0, v48
	v_mul_lo_u32 v53, v58, v250
	v_mul_lo_u32 v50, v50, v250
	v_cvt_f32_i32_e32 v51, v50
	v_cvt_f32_i32_e32 v50, v53
	v_pk_fma_f32 v[48:49], v[156:157], v[166:167], 0 op_sel_hi:[0,1,0]
	v_pk_fma_f32 v[0:1], v[164:165], v[0:1], 0 op_sel_hi:[1,1,0]
	;; [unrolled: 1-line block ×3, first 2 shown]
	v_pk_fma_f32 v[0:1], v[162:163], v[50:51], v[0:1]
	v_pk_mul_f32 v[48:49], v[48:49], v[140:141]
	v_pk_fma_f32 v[0:1], v[0:1], v[138:139], v[48:49] neg_lo:[0,0,1] neg_hi:[0,0,1]
	v_pk_add_f32 v[46:47], v[46:47], v[0:1]
	v_mov_b32_e32 v0, 0
	v_dot4c_i32_i8_e32 v0, v245, v16
	v_dot4c_i32_i8_e32 v0, v204, v17
	;; [unrolled: 1-line block ×5, first 2 shown]
	v_mov_b32_e32 v12, 0
	v_dot4c_i32_i8_e32 v12, v188, v8
	v_dot4c_i32_i8_e32 v12, v191, v9
	;; [unrolled: 1-line block ×11, first 2 shown]
	v_mul_lo_u32 v4, v52, v183
	v_mul_lo_u32 v0, v0, v183
	v_cvt_f32_i32_e32 v1, v0
	v_cvt_f32_i32_e32 v0, v4
	v_mul_lo_u32 v6, v62, v182
	v_mul_lo_u32 v7, v12, v182
	v_cvt_f32_i32_e32 v7, v7
	v_cvt_f32_i32_e32 v6, v6
	v_pk_fma_f32 v[4:5], v[148:149], v[166:167], 0 op_sel_hi:[0,1,0]
	v_pk_fma_f32 v[0:1], v[164:165], v[0:1], 0 op_sel_hi:[1,1,0]
	;; [unrolled: 1-line block ×3, first 2 shown]
	v_pk_fma_f32 v[0:1], v[162:163], v[6:7], v[0:1]
	v_pk_mul_f32 v[2:3], v[2:3], v[144:145]
	v_pk_fma_f32 v[0:1], v[0:1], v[142:143], v[2:3] neg_lo:[0,0,1] neg_hi:[0,0,1]
	v_pk_add_f32 v[44:45], v[44:45], v[0:1]
	ds_read_b128 v[8:11], v159 offset:2048
	ds_read_b128 v[12:15], v159 offset:2064
	ds_read2_b64 v[16:19], v161 offset0:32 offset1:48
	ds_read_b128 v[4:7], v159 offset:2080
	ds_read_b128 v[0:3], v159 offset:2096
	v_mov_b32_e32 v48, 0
	v_mov_b32_e32 v53, 0
	;; [unrolled: 1-line block ×8, first 2 shown]
	s_waitcnt lgkmcnt(4)
	v_dot4c_i32_i8_e32 v48, v199, v8
	s_waitcnt lgkmcnt(1)
	v_dot4c_i32_i8_e32 v53, v212, v4
	v_dot4c_i32_i8_e32 v62, v200, v8
	;; [unrolled: 1-line block ×32, first 2 shown]
	s_waitcnt lgkmcnt(0)
	v_dot4c_i32_i8_e32 v53, v225, v0
	v_dot4c_i32_i8_e32 v62, v213, v12
	;; [unrolled: 1-line block ×31, first 2 shown]
	ds_read_b128 v[12:15], v159 offset:3072
	ds_read_b128 v[8:11], v159 offset:3088
	;; [unrolled: 1-line block ×4, first 2 shown]
	v_mov_b32_e32 v49, 0
	s_waitcnt lgkmcnt(3)
	v_dot4c_i32_i8_e32 v49, v199, v12
	v_mov_b32_e32 v58, 0
	v_dot4c_i32_i8_e32 v49, v198, v13
	s_waitcnt lgkmcnt(1)
	v_dot4c_i32_i8_e32 v58, v212, v4
	v_dot4c_i32_i8_e32 v49, v201, v14
	;; [unrolled: 1-line block ×8, first 2 shown]
	s_waitcnt lgkmcnt(0)
	v_dot4c_i32_i8_e32 v58, v225, v0
	v_dot4c_i32_i8_e32 v49, v210, v10
	;; [unrolled: 1-line block ×6, first 2 shown]
	v_cvt_f32_f16_e32 v165, v18
	v_cvt_f32_f16_e32 v164, v16
	v_cvt_f32_f16_sdwa v167, v18 dst_sel:DWORD dst_unused:UNUSED_PAD src0_sel:WORD_1
	v_cvt_f32_f16_sdwa v166, v16 dst_sel:DWORD dst_unused:UNUSED_PAD src0_sel:WORD_1
	v_cvt_f32_f16_e32 v162, v17
	v_cvt_f32_f16_sdwa v18, v17 dst_sel:DWORD dst_unused:UNUSED_PAD src0_sel:WORD_1
	v_mul_lo_u32 v16, v48, v208
	v_mul_lo_u32 v17, v49, v208
	v_cvt_f32_f16_e32 v163, v19
	v_cvt_f32_f16_sdwa v19, v19 dst_sel:DWORD dst_unused:UNUSED_PAD src0_sel:WORD_1
	v_cvt_f32_i32_e32 v17, v17
	v_cvt_f32_i32_e32 v16, v16
	v_mul_lo_u32 v53, v53, v221
	v_mul_lo_u32 v58, v58, v221
	v_cvt_f32_i32_e32 v59, v58
	v_cvt_f32_i32_e32 v58, v53
	v_pk_fma_f32 v[48:49], v[150:151], v[166:167], 0 op_sel_hi:[0,1,0]
	v_pk_fma_f32 v[16:17], v[16:17], v[164:165], 0 op_sel_hi:[1,1,0]
	;; [unrolled: 1-line block ×3, first 2 shown]
	v_pk_fma_f32 v[16:17], v[58:59], v[162:163], v[16:17]
	v_pk_mul_f32 v[48:49], v[48:49], v[132:133]
	v_pk_fma_f32 v[16:17], v[16:17], v[130:131], v[48:49] neg_lo:[0,0,1] neg_hi:[0,0,1]
	v_pk_add_f32 v[42:43], v[42:43], v[16:17]
	v_mov_b32_e32 v16, 0
	v_dot4c_i32_i8_e32 v16, v200, v12
	v_mov_b32_e32 v53, 0
	v_dot4c_i32_i8_e32 v16, v203, v13
	v_dot4c_i32_i8_e32 v53, v219, v4
	;; [unrolled: 1-line block ×15, first 2 shown]
	v_mul_lo_u32 v48, v62, v215
	v_mul_lo_u32 v16, v16, v215
	v_cvt_f32_i32_e32 v17, v16
	v_cvt_f32_i32_e32 v16, v48
	v_mul_lo_u32 v58, v68, v239
	v_mul_lo_u32 v53, v53, v239
	v_cvt_f32_i32_e32 v59, v53
	v_cvt_f32_i32_e32 v58, v58
	v_pk_fma_f32 v[48:49], v[152:153], v[166:167], 0 op_sel_hi:[0,1,0]
	v_pk_fma_f32 v[16:17], v[16:17], v[164:165], 0 op_sel_hi:[1,1,0]
	;; [unrolled: 1-line block ×3, first 2 shown]
	v_pk_fma_f32 v[16:17], v[58:59], v[162:163], v[16:17]
	v_pk_mul_f32 v[48:49], v[48:49], v[136:137]
	v_pk_fma_f32 v[16:17], v[16:17], v[134:135], v[48:49] neg_lo:[0,0,1] neg_hi:[0,0,1]
	v_pk_add_f32 v[40:41], v[40:41], v[16:17]
	v_mov_b32_e32 v16, 0
	v_dot4c_i32_i8_e32 v16, v218, v12
	v_mov_b32_e32 v53, 0
	v_dot4c_i32_i8_e32 v16, v220, v13
	v_dot4c_i32_i8_e32 v53, v243, v4
	v_dot4c_i32_i8_e32 v16, v228, v14
	v_dot4c_i32_i8_e32 v53, v246, v5
	v_dot4c_i32_i8_e32 v16, v229, v15
	v_dot4c_i32_i8_e32 v53, v247, v6
	v_dot4c_i32_i8_e32 v16, v233, v8
	v_dot4c_i32_i8_e32 v53, v248, v7
	v_dot4c_i32_i8_e32 v16, v235, v9
	v_dot4c_i32_i8_e32 v53, v249, v0
	v_dot4c_i32_i8_e32 v16, v237, v10
	v_dot4c_i32_i8_e32 v53, v251, v1
	v_dot4c_i32_i8_e32 v16, v240, v11
	v_dot4c_i32_i8_e32 v53, v252, v2
	v_dot4c_i32_i8_e32 v53, v253, v3
	v_mul_lo_u32 v48, v52, v231
	v_mul_lo_u32 v16, v16, v231
	v_cvt_f32_i32_e32 v17, v16
	v_cvt_f32_i32_e32 v16, v48
	v_mul_lo_u32 v52, v69, v250
	v_mul_lo_u32 v53, v53, v250
	v_cvt_f32_i32_e32 v53, v53
	v_cvt_f32_i32_e32 v52, v52
	v_pk_fma_f32 v[48:49], v[156:157], v[166:167], 0 op_sel_hi:[0,1,0]
	v_pk_fma_f32 v[16:17], v[16:17], v[164:165], 0 op_sel_hi:[1,1,0]
	;; [unrolled: 1-line block ×3, first 2 shown]
	v_pk_fma_f32 v[16:17], v[52:53], v[162:163], v[16:17]
	v_pk_mul_f32 v[48:49], v[48:49], v[140:141]
	v_pk_fma_f32 v[16:17], v[16:17], v[138:139], v[48:49] neg_lo:[0,0,1] neg_hi:[0,0,1]
	v_pk_add_f32 v[38:39], v[38:39], v[16:17]
	v_mov_b32_e32 v16, 0
	v_dot4c_i32_i8_e32 v16, v245, v12
	v_dot4c_i32_i8_e32 v16, v204, v13
	;; [unrolled: 1-line block ×5, first 2 shown]
	v_mov_b32_e32 v8, 0
	v_dot4c_i32_i8_e32 v8, v188, v4
	v_dot4c_i32_i8_e32 v8, v191, v5
	;; [unrolled: 1-line block ×11, first 2 shown]
	v_mul_lo_u32 v0, v50, v183
	v_mul_lo_u32 v1, v16, v183
	v_cvt_f32_i32_e32 v1, v1
	v_cvt_f32_i32_e32 v0, v0
	v_mul_lo_u32 v4, v51, v182
	v_mul_lo_u32 v5, v8, v182
	v_cvt_f32_i32_e32 v5, v5
	v_cvt_f32_i32_e32 v4, v4
	v_pk_fma_f32 v[2:3], v[148:149], v[166:167], 0 op_sel_hi:[0,1,0]
	v_pk_fma_f32 v[0:1], v[0:1], v[164:165], 0 op_sel_hi:[1,1,0]
	;; [unrolled: 1-line block ×3, first 2 shown]
	v_pk_fma_f32 v[0:1], v[4:5], v[162:163], v[0:1]
	v_pk_mul_f32 v[2:3], v[2:3], v[144:145]
	v_pk_fma_f32 v[0:1], v[0:1], v[142:143], v[2:3] neg_lo:[0,0,1] neg_hi:[0,0,1]
	v_pk_add_f32 v[36:37], v[36:37], v[0:1]
	ds_read_b128 v[12:15], v159 offset:4096
	ds_read_b128 v[8:11], v159 offset:4112
	ds_read2_b64 v[16:19], v161 offset0:64 offset1:80
	ds_read_b128 v[4:7], v159 offset:4128
	ds_read_b128 v[0:3], v159 offset:4144
	v_mov_b32_e32 v48, 0
	v_mov_b32_e32 v58, 0
	;; [unrolled: 1-line block ×8, first 2 shown]
	s_waitcnt lgkmcnt(4)
	v_dot4c_i32_i8_e32 v48, v199, v12
	s_waitcnt lgkmcnt(1)
	v_dot4c_i32_i8_e32 v58, v212, v4
	v_dot4c_i32_i8_e32 v62, v200, v12
	;; [unrolled: 1-line block ×32, first 2 shown]
	s_waitcnt lgkmcnt(0)
	v_dot4c_i32_i8_e32 v58, v225, v0
	v_dot4c_i32_i8_e32 v62, v213, v8
	;; [unrolled: 1-line block ×31, first 2 shown]
	ds_read_b128 v[12:15], v159 offset:5120
	ds_read_b128 v[8:11], v159 offset:5136
	;; [unrolled: 1-line block ×4, first 2 shown]
	v_mov_b32_e32 v49, 0
	s_waitcnt lgkmcnt(3)
	v_dot4c_i32_i8_e32 v49, v199, v12
	v_mov_b32_e32 v59, 0
	v_dot4c_i32_i8_e32 v49, v198, v13
	s_waitcnt lgkmcnt(1)
	v_dot4c_i32_i8_e32 v59, v212, v4
	v_dot4c_i32_i8_e32 v49, v201, v14
	;; [unrolled: 1-line block ×8, first 2 shown]
	s_waitcnt lgkmcnt(0)
	v_dot4c_i32_i8_e32 v59, v225, v0
	v_dot4c_i32_i8_e32 v49, v210, v10
	;; [unrolled: 1-line block ×6, first 2 shown]
	v_cvt_f32_f16_e32 v165, v18
	v_cvt_f32_f16_e32 v164, v16
	v_cvt_f32_f16_sdwa v167, v18 dst_sel:DWORD dst_unused:UNUSED_PAD src0_sel:WORD_1
	v_cvt_f32_f16_sdwa v166, v16 dst_sel:DWORD dst_unused:UNUSED_PAD src0_sel:WORD_1
	v_cvt_f32_f16_e32 v162, v17
	v_cvt_f32_f16_sdwa v18, v17 dst_sel:DWORD dst_unused:UNUSED_PAD src0_sel:WORD_1
	v_mul_lo_u32 v16, v48, v208
	v_mul_lo_u32 v17, v49, v208
	v_cvt_f32_f16_e32 v163, v19
	v_cvt_f32_f16_sdwa v19, v19 dst_sel:DWORD dst_unused:UNUSED_PAD src0_sel:WORD_1
	v_cvt_f32_i32_e32 v17, v17
	v_cvt_f32_i32_e32 v16, v16
	v_mul_lo_u32 v58, v58, v221
	v_mul_lo_u32 v59, v59, v221
	v_cvt_f32_i32_e32 v59, v59
	v_cvt_f32_i32_e32 v58, v58
	v_pk_fma_f32 v[48:49], v[150:151], v[166:167], 0 op_sel_hi:[0,1,0]
	v_pk_fma_f32 v[16:17], v[16:17], v[164:165], 0 op_sel_hi:[1,1,0]
	;; [unrolled: 1-line block ×3, first 2 shown]
	v_pk_fma_f32 v[16:17], v[58:59], v[162:163], v[16:17]
	v_pk_mul_f32 v[48:49], v[48:49], v[132:133]
	v_pk_fma_f32 v[16:17], v[16:17], v[130:131], v[48:49] neg_lo:[0,0,1] neg_hi:[0,0,1]
	v_pk_add_f32 v[34:35], v[34:35], v[16:17]
	v_mov_b32_e32 v16, 0
	v_dot4c_i32_i8_e32 v16, v200, v12
	v_mov_b32_e32 v58, 0
	v_dot4c_i32_i8_e32 v16, v203, v13
	v_dot4c_i32_i8_e32 v58, v219, v4
	;; [unrolled: 1-line block ×15, first 2 shown]
	v_mul_lo_u32 v48, v62, v215
	v_mul_lo_u32 v16, v16, v215
	v_cvt_f32_i32_e32 v17, v16
	v_cvt_f32_i32_e32 v16, v48
	v_mul_lo_u32 v62, v68, v239
	v_mul_lo_u32 v58, v58, v239
	v_cvt_f32_i32_e32 v59, v58
	v_cvt_f32_i32_e32 v58, v62
	v_pk_fma_f32 v[48:49], v[152:153], v[166:167], 0 op_sel_hi:[0,1,0]
	v_pk_fma_f32 v[16:17], v[16:17], v[164:165], 0 op_sel_hi:[1,1,0]
	v_pk_fma_f32 v[48:49], v[158:159], v[18:19], v[48:49] op_sel_hi:[0,1,1]
	v_pk_fma_f32 v[16:17], v[58:59], v[162:163], v[16:17]
	v_pk_mul_f32 v[48:49], v[48:49], v[136:137]
	v_pk_fma_f32 v[16:17], v[16:17], v[134:135], v[48:49] neg_lo:[0,0,1] neg_hi:[0,0,1]
	v_pk_add_f32 v[32:33], v[32:33], v[16:17]
	v_mov_b32_e32 v16, 0
	v_dot4c_i32_i8_e32 v16, v218, v12
	v_mov_b32_e32 v58, 0
	v_dot4c_i32_i8_e32 v16, v220, v13
	v_dot4c_i32_i8_e32 v58, v243, v4
	;; [unrolled: 1-line block ×15, first 2 shown]
	v_mul_lo_u32 v48, v52, v231
	v_mul_lo_u32 v16, v16, v231
	v_cvt_f32_i32_e32 v17, v16
	v_cvt_f32_i32_e32 v16, v48
	v_mul_lo_u32 v52, v53, v250
	v_mul_lo_u32 v53, v58, v250
	v_cvt_f32_i32_e32 v53, v53
	v_cvt_f32_i32_e32 v52, v52
	v_pk_fma_f32 v[48:49], v[156:157], v[166:167], 0 op_sel_hi:[0,1,0]
	v_pk_fma_f32 v[16:17], v[16:17], v[164:165], 0 op_sel_hi:[1,1,0]
	;; [unrolled: 1-line block ×3, first 2 shown]
	v_pk_fma_f32 v[16:17], v[52:53], v[162:163], v[16:17]
	v_pk_mul_f32 v[48:49], v[48:49], v[140:141]
	v_pk_fma_f32 v[16:17], v[16:17], v[138:139], v[48:49] neg_lo:[0,0,1] neg_hi:[0,0,1]
	v_pk_add_f32 v[30:31], v[30:31], v[16:17]
	v_mov_b32_e32 v16, 0
	v_dot4c_i32_i8_e32 v16, v245, v12
	v_dot4c_i32_i8_e32 v16, v204, v13
	;; [unrolled: 1-line block ×5, first 2 shown]
	v_mov_b32_e32 v8, 0
	v_dot4c_i32_i8_e32 v8, v188, v4
	v_dot4c_i32_i8_e32 v8, v191, v5
	;; [unrolled: 1-line block ×11, first 2 shown]
	v_mul_lo_u32 v0, v50, v183
	v_mul_lo_u32 v1, v16, v183
	v_cvt_f32_i32_e32 v1, v1
	v_cvt_f32_i32_e32 v0, v0
	v_mul_lo_u32 v4, v51, v182
	v_mul_lo_u32 v5, v8, v182
	v_cvt_f32_i32_e32 v5, v5
	v_cvt_f32_i32_e32 v4, v4
	v_pk_fma_f32 v[2:3], v[148:149], v[166:167], 0 op_sel_hi:[0,1,0]
	v_pk_fma_f32 v[0:1], v[0:1], v[164:165], 0 op_sel_hi:[1,1,0]
	;; [unrolled: 1-line block ×3, first 2 shown]
	v_pk_fma_f32 v[0:1], v[4:5], v[162:163], v[0:1]
	v_pk_mul_f32 v[2:3], v[2:3], v[144:145]
	v_pk_fma_f32 v[0:1], v[0:1], v[142:143], v[2:3] neg_lo:[0,0,1] neg_hi:[0,0,1]
	v_pk_add_f32 v[28:29], v[28:29], v[0:1]
	ds_read_b128 v[0:3], v159 offset:6144
	ds_read_b128 v[4:7], v159 offset:6160
	ds_read2_b64 v[16:19], v161 offset0:96 offset1:112
	ds_read_b128 v[8:11], v159 offset:6176
	ds_read_b128 v[12:15], v159 offset:6192
	v_mov_b32_e32 v58, 0
	v_mov_b32_e32 v62, 0
	;; [unrolled: 1-line block ×8, first 2 shown]
	s_waitcnt lgkmcnt(4)
	v_dot4c_i32_i8_e32 v58, v199, v0
	s_waitcnt lgkmcnt(1)
	v_dot4c_i32_i8_e32 v62, v212, v8
	v_dot4c_i32_i8_e32 v52, v200, v0
	;; [unrolled: 1-line block ×32, first 2 shown]
	s_waitcnt lgkmcnt(0)
	v_dot4c_i32_i8_e32 v62, v225, v12
	v_dot4c_i32_i8_e32 v52, v213, v4
	;; [unrolled: 1-line block ×31, first 2 shown]
	ds_read_b128 v[8:11], v159 offset:7168
	ds_read_b128 v[12:15], v159 offset:7184
	;; [unrolled: 1-line block ×4, first 2 shown]
	v_mov_b32_e32 v48, 0
	s_waitcnt lgkmcnt(3)
	v_dot4c_i32_i8_e32 v48, v199, v8
	v_mov_b32_e32 v59, 0
	v_dot4c_i32_i8_e32 v48, v198, v9
	s_waitcnt lgkmcnt(1)
	v_dot4c_i32_i8_e32 v59, v212, v4
	v_dot4c_i32_i8_e32 v48, v201, v10
	;; [unrolled: 1-line block ×8, first 2 shown]
	s_waitcnt lgkmcnt(0)
	v_dot4c_i32_i8_e32 v59, v225, v0
	v_dot4c_i32_i8_e32 v48, v210, v14
	;; [unrolled: 1-line block ×6, first 2 shown]
	v_cvt_f32_f16_e32 v167, v18
	v_cvt_f32_f16_e32 v166, v16
	v_cvt_f32_f16_sdwa v165, v18 dst_sel:DWORD dst_unused:UNUSED_PAD src0_sel:WORD_1
	v_cvt_f32_f16_sdwa v164, v16 dst_sel:DWORD dst_unused:UNUSED_PAD src0_sel:WORD_1
	v_cvt_f32_f16_e32 v162, v17
	v_cvt_f32_f16_sdwa v18, v17 dst_sel:DWORD dst_unused:UNUSED_PAD src0_sel:WORD_1
	v_mul_lo_u32 v16, v58, v208
	v_mul_lo_u32 v17, v48, v208
	v_cvt_f32_f16_e32 v163, v19
	v_cvt_f32_f16_sdwa v19, v19 dst_sel:DWORD dst_unused:UNUSED_PAD src0_sel:WORD_1
	v_cvt_f32_i32_e32 v17, v17
	v_cvt_f32_i32_e32 v16, v16
	v_mul_lo_u32 v58, v62, v221
	v_mul_lo_u32 v59, v59, v221
	v_cvt_f32_i32_e32 v59, v59
	v_cvt_f32_i32_e32 v58, v58
	v_pk_fma_f32 v[48:49], v[150:151], v[164:165], 0 op_sel_hi:[0,1,0]
	v_pk_fma_f32 v[16:17], v[16:17], v[166:167], 0 op_sel_hi:[1,1,0]
	v_pk_fma_f32 v[48:49], v[154:155], v[18:19], v[48:49] op_sel_hi:[0,1,1]
	v_pk_fma_f32 v[16:17], v[58:59], v[162:163], v[16:17]
	v_pk_mul_f32 v[48:49], v[48:49], v[132:133]
	v_pk_fma_f32 v[16:17], v[16:17], v[130:131], v[48:49] neg_lo:[0,0,1] neg_hi:[0,0,1]
	v_pk_add_f32 v[26:27], v[26:27], v[16:17]
	v_mov_b32_e32 v16, 0
	v_dot4c_i32_i8_e32 v16, v200, v8
	v_mov_b32_e32 v58, 0
	v_dot4c_i32_i8_e32 v16, v203, v9
	v_dot4c_i32_i8_e32 v58, v219, v4
	v_dot4c_i32_i8_e32 v16, v207, v10
	v_dot4c_i32_i8_e32 v58, v232, v5
	v_dot4c_i32_i8_e32 v16, v209, v11
	v_dot4c_i32_i8_e32 v58, v234, v6
	v_dot4c_i32_i8_e32 v16, v213, v12
	v_dot4c_i32_i8_e32 v58, v236, v7
	v_dot4c_i32_i8_e32 v16, v214, v13
	v_dot4c_i32_i8_e32 v58, v238, v0
	v_dot4c_i32_i8_e32 v16, v216, v14
	v_dot4c_i32_i8_e32 v58, v241, v1
	v_dot4c_i32_i8_e32 v16, v217, v15
	v_dot4c_i32_i8_e32 v58, v242, v2
	v_dot4c_i32_i8_e32 v58, v244, v3
	v_mul_lo_u32 v48, v52, v215
	v_mul_lo_u32 v16, v16, v215
	v_cvt_f32_i32_e32 v17, v16
	v_cvt_f32_i32_e32 v16, v48
	v_mul_lo_u32 v52, v53, v239
	v_mul_lo_u32 v53, v58, v239
	v_cvt_f32_i32_e32 v53, v53
	v_cvt_f32_i32_e32 v52, v52
	v_pk_fma_f32 v[48:49], v[152:153], v[164:165], 0 op_sel_hi:[0,1,0]
	v_pk_fma_f32 v[16:17], v[16:17], v[166:167], 0 op_sel_hi:[1,1,0]
	v_pk_fma_f32 v[48:49], v[158:159], v[18:19], v[48:49] op_sel_hi:[0,1,1]
	v_pk_fma_f32 v[16:17], v[52:53], v[162:163], v[16:17]
	v_pk_mul_f32 v[48:49], v[48:49], v[136:137]
	v_pk_fma_f32 v[16:17], v[16:17], v[134:135], v[48:49] neg_lo:[0,0,1] neg_hi:[0,0,1]
	v_pk_add_f32 v[24:25], v[24:25], v[16:17]
	v_mov_b32_e32 v16, 0
	v_dot4c_i32_i8_e32 v16, v218, v8
	v_mov_b32_e32 v52, 0
	v_dot4c_i32_i8_e32 v16, v220, v9
	v_dot4c_i32_i8_e32 v52, v243, v4
	v_dot4c_i32_i8_e32 v16, v228, v10
	v_dot4c_i32_i8_e32 v52, v246, v5
	v_dot4c_i32_i8_e32 v16, v229, v11
	v_dot4c_i32_i8_e32 v52, v247, v6
	v_dot4c_i32_i8_e32 v16, v233, v12
	v_dot4c_i32_i8_e32 v52, v248, v7
	v_dot4c_i32_i8_e32 v16, v235, v13
	v_dot4c_i32_i8_e32 v52, v249, v0
	v_dot4c_i32_i8_e32 v16, v237, v14
	v_dot4c_i32_i8_e32 v52, v251, v1
	v_dot4c_i32_i8_e32 v16, v240, v15
	v_dot4c_i32_i8_e32 v52, v252, v2
	v_dot4c_i32_i8_e32 v52, v253, v3
	v_mul_lo_u32 v48, v50, v231
	v_mul_lo_u32 v16, v16, v231
	;; [unrolled: 33-line block ×3, first 2 shown]
	v_cvt_f32_i32_e32 v1, v1
	v_cvt_f32_i32_e32 v0, v0
	v_mul_lo_u32 v4, v254, v182
	v_mul_lo_u32 v5, v8, v182
	v_cvt_f32_i32_e32 v5, v5
	v_cvt_f32_i32_e32 v4, v4
	v_pk_fma_f32 v[2:3], v[148:149], v[164:165], 0 op_sel_hi:[0,1,0]
	v_pk_fma_f32 v[0:1], v[0:1], v[166:167], 0 op_sel_hi:[1,1,0]
	v_pk_fma_f32 v[2:3], v[146:147], v[18:19], v[2:3] op_sel_hi:[0,1,1]
	v_pk_fma_f32 v[0:1], v[4:5], v[162:163], v[0:1]
	v_pk_mul_f32 v[2:3], v[2:3], v[144:145]
	v_pk_fma_f32 v[0:1], v[0:1], v[142:143], v[2:3] neg_lo:[0,0,1] neg_hi:[0,0,1]
	s_add_i32 s4, s4, 8
	s_add_i32 s17, s9, 8
	s_add_i32 s9, s9, 16
	s_add_i32 s5, s5, 2
	v_pk_add_f32 v[20:21], v[20:21], v[0:1]
	v_add_u32_e32 v181, 32, v181
	v_add_u32_e32 v161, 8, v161
	;; [unrolled: 1-line block ×3, first 2 shown]
	s_cmp_lt_u32 s9, 24
	s_mov_b32 s9, s17
	s_cbranch_scc1 .LBB132_8
; %bb.9:                                ;   in Loop: Header=BB132_5 Depth=1
	s_add_i32 s0, s0, 1
	s_cmp_eq_u32 s0, s7
	s_barrier
	s_cbranch_scc0 .LBB132_5
; %bb.10:
	buffer_load_dword v1, off, s[20:23], 0 offset:72 ; 4-byte Folded Reload
	buffer_load_dword v2, off, s[20:23], 0 offset:76 ; 4-byte Folded Reload
.LBB132_11:
	s_waitcnt vmcnt(0)
	v_cmp_gt_u32_e32 vcc, s10, v2
	s_and_saveexec_b64 s[0:1], vcc
	s_cbranch_execz .LBB132_62
; %bb.12:
	v_add_u32_e32 v0, s6, v80
	v_mul_lo_u32 v5, v2, s14
	v_cmp_gt_u32_e32 vcc, s14, v0
	s_and_saveexec_b64 s[2:3], vcc
	s_cbranch_execz .LBB132_14
; %bb.13:
	v_add_u32_e32 v2, v0, v5
	v_mov_b32_e32 v3, 0
	v_lshlrev_b64 v[2:3], 2, v[2:3]
	s_waitcnt lgkmcnt(0)
	v_mov_b32_e32 v4, s13
	v_add_co_u32_e64 v2, s[0:1], s12, v2
	v_addc_co_u32_e64 v3, s[0:1], v4, v3, s[0:1]
	global_store_dword v[2:3], v66, off
.LBB132_14:
	s_or_b64 exec, exec, s[2:3]
	v_add_u32_e32 v2, 32, v0
	v_cmp_gt_u32_e64 s[0:1], s14, v2
	s_and_saveexec_b64 s[4:5], s[0:1]
	s_cbranch_execz .LBB132_16
; %bb.15:
	v_add_u32_e32 v6, v2, v5
	v_mov_b32_e32 v7, 0
	v_lshlrev_b64 v[6:7], 2, v[6:7]
	s_waitcnt lgkmcnt(0)
	v_mov_b32_e32 v3, s13
	v_add_co_u32_e64 v6, s[2:3], s12, v6
	v_addc_co_u32_e64 v7, s[2:3], v3, v7, s[2:3]
	global_store_dword v[6:7], v54, off
.LBB132_16:
	s_or_b64 exec, exec, s[4:5]
	v_add_u32_e32 v3, 64, v0
	v_cmp_gt_u32_e64 s[2:3], s14, v3
	s_and_saveexec_b64 s[6:7], s[2:3]
	;; [unrolled: 15-line block ×3, first 2 shown]
	s_cbranch_execz .LBB132_20
; %bb.19:
	v_add_u32_e32 v6, v4, v5
	v_mov_b32_e32 v7, 0
	v_lshlrev_b64 v[6:7], 2, v[6:7]
	s_waitcnt lgkmcnt(0)
	v_mov_b32_e32 v5, s13
	v_add_co_u32_e64 v6, s[6:7], s12, v6
	v_addc_co_u32_e64 v7, s[6:7], v5, v7, s[6:7]
	global_store_dword v[6:7], v44, off
.LBB132_20:
	s_or_b64 exec, exec, s[8:9]
	v_add3_u32 v5, v1, s15, 8
	v_cmp_gt_u32_e64 s[6:7], s10, v5
	s_and_b64 exec, exec, s[6:7]
	s_cbranch_execz .LBB132_62
; %bb.21:
	v_mul_lo_u32 v5, v5, s14
	s_and_saveexec_b64 s[8:9], vcc
	s_cbranch_execnz .LBB132_63
; %bb.22:
	s_or_b64 exec, exec, s[8:9]
	s_and_saveexec_b64 s[8:9], s[0:1]
	s_cbranch_execnz .LBB132_64
.LBB132_23:
	s_or_b64 exec, exec, s[8:9]
	s_and_saveexec_b64 s[8:9], s[2:3]
	s_cbranch_execnz .LBB132_65
.LBB132_24:
	s_or_b64 exec, exec, s[8:9]
	s_and_saveexec_b64 s[8:9], s[4:5]
	s_cbranch_execz .LBB132_26
.LBB132_25:
	v_add_u32_e32 v6, v5, v4
	v_mov_b32_e32 v7, 0
	v_lshlrev_b64 v[6:7], 2, v[6:7]
	s_waitcnt lgkmcnt(0)
	v_mov_b32_e32 v5, s13
	v_add_co_u32_e64 v6, s[6:7], s12, v6
	v_addc_co_u32_e64 v7, s[6:7], v5, v7, s[6:7]
	global_store_dword v[6:7], v45, off
.LBB132_26:
	s_or_b64 exec, exec, s[8:9]
	v_add3_u32 v5, v1, s15, 16
	v_cmp_gt_u32_e64 s[6:7], s10, v5
	s_and_b64 exec, exec, s[6:7]
	s_cbranch_execz .LBB132_62
; %bb.27:
	v_mul_lo_u32 v5, v5, s14
	s_and_saveexec_b64 s[8:9], vcc
	s_cbranch_execnz .LBB132_66
; %bb.28:
	s_or_b64 exec, exec, s[8:9]
	s_and_saveexec_b64 s[8:9], s[0:1]
	s_cbranch_execnz .LBB132_67
.LBB132_29:
	s_or_b64 exec, exec, s[8:9]
	s_and_saveexec_b64 s[8:9], s[2:3]
	s_cbranch_execnz .LBB132_68
.LBB132_30:
	s_or_b64 exec, exec, s[8:9]
	s_and_saveexec_b64 s[8:9], s[4:5]
	s_cbranch_execz .LBB132_32
.LBB132_31:
	v_add_u32_e32 v6, v5, v4
	v_mov_b32_e32 v7, 0
	v_lshlrev_b64 v[6:7], 2, v[6:7]
	s_waitcnt lgkmcnt(0)
	v_mov_b32_e32 v5, s13
	v_add_co_u32_e64 v6, s[6:7], s12, v6
	v_addc_co_u32_e64 v7, s[6:7], v5, v7, s[6:7]
	global_store_dword v[6:7], v36, off
.LBB132_32:
	s_or_b64 exec, exec, s[8:9]
	v_add3_u32 v5, v1, s15, 24
	v_cmp_gt_u32_e64 s[6:7], s10, v5
	s_and_b64 exec, exec, s[6:7]
	s_cbranch_execz .LBB132_62
; %bb.33:
	v_mul_lo_u32 v5, v5, s14
	s_and_saveexec_b64 s[8:9], vcc
	s_cbranch_execnz .LBB132_69
; %bb.34:
	s_or_b64 exec, exec, s[8:9]
	s_and_saveexec_b64 s[8:9], s[0:1]
	s_cbranch_execnz .LBB132_70
.LBB132_35:
	s_or_b64 exec, exec, s[8:9]
	s_and_saveexec_b64 s[8:9], s[2:3]
	s_cbranch_execnz .LBB132_71
.LBB132_36:
	s_or_b64 exec, exec, s[8:9]
	s_and_saveexec_b64 s[8:9], s[4:5]
	s_cbranch_execz .LBB132_38
.LBB132_37:
	v_add_u32_e32 v6, v5, v4
	v_mov_b32_e32 v7, 0
	v_lshlrev_b64 v[6:7], 2, v[6:7]
	s_waitcnt lgkmcnt(0)
	v_mov_b32_e32 v5, s13
	v_add_co_u32_e64 v6, s[6:7], s12, v6
	v_addc_co_u32_e64 v7, s[6:7], v5, v7, s[6:7]
	global_store_dword v[6:7], v37, off
.LBB132_38:
	s_or_b64 exec, exec, s[8:9]
	v_add3_u32 v5, v1, s15, 32
	v_cmp_gt_u32_e64 s[6:7], s10, v5
	s_and_b64 exec, exec, s[6:7]
	s_cbranch_execz .LBB132_62
; %bb.39:
	v_mul_lo_u32 v5, v5, s14
	s_and_saveexec_b64 s[8:9], vcc
	s_cbranch_execnz .LBB132_72
; %bb.40:
	s_or_b64 exec, exec, s[8:9]
	s_and_saveexec_b64 s[8:9], s[0:1]
	s_cbranch_execnz .LBB132_73
.LBB132_41:
	s_or_b64 exec, exec, s[8:9]
	s_and_saveexec_b64 s[8:9], s[2:3]
	s_cbranch_execnz .LBB132_74
.LBB132_42:
	s_or_b64 exec, exec, s[8:9]
	s_and_saveexec_b64 s[8:9], s[4:5]
	s_cbranch_execz .LBB132_44
.LBB132_43:
	v_add_u32_e32 v6, v5, v4
	v_mov_b32_e32 v7, 0
	v_lshlrev_b64 v[6:7], 2, v[6:7]
	s_waitcnt lgkmcnt(0)
	v_mov_b32_e32 v5, s13
	v_add_co_u32_e64 v6, s[6:7], s12, v6
	v_addc_co_u32_e64 v7, s[6:7], v5, v7, s[6:7]
	global_store_dword v[6:7], v28, off
.LBB132_44:
	s_or_b64 exec, exec, s[8:9]
	v_add3_u32 v5, v1, s15, 40
	v_cmp_gt_u32_e64 s[6:7], s10, v5
	s_and_b64 exec, exec, s[6:7]
	s_cbranch_execz .LBB132_62
; %bb.45:
	v_mul_lo_u32 v5, v5, s14
	s_and_saveexec_b64 s[8:9], vcc
	s_cbranch_execnz .LBB132_75
; %bb.46:
	s_or_b64 exec, exec, s[8:9]
	s_and_saveexec_b64 s[8:9], s[0:1]
	s_cbranch_execnz .LBB132_76
.LBB132_47:
	s_or_b64 exec, exec, s[8:9]
	s_and_saveexec_b64 s[8:9], s[2:3]
	s_cbranch_execnz .LBB132_77
.LBB132_48:
	s_or_b64 exec, exec, s[8:9]
	s_and_saveexec_b64 s[8:9], s[4:5]
	s_cbranch_execz .LBB132_50
.LBB132_49:
	v_add_u32_e32 v6, v5, v4
	v_mov_b32_e32 v7, 0
	v_lshlrev_b64 v[6:7], 2, v[6:7]
	s_waitcnt lgkmcnt(0)
	v_mov_b32_e32 v5, s13
	v_add_co_u32_e64 v6, s[6:7], s12, v6
	v_addc_co_u32_e64 v7, s[6:7], v5, v7, s[6:7]
	global_store_dword v[6:7], v29, off
.LBB132_50:
	s_or_b64 exec, exec, s[8:9]
	v_add3_u32 v5, v1, s15, 48
	v_cmp_gt_u32_e64 s[6:7], s10, v5
	s_and_b64 exec, exec, s[6:7]
	s_cbranch_execz .LBB132_62
; %bb.51:
	v_mul_lo_u32 v5, v5, s14
	s_and_saveexec_b64 s[8:9], vcc
	s_cbranch_execnz .LBB132_78
; %bb.52:
	s_or_b64 exec, exec, s[8:9]
	s_and_saveexec_b64 s[8:9], s[0:1]
	s_cbranch_execnz .LBB132_79
.LBB132_53:
	s_or_b64 exec, exec, s[8:9]
	s_and_saveexec_b64 s[8:9], s[2:3]
	s_cbranch_execnz .LBB132_80
.LBB132_54:
	s_or_b64 exec, exec, s[8:9]
	s_and_saveexec_b64 s[8:9], s[4:5]
	s_cbranch_execz .LBB132_56
.LBB132_55:
	v_add_u32_e32 v6, v5, v4
	v_mov_b32_e32 v7, 0
	v_lshlrev_b64 v[6:7], 2, v[6:7]
	s_waitcnt lgkmcnt(0)
	v_mov_b32_e32 v5, s13
	v_add_co_u32_e64 v6, s[6:7], s12, v6
	v_addc_co_u32_e64 v7, s[6:7], v5, v7, s[6:7]
	global_store_dword v[6:7], v20, off
.LBB132_56:
	s_or_b64 exec, exec, s[8:9]
	v_add3_u32 v1, v1, s15, 56
	v_cmp_gt_u32_e64 s[6:7], s10, v1
	s_and_b64 exec, exec, s[6:7]
	s_cbranch_execz .LBB132_62
; %bb.57:
	v_mul_lo_u32 v1, v1, s14
	s_and_saveexec_b64 s[6:7], vcc
	s_cbranch_execnz .LBB132_81
; %bb.58:
	s_or_b64 exec, exec, s[6:7]
	s_and_saveexec_b64 s[6:7], s[0:1]
	s_cbranch_execnz .LBB132_82
.LBB132_59:
	s_or_b64 exec, exec, s[6:7]
	s_and_saveexec_b64 s[0:1], s[2:3]
	s_cbranch_execnz .LBB132_83
.LBB132_60:
	s_or_b64 exec, exec, s[0:1]
	s_and_b64 exec, exec, s[4:5]
	s_cbranch_execz .LBB132_62
.LBB132_61:
	v_add_u32_e32 v0, v1, v4
	v_mov_b32_e32 v1, 0
	v_lshlrev_b64 v[0:1], 2, v[0:1]
	s_waitcnt lgkmcnt(0)
	v_mov_b32_e32 v2, s13
	v_add_co_u32_e32 v0, vcc, s12, v0
	v_addc_co_u32_e32 v1, vcc, v2, v1, vcc
	global_store_dword v[0:1], v21, off
.LBB132_62:
	s_endpgm
.LBB132_63:
	v_add_u32_e32 v6, v5, v0
	v_mov_b32_e32 v7, 0
	v_lshlrev_b64 v[6:7], 2, v[6:7]
	s_waitcnt lgkmcnt(0)
	v_mov_b32_e32 v8, s13
	v_add_co_u32_e64 v6, s[6:7], s12, v6
	v_addc_co_u32_e64 v7, s[6:7], v8, v7, s[6:7]
	global_store_dword v[6:7], v67, off
	s_or_b64 exec, exec, s[8:9]
	s_and_saveexec_b64 s[8:9], s[0:1]
	s_cbranch_execz .LBB132_23
.LBB132_64:
	v_add_u32_e32 v6, v5, v2
	v_mov_b32_e32 v7, 0
	v_lshlrev_b64 v[6:7], 2, v[6:7]
	s_waitcnt lgkmcnt(0)
	v_mov_b32_e32 v8, s13
	v_add_co_u32_e64 v6, s[6:7], s12, v6
	v_addc_co_u32_e64 v7, s[6:7], v8, v7, s[6:7]
	global_store_dword v[6:7], v55, off
	s_or_b64 exec, exec, s[8:9]
	s_and_saveexec_b64 s[8:9], s[2:3]
	s_cbranch_execz .LBB132_24
.LBB132_65:
	v_add_u32_e32 v6, v5, v3
	v_mov_b32_e32 v7, 0
	v_lshlrev_b64 v[6:7], 2, v[6:7]
	s_waitcnt lgkmcnt(0)
	v_mov_b32_e32 v8, s13
	v_add_co_u32_e64 v6, s[6:7], s12, v6
	v_addc_co_u32_e64 v7, s[6:7], v8, v7, s[6:7]
	global_store_dword v[6:7], v47, off
	s_or_b64 exec, exec, s[8:9]
	s_and_saveexec_b64 s[8:9], s[4:5]
	s_cbranch_execnz .LBB132_25
	s_branch .LBB132_26
.LBB132_66:
	v_add_u32_e32 v6, v5, v0
	v_mov_b32_e32 v7, 0
	v_lshlrev_b64 v[6:7], 2, v[6:7]
	s_waitcnt lgkmcnt(0)
	v_mov_b32_e32 v8, s13
	v_add_co_u32_e64 v6, s[6:7], s12, v6
	v_addc_co_u32_e64 v7, s[6:7], v8, v7, s[6:7]
	global_store_dword v[6:7], v42, off
	s_or_b64 exec, exec, s[8:9]
	s_and_saveexec_b64 s[8:9], s[0:1]
	s_cbranch_execz .LBB132_29
.LBB132_67:
	v_add_u32_e32 v6, v5, v2
	v_mov_b32_e32 v7, 0
	v_lshlrev_b64 v[6:7], 2, v[6:7]
	s_waitcnt lgkmcnt(0)
	v_mov_b32_e32 v8, s13
	v_add_co_u32_e64 v6, s[6:7], s12, v6
	v_addc_co_u32_e64 v7, s[6:7], v8, v7, s[6:7]
	global_store_dword v[6:7], v40, off
	s_or_b64 exec, exec, s[8:9]
	s_and_saveexec_b64 s[8:9], s[2:3]
	s_cbranch_execz .LBB132_30
.LBB132_68:
	v_add_u32_e32 v6, v5, v3
	v_mov_b32_e32 v7, 0
	v_lshlrev_b64 v[6:7], 2, v[6:7]
	s_waitcnt lgkmcnt(0)
	v_mov_b32_e32 v8, s13
	v_add_co_u32_e64 v6, s[6:7], s12, v6
	v_addc_co_u32_e64 v7, s[6:7], v8, v7, s[6:7]
	global_store_dword v[6:7], v38, off
	s_or_b64 exec, exec, s[8:9]
	s_and_saveexec_b64 s[8:9], s[4:5]
	s_cbranch_execnz .LBB132_31
	s_branch .LBB132_32
.LBB132_69:
	v_add_u32_e32 v6, v5, v0
	v_mov_b32_e32 v7, 0
	v_lshlrev_b64 v[6:7], 2, v[6:7]
	s_waitcnt lgkmcnt(0)
	v_mov_b32_e32 v8, s13
	v_add_co_u32_e64 v6, s[6:7], s12, v6
	v_addc_co_u32_e64 v7, s[6:7], v8, v7, s[6:7]
	global_store_dword v[6:7], v43, off
	s_or_b64 exec, exec, s[8:9]
	s_and_saveexec_b64 s[8:9], s[0:1]
	s_cbranch_execz .LBB132_35
.LBB132_70:
	v_add_u32_e32 v6, v5, v2
	v_mov_b32_e32 v7, 0
	v_lshlrev_b64 v[6:7], 2, v[6:7]
	s_waitcnt lgkmcnt(0)
	v_mov_b32_e32 v8, s13
	v_add_co_u32_e64 v6, s[6:7], s12, v6
	v_addc_co_u32_e64 v7, s[6:7], v8, v7, s[6:7]
	global_store_dword v[6:7], v41, off
	s_or_b64 exec, exec, s[8:9]
	s_and_saveexec_b64 s[8:9], s[2:3]
	s_cbranch_execz .LBB132_36
.LBB132_71:
	v_add_u32_e32 v6, v5, v3
	v_mov_b32_e32 v7, 0
	v_lshlrev_b64 v[6:7], 2, v[6:7]
	s_waitcnt lgkmcnt(0)
	v_mov_b32_e32 v8, s13
	v_add_co_u32_e64 v6, s[6:7], s12, v6
	v_addc_co_u32_e64 v7, s[6:7], v8, v7, s[6:7]
	global_store_dword v[6:7], v39, off
	s_or_b64 exec, exec, s[8:9]
	s_and_saveexec_b64 s[8:9], s[4:5]
	s_cbranch_execnz .LBB132_37
	s_branch .LBB132_38
.LBB132_72:
	v_add_u32_e32 v6, v5, v0
	v_mov_b32_e32 v7, 0
	v_lshlrev_b64 v[6:7], 2, v[6:7]
	s_waitcnt lgkmcnt(0)
	v_mov_b32_e32 v8, s13
	v_add_co_u32_e64 v6, s[6:7], s12, v6
	v_addc_co_u32_e64 v7, s[6:7], v8, v7, s[6:7]
	global_store_dword v[6:7], v34, off
	s_or_b64 exec, exec, s[8:9]
	s_and_saveexec_b64 s[8:9], s[0:1]
	s_cbranch_execz .LBB132_41
.LBB132_73:
	v_add_u32_e32 v6, v5, v2
	v_mov_b32_e32 v7, 0
	v_lshlrev_b64 v[6:7], 2, v[6:7]
	s_waitcnt lgkmcnt(0)
	v_mov_b32_e32 v8, s13
	v_add_co_u32_e64 v6, s[6:7], s12, v6
	v_addc_co_u32_e64 v7, s[6:7], v8, v7, s[6:7]
	global_store_dword v[6:7], v32, off
	s_or_b64 exec, exec, s[8:9]
	s_and_saveexec_b64 s[8:9], s[2:3]
	s_cbranch_execz .LBB132_42
.LBB132_74:
	v_add_u32_e32 v6, v5, v3
	v_mov_b32_e32 v7, 0
	v_lshlrev_b64 v[6:7], 2, v[6:7]
	s_waitcnt lgkmcnt(0)
	v_mov_b32_e32 v8, s13
	v_add_co_u32_e64 v6, s[6:7], s12, v6
	v_addc_co_u32_e64 v7, s[6:7], v8, v7, s[6:7]
	global_store_dword v[6:7], v30, off
	s_or_b64 exec, exec, s[8:9]
	s_and_saveexec_b64 s[8:9], s[4:5]
	s_cbranch_execnz .LBB132_43
	s_branch .LBB132_44
.LBB132_75:
	v_add_u32_e32 v6, v5, v0
	v_mov_b32_e32 v7, 0
	v_lshlrev_b64 v[6:7], 2, v[6:7]
	s_waitcnt lgkmcnt(0)
	v_mov_b32_e32 v8, s13
	v_add_co_u32_e64 v6, s[6:7], s12, v6
	v_addc_co_u32_e64 v7, s[6:7], v8, v7, s[6:7]
	global_store_dword v[6:7], v35, off
	s_or_b64 exec, exec, s[8:9]
	s_and_saveexec_b64 s[8:9], s[0:1]
	s_cbranch_execz .LBB132_47
.LBB132_76:
	v_add_u32_e32 v6, v5, v2
	v_mov_b32_e32 v7, 0
	v_lshlrev_b64 v[6:7], 2, v[6:7]
	s_waitcnt lgkmcnt(0)
	v_mov_b32_e32 v8, s13
	v_add_co_u32_e64 v6, s[6:7], s12, v6
	v_addc_co_u32_e64 v7, s[6:7], v8, v7, s[6:7]
	global_store_dword v[6:7], v33, off
	s_or_b64 exec, exec, s[8:9]
	s_and_saveexec_b64 s[8:9], s[2:3]
	s_cbranch_execz .LBB132_48
.LBB132_77:
	v_add_u32_e32 v6, v5, v3
	v_mov_b32_e32 v7, 0
	v_lshlrev_b64 v[6:7], 2, v[6:7]
	s_waitcnt lgkmcnt(0)
	v_mov_b32_e32 v8, s13
	v_add_co_u32_e64 v6, s[6:7], s12, v6
	v_addc_co_u32_e64 v7, s[6:7], v8, v7, s[6:7]
	global_store_dword v[6:7], v31, off
	s_or_b64 exec, exec, s[8:9]
	s_and_saveexec_b64 s[8:9], s[4:5]
	s_cbranch_execnz .LBB132_49
	s_branch .LBB132_50
.LBB132_78:
	v_add_u32_e32 v6, v5, v0
	v_mov_b32_e32 v7, 0
	v_lshlrev_b64 v[6:7], 2, v[6:7]
	s_waitcnt lgkmcnt(0)
	v_mov_b32_e32 v8, s13
	v_add_co_u32_e64 v6, s[6:7], s12, v6
	v_addc_co_u32_e64 v7, s[6:7], v8, v7, s[6:7]
	global_store_dword v[6:7], v26, off
	s_or_b64 exec, exec, s[8:9]
	s_and_saveexec_b64 s[8:9], s[0:1]
	s_cbranch_execz .LBB132_53
.LBB132_79:
	v_add_u32_e32 v6, v5, v2
	v_mov_b32_e32 v7, 0
	v_lshlrev_b64 v[6:7], 2, v[6:7]
	s_waitcnt lgkmcnt(0)
	v_mov_b32_e32 v8, s13
	v_add_co_u32_e64 v6, s[6:7], s12, v6
	v_addc_co_u32_e64 v7, s[6:7], v8, v7, s[6:7]
	global_store_dword v[6:7], v24, off
	s_or_b64 exec, exec, s[8:9]
	s_and_saveexec_b64 s[8:9], s[2:3]
	s_cbranch_execz .LBB132_54
.LBB132_80:
	v_add_u32_e32 v6, v5, v3
	v_mov_b32_e32 v7, 0
	v_lshlrev_b64 v[6:7], 2, v[6:7]
	s_waitcnt lgkmcnt(0)
	v_mov_b32_e32 v8, s13
	v_add_co_u32_e64 v6, s[6:7], s12, v6
	v_addc_co_u32_e64 v7, s[6:7], v8, v7, s[6:7]
	global_store_dword v[6:7], v22, off
	s_or_b64 exec, exec, s[8:9]
	s_and_saveexec_b64 s[8:9], s[4:5]
	s_cbranch_execnz .LBB132_55
	s_branch .LBB132_56
.LBB132_81:
	v_add_u32_e32 v6, v1, v0
	v_mov_b32_e32 v7, 0
	v_lshlrev_b64 v[6:7], 2, v[6:7]
	s_waitcnt lgkmcnt(0)
	v_mov_b32_e32 v0, s13
	v_add_co_u32_e32 v6, vcc, s12, v6
	v_addc_co_u32_e32 v7, vcc, v0, v7, vcc
	global_store_dword v[6:7], v27, off
	s_or_b64 exec, exec, s[6:7]
	s_and_saveexec_b64 s[6:7], s[0:1]
	s_cbranch_execz .LBB132_59
.LBB132_82:
	v_add_u32_e32 v6, v1, v2
	v_mov_b32_e32 v7, 0
	v_lshlrev_b64 v[6:7], 2, v[6:7]
	s_waitcnt lgkmcnt(0)
	v_mov_b32_e32 v0, s13
	v_add_co_u32_e32 v6, vcc, s12, v6
	v_addc_co_u32_e32 v7, vcc, v0, v7, vcc
	global_store_dword v[6:7], v25, off
	s_or_b64 exec, exec, s[6:7]
	s_and_saveexec_b64 s[0:1], s[2:3]
	s_cbranch_execz .LBB132_60
.LBB132_83:
	v_add_u32_e32 v2, v1, v3
	v_mov_b32_e32 v3, 0
	v_lshlrev_b64 v[2:3], 2, v[2:3]
	s_waitcnt lgkmcnt(0)
	v_mov_b32_e32 v0, s13
	v_add_co_u32_e32 v2, vcc, s12, v2
	v_addc_co_u32_e32 v3, vcc, v0, v3, vcc
	global_store_dword v[2:3], v23, off
	s_or_b64 exec, exec, s[0:1]
	s_and_b64 exec, exec, s[4:5]
	s_cbranch_execnz .LBB132_61
	s_branch .LBB132_62
	.section	.rodata,"a",@progbits
	.p2align	6, 0x0
	.amdhsa_kernel _ZL12mul_mat_q4_KIfLb1EEvPKvS1_PT_iiiii
		.amdhsa_group_segment_fixed_size 28752
		.amdhsa_private_segment_fixed_size 84
		.amdhsa_kernarg_size 44
		.amdhsa_user_sgpr_count 6
		.amdhsa_user_sgpr_private_segment_buffer 1
		.amdhsa_user_sgpr_dispatch_ptr 0
		.amdhsa_user_sgpr_queue_ptr 0
		.amdhsa_user_sgpr_kernarg_segment_ptr 1
		.amdhsa_user_sgpr_dispatch_id 0
		.amdhsa_user_sgpr_flat_scratch_init 0
		.amdhsa_user_sgpr_kernarg_preload_length 0
		.amdhsa_user_sgpr_kernarg_preload_offset 0
		.amdhsa_user_sgpr_private_segment_size 0
		.amdhsa_uses_dynamic_stack 0
		.amdhsa_system_sgpr_private_segment_wavefront_offset 1
		.amdhsa_system_sgpr_workgroup_id_x 1
		.amdhsa_system_sgpr_workgroup_id_y 1
		.amdhsa_system_sgpr_workgroup_id_z 0
		.amdhsa_system_sgpr_workgroup_info 0
		.amdhsa_system_vgpr_workitem_id 1
		.amdhsa_next_free_vgpr 256
		.amdhsa_next_free_sgpr 24
		.amdhsa_accum_offset 256
		.amdhsa_reserve_vcc 1
		.amdhsa_reserve_flat_scratch 0
		.amdhsa_float_round_mode_32 0
		.amdhsa_float_round_mode_16_64 0
		.amdhsa_float_denorm_mode_32 3
		.amdhsa_float_denorm_mode_16_64 3
		.amdhsa_dx10_clamp 1
		.amdhsa_ieee_mode 1
		.amdhsa_fp16_overflow 0
		.amdhsa_tg_split 0
		.amdhsa_exception_fp_ieee_invalid_op 0
		.amdhsa_exception_fp_denorm_src 0
		.amdhsa_exception_fp_ieee_div_zero 0
		.amdhsa_exception_fp_ieee_overflow 0
		.amdhsa_exception_fp_ieee_underflow 0
		.amdhsa_exception_fp_ieee_inexact 0
		.amdhsa_exception_int_div_zero 0
	.end_amdhsa_kernel
	.section	.text._ZL12mul_mat_q4_KIfLb1EEvPKvS1_PT_iiiii,"axG",@progbits,_ZL12mul_mat_q4_KIfLb1EEvPKvS1_PT_iiiii,comdat
.Lfunc_end132:
	.size	_ZL12mul_mat_q4_KIfLb1EEvPKvS1_PT_iiiii, .Lfunc_end132-_ZL12mul_mat_q4_KIfLb1EEvPKvS1_PT_iiiii
                                        ; -- End function
	.section	.AMDGPU.csdata,"",@progbits
; Kernel info:
; codeLenInByte = 17776
; NumSgprs: 28
; NumVgprs: 256
; NumAgprs: 0
; TotalNumVgprs: 256
; ScratchSize: 84
; MemoryBound: 0
; FloatMode: 240
; IeeeMode: 1
; LDSByteSize: 28752 bytes/workgroup (compile time only)
; SGPRBlocks: 3
; VGPRBlocks: 31
; NumSGPRsForWavesPerEU: 28
; NumVGPRsForWavesPerEU: 256
; AccumOffset: 256
; Occupancy: 2
; WaveLimiterHint : 0
; COMPUTE_PGM_RSRC2:SCRATCH_EN: 1
; COMPUTE_PGM_RSRC2:USER_SGPR: 6
; COMPUTE_PGM_RSRC2:TRAP_HANDLER: 0
; COMPUTE_PGM_RSRC2:TGID_X_EN: 1
; COMPUTE_PGM_RSRC2:TGID_Y_EN: 1
; COMPUTE_PGM_RSRC2:TGID_Z_EN: 0
; COMPUTE_PGM_RSRC2:TIDIG_COMP_CNT: 1
; COMPUTE_PGM_RSRC3_GFX90A:ACCUM_OFFSET: 63
; COMPUTE_PGM_RSRC3_GFX90A:TG_SPLIT: 0
	.section	.text._ZL12mul_mat_q5_KIfLb0EEvPKvS1_PT_iiiii,"axG",@progbits,_ZL12mul_mat_q5_KIfLb0EEvPKvS1_PT_iiiii,comdat
	.globl	_ZL12mul_mat_q5_KIfLb0EEvPKvS1_PT_iiiii ; -- Begin function _ZL12mul_mat_q5_KIfLb0EEvPKvS1_PT_iiiii
	.p2align	8
	.type	_ZL12mul_mat_q5_KIfLb0EEvPKvS1_PT_iiiii,@function
_ZL12mul_mat_q5_KIfLb0EEvPKvS1_PT_iiiii: ; @_ZL12mul_mat_q5_KIfLb0EEvPKvS1_PT_iiiii
; %bb.0:
	s_mov_b64 s[26:27], s[2:3]
	s_mov_b64 s[24:25], s[0:1]
	s_add_u32 s24, s24, s8
	s_load_dword s14, s[4:5], 0x18
	s_load_dwordx4 s[8:11], s[4:5], 0x20
	s_addc_u32 s25, s25, 0
	s_waitcnt lgkmcnt(0)
	s_lshl_b32 s11, s7, 6
	v_bfe_u32 v9, v0, 10, 10
	s_cmpk_gt_i32 s14, 0xff
	s_cbranch_scc1 .LBB133_2
; %bb.1:
	v_bfe_u32 v1, v0, 10, 10
	v_and_b32_e32 v49, 0x3ff, v0
	v_add_u32_e32 v2, s11, v1
	s_mov_b64 s[0:1], 0
	s_mov_b32 s2, 0
	s_branch .LBB133_3
.LBB133_2:
	s_mov_b64 s[0:1], -1
                                        ; implicit-def: $sgpr2
                                        ; implicit-def: $vgpr1
                                        ; implicit-def: $vgpr49
                                        ; implicit-def: $vgpr2
.LBB133_3:
	s_load_dwordx2 s[12:13], s[4:5], 0x10
	s_lshl_b32 s6, s6, 7
	s_andn2_b64 vcc, exec, s[0:1]
	v_mov_b32_e32 v17, s2
	v_mov_b32_e32 v16, s2
	;; [unrolled: 1-line block ×32, first 2 shown]
	s_cbranch_vccnz .LBB133_11
; %bb.4:
	s_load_dwordx4 s[0:3], s[4:5], 0x0
	s_ashr_i32 s4, s14, 31
	s_lshr_b32 s4, s4, 24
	s_add_i32 s14, s14, s4
	s_ashr_i32 s4, s9, 31
	s_ashr_i32 s7, s14, 8
	s_lshr_b32 s4, s4, 27
	v_and_b32_e32 v49, 0x3ff, v0
	s_add_i32 s4, s9, s4
	s_mul_i32 s5, s7, s6
	v_lshlrev_b32_e32 v0, 1, v49
	v_and_b32_e32 v2, 7, v49
	s_ashr_i32 s4, s4, 5
	s_mul_hi_i32 s15, s5, 0xb0
	s_mulk_i32 s5, 0xb0
	v_and_or_b32 v0, v0, 48, v2
	v_mul_i32_i24_e32 v2, s7, v9
	s_waitcnt lgkmcnt(0)
	s_add_u32 s14, s0, s5
	buffer_store_dword v2, off, s[24:27], 0 ; 4-byte Folded Spill
	s_nop 0
	buffer_store_dword v3, off, s[24:27], 0 offset:4 ; 4-byte Folded Spill
	s_addc_u32 s15, s1, s15
	v_mul_u32_u24_e32 v2, 0x41, v9
	s_lshl_b32 s1, s7, 3
	v_add_lshl_u32 v61, v0, v2, 2
	v_mov_b32_e32 v0, s1
	v_mad_i32_i24 v56, s7, v9, v0
	v_add_u32_e32 v58, s1, v56
	v_add_u32_e32 v60, s1, v58
	;; [unrolled: 1-line block ×13, first 2 shown]
	v_lshrrev_b32_e32 v1, 2, v49
	v_add_u32_e32 v0, s1, v82
	v_and_b32_e32 v57, 6, v1
	buffer_store_dword v0, off, s[24:27], 0 offset:8 ; 4-byte Folded Spill
	s_nop 0
	buffer_store_dword v1, off, s[24:27], 0 offset:12 ; 4-byte Folded Spill
	v_lshlrev_b32_e32 v113, 5, v9
	v_add_u32_e32 v0, v113, v49
	v_and_b32_e32 v2, 0x7f, v0
	v_lshrrev_b32_e32 v0, 3, v0
	v_mul_i32_i24_e32 v4, s7, v2
	v_and_b32_e32 v0, 12, v0
	v_lshlrev_b32_e32 v2, 2, v2
	s_mov_b32 s1, 0xae40
	v_add3_u32 v115, v2, v0, s1
	v_and_b32_e32 v0, 3, v49
	v_add_u32_e32 v2, 0xfe, v0
	v_cmp_gt_u32_e32 vcc, 2, v0
	buffer_store_dword v4, off, s[24:27], 0 offset:16 ; 4-byte Folded Spill
	s_nop 0
	buffer_store_dword v5, off, s[24:27], 0 offset:20 ; 4-byte Folded Spill
	v_lshlrev_b32_e32 v3, 3, v9
	v_cndmask_b32_e32 v2, v2, v0, vcc
	v_and_b32_e32 v6, 0xff, v2
	v_cmp_ne_u32_e32 vcc, 0, v0
	v_addc_co_u32_e32 v2, vcc, 0, v6, vcc
	v_lshlrev_b32_e32 v185, 1, v6
	v_lshlrev_b32_e32 v8, 2, v0
	s_mov_b32 s5, 0xa200
	v_lshlrev_b32_e32 v55, 2, v49
	v_and_b32_e32 v52, 28, v55
	v_and_b32_e32 v4, 4, v55
	v_cmp_lt_u32_e32 vcc, 1, v0
	v_cndmask_b32_e32 v161, 0, v4, vcc
	v_cndmask_b32_e64 v4, 0, 1, vcc
	v_add_co_u32_e32 v92, vcc, s2, v52
	v_add_u32_e32 v10, s11, v9
	v_add_u32_e32 v208, 0x100, v113
	;; [unrolled: 1-line block ×8, first 2 shown]
	v_lshrrev_b32_e32 v48, 5, v49
	s_mov_b32 s0, 0
	s_movk_i32 s9, 0xb0
	v_and_b32_e32 v50, 0x7c, v55
	v_or_b32_e32 v59, 1, v57
	v_add_u32_e32 v75, 0x38e0, v61
	v_add_u32_e32 v77, 0x4100, v61
	;; [unrolled: 1-line block ×9, first 2 shown]
	v_lshrrev_b32_e32 v204, 3, v49
	v_mul_u32_u24_e32 v235, 0x104, v49
	v_lshlrev_b32_e32 v239, 2, v2
	v_lshlrev_b32_e32 v240, 2, v4
	buffer_store_dword v9, off, s[24:27], 0 offset:24 ; 4-byte Folded Spill
	buffer_store_dword v10, off, s[24:27], 0 offset:28 ; 4-byte Folded Spill
	v_add_u32_e32 v5, v1, v3
	v_add_u16_e32 v1, v1, v3
	v_and_b32_e32 v6, 0x7f, v5
	v_lshrrev_b16_e32 v1, 1, v1
	v_lshl_or_b32 v7, v6, 4, v8
	v_and_b32_e32 v1, 60, v1
	v_add3_u32 v202, v7, v1, s5
	v_xor_b32_e32 v1, 64, v6
	v_mul_i32_i24_e32 v90, s7, v1
	v_lshl_or_b32 v3, v1, 4, v8
	v_lshrrev_b32_e32 v1, 1, v1
	v_and_b32_e32 v1, 60, v1
	v_add3_u32 v203, v3, v1, s5
	v_mov_b32_e32 v1, s3
	v_addc_co_u32_e32 v93, vcc, 0, v1, vcc
	v_and_b32_e32 v1, 63, v5
	s_add_i32 s5, s8, -1
	v_or_b32_e32 v5, s11, v1
	v_min_i32_e32 v5, s5, v5
	v_mad_u64_u32 v[94:95], s[16:17], v5, s4, v[0:1]
	v_lshl_or_b32 v0, v1, 4, v8
	v_mul_i32_i24_e32 v88, s7, v6
	v_cvt_f64_i32_e32 v[6:7], s5
	v_add_u32_e32 v95, 0xaa40, v0
	v_cvt_f64_u32_e32 v[0:1], v10
	v_min_f64 v[0:1], v[0:1], v[6:7]
	v_and_b32_e32 v3, 31, v49
	v_cvt_i32_f64_e32 v0, v[0:1]
	v_mul_lo_u32 v205, s4, v0
	v_or_b32_e32 v0, v113, v3
	v_mov_b32_e32 v5, 0x8200
	v_lshl_add_u32 v206, v0, 2, v5
	v_add_u32_e32 v0, 8, v10
	v_cvt_f64_u32_e32 v[0:1], v0
	v_min_f64 v[0:1], v[0:1], v[6:7]
	v_cvt_i32_f64_e32 v0, v[0:1]
	v_mul_lo_u32 v207, s4, v0
	v_or_b32_e32 v0, v208, v3
	v_lshl_add_u32 v209, v0, 2, v5
	v_add_u32_e32 v0, 16, v10
	v_cvt_f64_u32_e32 v[0:1], v0
	v_min_f64 v[0:1], v[0:1], v[6:7]
	v_cvt_i32_f64_e32 v0, v[0:1]
	v_mul_lo_u32 v210, s4, v0
	v_or_b32_e32 v0, v211, v3
	v_lshl_add_u32 v212, v0, 2, v5
	v_add_u32_e32 v0, 24, v10
	v_cvt_f64_u32_e32 v[0:1], v0
	v_min_f64 v[0:1], v[0:1], v[6:7]
	v_cvt_i32_f64_e32 v0, v[0:1]
	v_mul_lo_u32 v213, s4, v0
	v_or_b32_e32 v0, v214, v3
	v_lshl_add_u32 v215, v0, 2, v5
	v_add_u32_e32 v0, 32, v10
	v_cvt_f64_u32_e32 v[0:1], v0
	v_min_f64 v[0:1], v[0:1], v[6:7]
	v_cvt_i32_f64_e32 v0, v[0:1]
	v_mul_lo_u32 v216, s4, v0
	v_or_b32_e32 v0, v217, v3
	v_lshl_add_u32 v218, v0, 2, v5
	v_add_u32_e32 v0, 40, v10
	v_cvt_f64_u32_e32 v[0:1], v0
	v_min_f64 v[0:1], v[0:1], v[6:7]
	v_cvt_i32_f64_e32 v0, v[0:1]
	v_mul_lo_u32 v219, s4, v0
	v_or_b32_e32 v0, v220, v3
	v_lshl_add_u32 v221, v0, 2, v5
	v_add_u32_e32 v0, 48, v10
	v_cvt_f64_u32_e32 v[0:1], v0
	v_min_f64 v[0:1], v[0:1], v[6:7]
	v_cvt_i32_f64_e32 v0, v[0:1]
	v_mul_lo_u32 v222, s4, v0
	v_or_b32_e32 v0, v223, v3
	v_lshl_add_u32 v224, v0, 2, v5
	v_add_u32_e32 v0, 56, v10
	v_cvt_f64_u32_e32 v[0:1], v0
	v_min_f64 v[0:1], v[0:1], v[6:7]
	v_cvt_i32_f64_e32 v0, v[0:1]
	v_mul_lo_u32 v225, s4, v0
	v_or_b32_e32 v0, v226, v3
	v_lshl_add_u32 v227, v0, 2, v5
	v_lshlrev_b32_e32 v0, 2, v48
	v_add3_u32 v228, v0, v55, s1
	v_add_u32_e32 v0, 32, v49
	v_lshrrev_b32_e32 v229, 3, v0
	v_lshlrev_b32_e32 v1, 2, v0
	v_and_b32_e32 v0, 60, v229
	v_add3_u32 v230, v55, v0, s1
	v_add_u32_e32 v0, 64, v49
	v_lshrrev_b32_e32 v231, 3, v0
	v_lshlrev_b32_e32 v3, 2, v0
	v_and_b32_e32 v0, 60, v231
	;; [unrolled: 5-line block ×3, first 2 shown]
	v_add3_u32 v234, v55, v0, s1
	s_movk_i32 s1, 0x104
	v_mov_b32_e32 v0, 0x2080
	v_mad_u32_u24 v236, v49, s1, v0
	v_mov_b32_e32 v0, 0x4100
	v_mad_u32_u24 v237, v49, s1, v0
	;; [unrolled: 2-line block ×3, first 2 shown]
	s_mov_b32 s1, s0
	v_pk_mov_b32 v[46:47], s[0:1], s[0:1] op_sel:[0,1]
	s_mov_b32 s1, 0x10101010
	s_mov_b32 s16, 0x30303030
	v_lshlrev_b32_e32 v241, 2, v1
	v_lshlrev_b32_e32 v242, 2, v3
	;; [unrolled: 1-line block ×3, first 2 shown]
	v_pk_mov_b32 v[38:39], v[46:47], v[46:47] op_sel:[0,1]
	v_pk_mov_b32 v[30:31], v[46:47], v[46:47] op_sel:[0,1]
	;; [unrolled: 1-line block ×15, first 2 shown]
.LBB133_5:                              ; =>This Loop Header: Depth=1
                                        ;     Child Loop BB133_6 Depth 2
                                        ;     Child Loop BB133_8 Depth 2
	buffer_load_dword v4, off, s[24:27], 0  ; 4-byte Folded Reload
	buffer_load_dword v5, off, s[24:27], 0 offset:4 ; 4-byte Folded Reload
	s_mul_i32 s4, s0, 0xb0
	s_mul_hi_u32 s5, s0, 0xb0
	s_add_u32 s4, s14, s4
	s_addc_u32 s5, s15, s5
	v_pk_mov_b32 v[0:1], s[4:5], s[4:5] op_sel:[0,1]
	v_mad_u64_u32 v[2:3], s[4:5], v48, s9, v[0:1]
	v_mad_u64_u32 v[8:9], s[4:5], v56, s9, v[2:3]
	s_lshl_b32 s17, s0, 3
	v_add_u32_e32 v125, s17, v94
	s_mov_b32 s19, 0
	s_waitcnt vmcnt(0)
	v_mad_u64_u32 v[4:5], s[4:5], v4, s9, v[2:3]
	v_add_co_u32_e32 v6, vcc, v4, v50
	v_addc_co_u32_e32 v7, vcc, 0, v5, vcc
	v_add_co_u32_e32 v4, vcc, v4, v52
	v_addc_co_u32_e32 v5, vcc, 0, v5, vcc
	;; [unrolled: 2-line block ×3, first 2 shown]
	global_load_dword v12, v[6:7], off offset:48
	global_load_dword v13, v[4:5], off offset:16
	;; [unrolled: 1-line block ×3, first 2 shown]
	v_add_co_u32_e32 v4, vcc, v8, v52
	v_addc_co_u32_e32 v5, vcc, 0, v9, vcc
	global_load_dword v15, v[4:5], off offset:16
	v_mad_u64_u32 v[4:5], s[4:5], v58, s9, v[2:3]
	v_add_co_u32_e32 v10, vcc, v4, v50
	v_addc_co_u32_e32 v11, vcc, 0, v5, vcc
	v_add_co_u32_e32 v4, vcc, v4, v52
	v_mad_u64_u32 v[6:7], s[4:5], v60, s9, v[2:3]
	v_addc_co_u32_e32 v5, vcc, 0, v5, vcc
	global_load_dword v51, v[10:11], off offset:48
	global_load_dword v53, v[4:5], off offset:16
	v_add_co_u32_e32 v4, vcc, v6, v50
	v_addc_co_u32_e32 v5, vcc, 0, v7, vcc
	global_load_dword v84, v[4:5], off offset:48
	v_add_co_u32_e32 v4, vcc, v6, v52
	v_addc_co_u32_e32 v5, vcc, 0, v7, vcc
	global_load_dword v85, v[4:5], off offset:16
	v_mad_u64_u32 v[8:9], s[4:5], v62, s9, v[2:3]
	v_add_co_u32_e32 v6, vcc, v8, v50
	v_addc_co_u32_e32 v7, vcc, 0, v9, vcc
	v_add_co_u32_e32 v8, vcc, v8, v52
	v_mad_u64_u32 v[4:5], s[4:5], v64, s9, v[2:3]
	v_addc_co_u32_e32 v9, vcc, 0, v9, vcc
	v_add_co_u32_e32 v10, vcc, v4, v50
	global_load_dword v86, v[6:7], off offset:48
	s_nop 0
	global_load_dword v8, v[8:9], off offset:16
	v_addc_co_u32_e32 v11, vcc, 0, v5, vcc
	v_add_co_u32_e32 v4, vcc, v4, v52
	v_addc_co_u32_e32 v5, vcc, 0, v5, vcc
	s_waitcnt vmcnt(9)
	v_and_b32_e32 v6, 0xf0f0f0f, v12
	v_lshrrev_b32_e32 v7, 4, v12
	s_waitcnt vmcnt(8)
	v_ashrrev_i32_e32 v9, v57, v13
	v_ashrrev_i32_e32 v12, v59, v13
	v_and_b32_e32 v7, 0xf0f0f0f, v7
	v_lshlrev_b32_e32 v9, 4, v9
	v_lshlrev_b32_e32 v12, 4, v12
	v_and_or_b32 v6, v9, s1, v6
	v_and_or_b32 v7, v12, s1, v7
	ds_write2_b32 v61, v6, v7 offset1:8
	global_load_dword v10, v[10:11], off offset:48
	s_nop 0
	global_load_dword v11, v[4:5], off offset:16
	v_mad_u64_u32 v[4:5], s[4:5], v66, s9, v[2:3]
	v_add_co_u32_e32 v6, vcc, v4, v50
	v_addc_co_u32_e32 v7, vcc, 0, v5, vcc
	s_waitcnt vmcnt(8)
	v_ashrrev_i32_e32 v87, v57, v15
	v_add_co_u32_e32 v4, vcc, v4, v52
	v_and_b32_e32 v13, 0xf0f0f0f, v14
	v_lshlrev_b32_e32 v87, 4, v87
	v_addc_co_u32_e32 v5, vcc, 0, v5, vcc
	v_and_or_b32 v9, v87, s1, v13
	global_load_dword v12, v[6:7], off offset:48
	global_load_dword v13, v[4:5], off offset:16
	v_mad_u64_u32 v[4:5], s[4:5], v68, s9, v[2:3]
	v_add_co_u32_e32 v6, vcc, v4, v50
	v_addc_co_u32_e32 v7, vcc, 0, v5, vcc
	v_lshrrev_b32_e32 v14, 4, v14
	v_ashrrev_i32_e32 v15, v59, v15
	v_add_co_u32_e32 v4, vcc, v4, v52
	v_and_b32_e32 v14, 0xf0f0f0f, v14
	v_lshlrev_b32_e32 v15, 4, v15
	v_addc_co_u32_e32 v5, vcc, 0, v5, vcc
	global_load_dword v87, v[6:7], off offset:48
	global_load_dword v96, v[4:5], off offset:16
	v_and_or_b32 v4, v15, s1, v14
	v_add_u32_e32 v5, 0x820, v61
	ds_write2_b32 v5, v9, v4 offset1:8
	s_waitcnt vmcnt(11)
	v_lshrrev_b32_e32 v5, 4, v51
	s_waitcnt vmcnt(10)
	v_ashrrev_i32_e32 v6, v57, v53
	v_ashrrev_i32_e32 v7, v59, v53
	v_and_b32_e32 v4, 0xf0f0f0f, v51
	v_and_b32_e32 v5, 0xf0f0f0f, v5
	v_lshlrev_b32_e32 v6, 4, v6
	v_lshlrev_b32_e32 v7, 4, v7
	v_and_or_b32 v4, v6, s1, v4
	v_and_or_b32 v5, v7, s1, v5
	v_add_u32_e32 v6, 0x1040, v61
	ds_write2_b32 v6, v4, v5 offset1:8
	s_waitcnt vmcnt(9)
	v_lshrrev_b32_e32 v5, 4, v84
	v_and_b32_e32 v9, 0xf0f0f0f, v5
	s_waitcnt vmcnt(8)
	v_ashrrev_i32_e32 v5, v57, v85
	v_and_b32_e32 v4, 0xf0f0f0f, v84
	v_lshlrev_b32_e32 v5, 4, v5
	v_ashrrev_i32_e32 v6, v59, v85
	v_and_or_b32 v15, v5, s1, v4
	v_mad_u64_u32 v[4:5], s[4:5], v70, s9, v[2:3]
	v_lshlrev_b32_e32 v14, 4, v6
	v_add_co_u32_e32 v6, vcc, v4, v50
	v_addc_co_u32_e32 v7, vcc, 0, v5, vcc
	v_add_co_u32_e32 v4, vcc, v4, v52
	v_addc_co_u32_e32 v5, vcc, 0, v5, vcc
	global_load_dword v51, v[6:7], off offset:48
	global_load_dword v53, v[4:5], off offset:16
	v_mad_u64_u32 v[4:5], s[4:5], v72, s9, v[2:3]
	v_add_co_u32_e32 v6, vcc, v4, v50
	v_addc_co_u32_e32 v7, vcc, 0, v5, vcc
	v_add_co_u32_e32 v4, vcc, v4, v52
	v_addc_co_u32_e32 v5, vcc, 0, v5, vcc
	global_load_dword v84, v[6:7], off offset:48
	global_load_dword v85, v[4:5], off offset:16
	v_and_or_b32 v4, v14, s1, v9
	v_add_u32_e32 v5, 0x1860, v61
	ds_write2_b32 v5, v15, v4 offset1:8
	s_waitcnt vmcnt(11)
	v_lshrrev_b32_e32 v5, 4, v86
	s_waitcnt vmcnt(10)
	v_ashrrev_i32_e32 v6, v57, v8
	v_ashrrev_i32_e32 v7, v59, v8
	v_and_b32_e32 v4, 0xf0f0f0f, v86
	v_and_b32_e32 v5, 0xf0f0f0f, v5
	v_lshlrev_b32_e32 v6, 4, v6
	v_lshlrev_b32_e32 v7, 4, v7
	v_and_or_b32 v4, v6, s1, v4
	v_and_or_b32 v5, v7, s1, v5
	v_add_u32_e32 v6, 0x2080, v61
	ds_write2_b32 v6, v4, v5 offset1:8
	s_waitcnt vmcnt(9)
	v_lshrrev_b32_e32 v5, 4, v10
	s_waitcnt vmcnt(8)
	v_ashrrev_i32_e32 v6, v57, v11
	v_ashrrev_i32_e32 v7, v59, v11
	v_and_b32_e32 v4, 0xf0f0f0f, v10
	v_and_b32_e32 v5, 0xf0f0f0f, v5
	v_lshlrev_b32_e32 v6, 4, v6
	v_lshlrev_b32_e32 v7, 4, v7
	v_and_or_b32 v4, v6, s1, v4
	v_and_or_b32 v5, v7, s1, v5
	v_add_u32_e32 v6, 0x28a0, v61
	ds_write2_b32 v6, v4, v5 offset1:8
	s_waitcnt vmcnt(7)
	v_lshrrev_b32_e32 v5, 4, v12
	s_waitcnt vmcnt(6)
	v_ashrrev_i32_e32 v6, v57, v13
	v_ashrrev_i32_e32 v7, v59, v13
	v_and_b32_e32 v4, 0xf0f0f0f, v12
	v_and_b32_e32 v5, 0xf0f0f0f, v5
	v_lshlrev_b32_e32 v6, 4, v6
	v_lshlrev_b32_e32 v7, 4, v7
	v_and_or_b32 v4, v6, s1, v4
	v_and_or_b32 v5, v7, s1, v5
	v_add_u32_e32 v6, 0x30c0, v61
	ds_write2_b32 v6, v4, v5 offset1:8
	s_waitcnt vmcnt(5)
	v_lshrrev_b32_e32 v5, 4, v87
	s_waitcnt vmcnt(4)
	v_ashrrev_i32_e32 v6, v57, v96
	v_ashrrev_i32_e32 v7, v59, v96
	v_and_b32_e32 v4, 0xf0f0f0f, v87
	v_and_b32_e32 v5, 0xf0f0f0f, v5
	v_lshlrev_b32_e32 v6, 4, v6
	v_lshlrev_b32_e32 v7, 4, v7
	v_and_or_b32 v4, v6, s1, v4
	v_and_or_b32 v5, v7, s1, v5
	ds_write2_b32 v75, v4, v5 offset1:8
	v_mad_u64_u32 v[4:5], s[4:5], v74, s9, v[2:3]
	v_add_co_u32_e32 v6, vcc, v4, v50
	v_addc_co_u32_e32 v7, vcc, 0, v5, vcc
	v_add_co_u32_e32 v4, vcc, v4, v52
	v_addc_co_u32_e32 v5, vcc, 0, v5, vcc
	v_mad_u64_u32 v[8:9], s[4:5], v76, s9, v[2:3]
	v_add_co_u32_e32 v10, vcc, v8, v50
	v_addc_co_u32_e32 v11, vcc, 0, v9, vcc
	v_add_co_u32_e32 v8, vcc, v8, v52
	v_addc_co_u32_e32 v9, vcc, 0, v9, vcc
	global_load_dword v86, v[6:7], off offset:48
	global_load_dword v87, v[4:5], off offset:16
	;; [unrolled: 1-line block ×4, first 2 shown]
	s_waitcnt vmcnt(7)
	v_lshrrev_b32_e32 v5, 4, v51
	s_waitcnt vmcnt(6)
	v_ashrrev_i32_e32 v6, v57, v53
	v_ashrrev_i32_e32 v7, v59, v53
	v_and_b32_e32 v4, 0xf0f0f0f, v51
	v_and_b32_e32 v5, 0xf0f0f0f, v5
	v_lshlrev_b32_e32 v6, 4, v6
	v_lshlrev_b32_e32 v7, 4, v7
	v_and_or_b32 v4, v6, s1, v4
	v_and_or_b32 v5, v7, s1, v5
	ds_write2_b32 v77, v4, v5 offset1:8
	v_mad_u64_u32 v[8:9], s[4:5], v80, s9, v[2:3]
	s_waitcnt vmcnt(5)
	v_lshrrev_b32_e32 v5, 4, v84
	s_waitcnt vmcnt(4)
	v_ashrrev_i32_e32 v6, v57, v85
	v_ashrrev_i32_e32 v7, v59, v85
	v_and_b32_e32 v4, 0xf0f0f0f, v84
	v_and_b32_e32 v5, 0xf0f0f0f, v5
	v_lshlrev_b32_e32 v6, 4, v6
	v_lshlrev_b32_e32 v7, 4, v7
	v_and_or_b32 v4, v6, s1, v4
	v_and_or_b32 v5, v7, s1, v5
	ds_write2_b32 v79, v4, v5 offset1:8
	buffer_load_dword v84, off, s[24:27], 0 offset:8 ; 4-byte Folded Reload
	buffer_load_dword v85, off, s[24:27], 0 offset:12 ; 4-byte Folded Reload
	v_mad_u64_u32 v[4:5], s[4:5], v78, s9, v[2:3]
	v_add_co_u32_e32 v6, vcc, v4, v50
	v_addc_co_u32_e32 v7, vcc, 0, v5, vcc
	v_add_co_u32_e32 v4, vcc, v4, v52
	v_addc_co_u32_e32 v5, vcc, 0, v5, vcc
	;; [unrolled: 2-line block ×4, first 2 shown]
	v_mad_u64_u32 v[12:13], s[4:5], v82, s9, v[2:3]
	v_add_co_u32_e32 v14, vcc, v12, v50
	v_addc_co_u32_e32 v15, vcc, 0, v13, vcc
	v_add_co_u32_e32 v12, vcc, v12, v52
	v_addc_co_u32_e32 v13, vcc, 0, v13, vcc
	s_waitcnt vmcnt(1)
	v_mad_u64_u32 v[2:3], s[4:5], v84, s9, v[2:3]
	v_add_co_u32_e32 v96, vcc, v2, v50
	v_addc_co_u32_e32 v97, vcc, 0, v3, vcc
	v_add_co_u32_e32 v2, vcc, v2, v52
	v_addc_co_u32_e32 v3, vcc, 0, v3, vcc
	global_load_dword v51, v[6:7], off offset:48
	global_load_dword v53, v[4:5], off offset:16
	;; [unrolled: 1-line block ×6, first 2 shown]
	s_nop 0
	global_load_dword v96, v[96:97], off offset:48
	s_nop 0
	global_load_dword v97, v[2:3], off offset:16
	s_nop 0
	buffer_load_dword v2, off, s[24:27], 0 offset:16 ; 4-byte Folded Reload
	buffer_load_dword v3, off, s[24:27], 0 offset:20 ; 4-byte Folded Reload
	v_mad_u64_u32 v[4:5], s[4:5], v88, s9, v[0:1]
	v_add_co_u32_e32 v6, vcc, 4, v4
	v_addc_co_u32_e32 v7, vcc, 0, v5, vcc
	v_add_co_u32_e32 v4, vcc, v6, v239
	v_addc_co_u32_e32 v5, vcc, 0, v7, vcc
	;; [unrolled: 2-line block ×3, first 2 shown]
	v_add_u32_e32 v14, s17, v204
	v_add_u32_e32 v10, v14, v219
	;; [unrolled: 1-line block ×3, first 2 shown]
	v_mad_i64_i32 v[10:11], s[4:5], v10, 36, v[92:93]
	v_mad_i64_i32 v[12:13], s[4:5], v12, 36, v[92:93]
	s_waitcnt vmcnt(0)
	v_mad_u64_u32 v[2:3], s[4:5], v2, s9, v[0:1]
	v_mad_u64_u32 v[0:1], s[4:5], v90, s9, v[0:1]
	v_add_co_u32_e32 v8, vcc, 4, v0
	v_addc_co_u32_e32 v9, vcc, 0, v1, vcc
	v_add_co_u32_e32 v0, vcc, v8, v239
	v_addc_co_u32_e32 v1, vcc, 0, v9, vcc
	;; [unrolled: 2-line block ×3, first 2 shown]
	global_load_dword v102, v[2:3], off
	global_load_dword v103, v[4:5], off
	global_load_dword v104, v[6:7], off
	global_load_dword v105, v[0:1], off
	global_load_dword v106, v[8:9], off
	v_add_u32_e32 v0, v14, v205
	v_add_u32_e32 v2, v14, v207
	;; [unrolled: 1-line block ×5, first 2 shown]
	v_mad_i64_i32 v[0:1], s[4:5], v0, 36, v[92:93]
	v_mad_i64_i32 v[2:3], s[4:5], v2, 36, v[92:93]
	;; [unrolled: 1-line block ×5, first 2 shown]
	v_add_u32_e32 v14, v14, v225
	v_mad_i64_i32 v[14:15], s[4:5], v14, 36, v[92:93]
	global_load_dword v107, v[0:1], off offset:4
	s_nop 0
	global_load_dword v2, v[2:3], off offset:4
	s_nop 0
	;; [unrolled: 2-line block ×3, first 2 shown]
	global_load_dword v4, v[6:7], off offset:4
	global_load_dword v5, v[8:9], off offset:4
	s_nop 0
	global_load_dword v6, v[10:11], off offset:4
	global_load_dword v7, v[12:13], off offset:4
	;; [unrolled: 1-line block ×3, first 2 shown]
	v_mad_u64_u32 v[0:1], s[4:5], v125, 36, s[2:3]
	global_load_dword v0, v[0:1], off
	v_lshrrev_b32_e32 v9, 4, v86
	v_ashrrev_i32_e32 v10, v57, v87
	v_ashrrev_i32_e32 v11, v59, v87
	v_and_b32_e32 v1, 0xf0f0f0f, v86
	v_and_b32_e32 v9, 0xf0f0f0f, v9
	v_lshlrev_b32_e32 v10, 4, v10
	v_lshlrev_b32_e32 v11, 4, v11
	v_and_or_b32 v1, v10, s1, v1
	v_and_or_b32 v9, v11, s1, v9
	ds_write2_b32 v81, v1, v9 offset1:8
	v_lshrrev_b32_e32 v9, 4, v98
	v_ashrrev_i32_e32 v10, v57, v99
	v_ashrrev_i32_e32 v11, v59, v99
	v_and_b32_e32 v1, 0xf0f0f0f, v98
	v_and_b32_e32 v9, 0xf0f0f0f, v9
	v_lshlrev_b32_e32 v10, 4, v10
	v_lshlrev_b32_e32 v11, 4, v11
	v_and_or_b32 v1, v10, s1, v1
	v_and_or_b32 v9, v11, s1, v9
	ds_write2_b32 v83, v1, v9 offset1:8
	;; [unrolled: 10-line block ×6, first 2 shown]
	s_waitcnt vmcnt(13)
	ds_write_b32 v115, v102
	s_waitcnt vmcnt(12)
	v_ashrrev_i32_e32 v1, v161, v103
	v_and_b32_e32 v1, 0xf0f0f0f, v1
	s_waitcnt vmcnt(11)
	v_ashrrev_i32_e32 v9, v185, v104
	v_and_or_b32 v1, v9, s16, v1
	ds_write_b32 v202, v1
	s_waitcnt vmcnt(10)
	v_ashrrev_i32_e32 v1, v161, v105
	v_and_b32_e32 v1, 0xf0f0f0f, v1
	s_waitcnt vmcnt(9)
	v_ashrrev_i32_e32 v9, v185, v106
	v_and_or_b32 v1, v9, s16, v1
	ds_write_b32 v203, v1
	s_waitcnt vmcnt(8)
	ds_write_b32 v206, v107
	s_waitcnt vmcnt(7)
	;; [unrolled: 2-line block ×9, first 2 shown]
	ds_write_b32 v95, v0
	s_waitcnt lgkmcnt(0)
	s_barrier
	ds_read_b32 v0, v228
	ds_read_b32 v1, v230 offset:128
	ds_read_b32 v2, v232 offset:256
	;; [unrolled: 1-line block ×3, first 2 shown]
	s_mov_b64 s[4:5], -1
	s_waitcnt lgkmcnt(3)
	v_cvt_f32_f16_e32 v96, v0
	v_cvt_f32_f16_sdwa v98, v0 dst_sel:DWORD dst_unused:UNUSED_PAD src0_sel:WORD_1
	s_waitcnt lgkmcnt(2)
	v_cvt_f32_f16_e32 v100, v1
	v_cvt_f32_f16_sdwa v102, v1 dst_sel:DWORD dst_unused:UNUSED_PAD src0_sel:WORD_1
	;; [unrolled: 3-line block ×4, first 2 shown]
	v_mov_b32_e32 v97, v96
	v_mov_b32_e32 v99, v98
	;; [unrolled: 1-line block ×8, first 2 shown]
.LBB133_6:                              ;   Parent Loop BB133_5 Depth=1
                                        ; =>  This Inner Loop Header: Depth=2
	s_lshl_b32 s18, s19, 1
	s_lshr_b32 s20, s19, 2
	v_or_b32_e32 v0, s18, v113
	s_add_i32 s20, s20, 0xa200
	v_lshlrev_b32_e32 v1, 2, v0
	v_lshrrev_b32_e32 v51, 1, v0
	v_lshlrev_b32_e32 v244, 2, v204
	v_lshlrev_b32_e32 v245, 2, v55
	s_lshl_b32 s19, s19, 3
	ds_read_b128 v[12:15], v1 offset:33280
	ds_read_b128 v[8:11], v1 offset:33296
	;; [unrolled: 1-line block ×4, first 2 shown]
	ds_read_b64 v[192:193], v51 offset:43584
	v_add3_u32 v51, s20, v244, v245
	v_add_u32_e32 v84, s19, v235
	ds_read2_b32 v[162:163], v84 offset1:1
	ds_read2_b32 v[170:171], v84 offset0:2 offset1:3
	ds_read2_b32 v[174:175], v84 offset0:4 offset1:5
	ds_read2_b32 v[178:179], v84 offset0:6 offset1:7
	ds_read_u16 v85, v51
	ds_read_u8 v86, v51 offset:8
	ds_read_u8 v51, v51 offset:9
	v_lshlrev_b32_e32 v246, 2, v229
	ds_read2_b32 v[158:159], v84 offset0:8 offset1:9
	ds_read2_b32 v[186:187], v84 offset0:10 offset1:11
	;; [unrolled: 1-line block ×4, first 2 shown]
	s_waitcnt lgkmcnt(4)
	v_cvt_f32_ubyte0_e32 v184, v51
	v_add3_u32 v51, s20, v246, v241
	v_add_u32_e32 v84, s19, v236
	v_and_b32_e32 v250, 0xff, v85
	v_lshrrev_b16_e32 v253, 8, v85
	ds_read2_b32 v[132:133], v84 offset1:1
	ds_read2_b32 v[140:141], v84 offset0:2 offset1:3
	ds_read2_b32 v[142:143], v84 offset0:4 offset1:5
	;; [unrolled: 1-line block ×3, first 2 shown]
	ds_read_u16 v85, v51
	ds_read_u8 v87, v51 offset:8
	ds_read_u8 v51, v51 offset:9
	v_lshlrev_b32_e32 v247, 2, v231
	ds_read2_b32 v[128:129], v84 offset0:8 offset1:9
	ds_read2_b32 v[166:167], v84 offset0:10 offset1:11
	;; [unrolled: 1-line block ×4, first 2 shown]
	s_waitcnt lgkmcnt(4)
	v_cvt_f32_ubyte0_e32 v160, v51
	v_add3_u32 v51, s20, v247, v242
	v_add_u32_e32 v84, s19, v237
	v_and_b32_e32 v165, 0xff, v85
	v_cvt_f32_ubyte0_e32 v124, v87
	v_lshrrev_b16_e32 v251, 8, v85
	ds_read2_b32 v[136:137], v84 offset1:1
	ds_read2_b32 v[146:147], v84 offset0:2 offset1:3
	ds_read2_b32 v[148:149], v84 offset0:4 offset1:5
	;; [unrolled: 1-line block ×3, first 2 shown]
	ds_read_u16 v85, v51
	ds_read_u8 v87, v51 offset:8
	ds_read_u8 v51, v51 offset:9
	v_mov_b32_e32 v53, 0
	v_mov_b32_e32 v254, 0
	s_waitcnt lgkmcnt(2)
	v_and_b32_e32 v249, 0xff, v85
	v_lshrrev_b16_e32 v252, 8, v85
	v_add_u32_e32 v85, s19, v238
	ds_read2_b32 v[138:139], v85 offset1:1
	ds_read2_b32 v[152:153], v85 offset0:2 offset1:3
	ds_read2_b32 v[154:155], v85 offset0:4 offset1:5
	;; [unrolled: 1-line block ×3, first 2 shown]
	v_mov_b32_e32 v255, 0
	s_waitcnt lgkmcnt(4)
	v_cvt_f32_ubyte0_e32 v164, v51
	v_mov_b32_e32 v51, 0
	v_dot4c_i32_i8_e32 v53, v162, v12
	v_dot4c_i32_i8_e32 v254, v132, v12
	;; [unrolled: 1-line block ×3, first 2 shown]
	s_waitcnt lgkmcnt(3)
	v_dot4c_i32_i8_e32 v51, v138, v12
	v_dot4c_i32_i8_e32 v53, v163, v13
	;; [unrolled: 1-line block ×8, first 2 shown]
	s_waitcnt lgkmcnt(2)
	v_dot4c_i32_i8_e32 v51, v152, v14
	v_dot4c_i32_i8_e32 v53, v171, v15
	;; [unrolled: 1-line block ×8, first 2 shown]
	v_lshlrev_b32_e32 v248, 2, v233
	s_waitcnt lgkmcnt(1)
	v_dot4c_i32_i8_e32 v51, v154, v8
	v_dot4c_i32_i8_e32 v53, v175, v9
	;; [unrolled: 1-line block ×4, first 2 shown]
	ds_read2_b32 v[130:131], v84 offset0:8 offset1:9
	ds_read2_b32 v[176:177], v84 offset0:10 offset1:11
	;; [unrolled: 1-line block ×4, first 2 shown]
	v_add3_u32 v84, s20, v248, v243
	v_dot4c_i32_i8_e32 v51, v155, v9
	v_dot4c_i32_i8_e32 v53, v178, v10
	;; [unrolled: 1-line block ×4, first 2 shown]
	s_waitcnt lgkmcnt(4)
	v_dot4c_i32_i8_e32 v51, v156, v10
	ds_read_u16 v8, v84
	ds_read_u8 v9, v84 offset:8
	ds_read_u8 v10, v84 offset:9
	ds_read2_b32 v[122:123], v85 offset0:8 offset1:9
	ds_read2_b32 v[116:117], v85 offset0:10 offset1:11
	;; [unrolled: 1-line block ×4, first 2 shown]
	v_cvt_f32_ubyte0_e32 v134, v86
	v_mov_b32_e32 v86, 0
	v_mov_b32_e32 v65, 0
	;; [unrolled: 1-line block ×4, first 2 shown]
	v_dot4c_i32_i8_e32 v86, v158, v4
	v_dot4c_i32_i8_e32 v65, v128, v4
	s_waitcnt lgkmcnt(10)
	v_dot4c_i32_i8_e32 v67, v130, v4
	s_waitcnt lgkmcnt(3)
	v_dot4c_i32_i8_e32 v69, v122, v4
	v_dot4c_i32_i8_e32 v86, v159, v5
	;; [unrolled: 1-line block ×8, first 2 shown]
	s_waitcnt lgkmcnt(2)
	v_dot4c_i32_i8_e32 v69, v116, v6
	v_dot4c_i32_i8_e32 v86, v187, v7
	;; [unrolled: 1-line block ×8, first 2 shown]
	s_waitcnt lgkmcnt(1)
	v_dot4c_i32_i8_e32 v69, v118, v0
	v_dot4c_i32_i8_e32 v86, v189, v1
	;; [unrolled: 1-line block ×5, first 2 shown]
	v_or_b32_e32 v0, s18, v208
	v_dot4c_i32_i8_e32 v86, v190, v2
	v_dot4c_i32_i8_e32 v65, v172, v2
	;; [unrolled: 1-line block ×3, first 2 shown]
	s_waitcnt lgkmcnt(0)
	v_dot4c_i32_i8_e32 v69, v120, v2
	v_lshlrev_b32_e32 v1, 2, v0
	v_dot4c_i32_i8_e32 v53, v179, v11
	v_dot4c_i32_i8_e32 v86, v191, v3
	;; [unrolled: 1-line block ×7, first 2 shown]
	v_and_b32_e32 v135, 0xff, v8
	v_cvt_f32_ubyte0_e32 v114, v9
	v_dot4c_i32_i8_e32 v69, v121, v3
	v_lshrrev_b16_e32 v127, 8, v8
	v_cvt_f32_ubyte0_e32 v112, v10
	v_lshrrev_b32_e32 v84, 1, v0
	ds_read_b128 v[12:15], v1 offset:33280
	ds_read_b128 v[8:11], v1 offset:33296
	;; [unrolled: 1-line block ×4, first 2 shown]
	ds_read_b64 v[196:197], v84 offset:43584
	v_mov_b32_e32 v84, 0
	v_cvt_f32_ubyte0_e32 v126, v87
	s_waitcnt lgkmcnt(4)
	v_dot4c_i32_i8_e32 v84, v162, v12
	v_mov_b32_e32 v87, 0
	v_dot4c_i32_i8_e32 v84, v163, v13
	s_waitcnt lgkmcnt(2)
	v_dot4c_i32_i8_e32 v87, v158, v4
	v_dot4c_i32_i8_e32 v84, v170, v14
	;; [unrolled: 1-line block ×8, first 2 shown]
	s_waitcnt lgkmcnt(1)
	v_dot4c_i32_i8_e32 v87, v188, v0
	v_dot4c_i32_i8_e32 v84, v178, v10
	;; [unrolled: 1-line block ×6, first 2 shown]
	v_mul_lo_u32 v53, v53, v250
	v_mul_lo_u32 v84, v84, v250
	s_waitcnt lgkmcnt(0)
	v_cvt_f32_f16_e32 v199, v196
	v_cvt_f32_f16_e32 v198, v192
	v_cvt_f32_f16_sdwa v201, v196 dst_sel:DWORD dst_unused:UNUSED_PAD src0_sel:WORD_1
	v_cvt_f32_f16_sdwa v200, v192 dst_sel:DWORD dst_unused:UNUSED_PAD src0_sel:WORD_1
	v_cvt_f32_f16_e32 v194, v193
	v_cvt_f32_f16_sdwa v196, v193 dst_sel:DWORD dst_unused:UNUSED_PAD src0_sel:WORD_1
	v_cvt_f32_i32_e32 v193, v84
	v_cvt_f32_i32_e32 v192, v53
	v_mul_lo_u32 v53, v86, v253
	v_mul_lo_u32 v86, v87, v253
	v_cvt_f32_f16_e32 v195, v197
	v_cvt_f32_i32_e32 v87, v86
	v_cvt_f32_i32_e32 v86, v53
	v_mov_b32_e32 v53, 0
	v_pk_fma_f32 v[192:193], v[198:199], v[192:193], 0 op_sel_hi:[1,1,0]
	v_dot4c_i32_i8_e32 v53, v132, v12
	v_pk_fma_f32 v[86:87], v[194:195], v[86:87], v[192:193]
	v_dot4c_i32_i8_e32 v53, v133, v13
	v_mov_b32_e32 v192, 0
	v_cvt_f32_f16_sdwa v197, v197 dst_sel:DWORD dst_unused:UNUSED_PAD src0_sel:WORD_1
	v_dot4c_i32_i8_e32 v53, v140, v14
	v_dot4c_i32_i8_e32 v192, v128, v4
	;; [unrolled: 1-line block ×6, first 2 shown]
	v_pk_fma_f32 v[84:85], v[134:135], v[200:201], 0 op_sel_hi:[0,1,0]
	v_dot4c_i32_i8_e32 v53, v143, v9
	v_dot4c_i32_i8_e32 v192, v167, v7
	v_pk_fma_f32 v[84:85], v[184:185], v[196:197], v[84:85] op_sel_hi:[0,1,1]
	v_dot4c_i32_i8_e32 v53, v144, v10
	v_dot4c_i32_i8_e32 v192, v168, v0
	v_pk_mul_f32 v[84:85], v[84:85], v[98:99]
	v_dot4c_i32_i8_e32 v53, v145, v11
	v_dot4c_i32_i8_e32 v192, v169, v1
	v_pk_fma_f32 v[84:85], v[86:87], v[96:97], v[84:85] neg_lo:[0,0,1] neg_hi:[0,0,1]
	v_dot4c_i32_i8_e32 v192, v172, v2
	v_mul_lo_u32 v53, v53, v165
	v_pk_add_f32 v[46:47], v[46:47], v[84:85]
	v_dot4c_i32_i8_e32 v192, v173, v3
	v_cvt_f32_i32_e32 v85, v53
	v_mul_lo_u32 v53, v65, v251
	v_mul_lo_u32 v84, v254, v165
	v_mul_lo_u32 v65, v192, v251
	v_cvt_f32_i32_e32 v192, v53
	v_mov_b32_e32 v53, 0
	v_dot4c_i32_i8_e32 v53, v136, v12
	v_dot4c_i32_i8_e32 v53, v137, v13
	v_cvt_f32_i32_e32 v84, v84
	v_dot4c_i32_i8_e32 v53, v146, v14
	v_cvt_f32_i32_e32 v193, v65
	v_dot4c_i32_i8_e32 v53, v147, v15
	v_dot4c_i32_i8_e32 v53, v148, v8
	v_pk_fma_f32 v[86:87], v[124:125], v[200:201], 0 op_sel_hi:[0,1,0]
	v_dot4c_i32_i8_e32 v53, v149, v9
	v_pk_fma_f32 v[84:85], v[198:199], v[84:85], 0 op_sel_hi:[1,1,0]
	v_pk_fma_f32 v[86:87], v[160:161], v[196:197], v[86:87] op_sel_hi:[0,1,1]
	v_dot4c_i32_i8_e32 v53, v150, v10
	v_pk_fma_f32 v[84:85], v[194:195], v[192:193], v[84:85]
	v_pk_mul_f32 v[86:87], v[86:87], v[102:103]
	v_dot4c_i32_i8_e32 v53, v151, v11
	v_pk_fma_f32 v[84:85], v[84:85], v[100:101], v[86:87] neg_lo:[0,0,1] neg_hi:[0,0,1]
	v_pk_add_f32 v[44:45], v[44:45], v[84:85]
	v_mov_b32_e32 v65, 0
	v_mul_lo_u32 v53, v53, v249
	v_cvt_f32_i32_e32 v85, v53
	v_mul_lo_u32 v53, v67, v252
	v_cvt_f32_i32_e32 v192, v53
	v_mov_b32_e32 v53, 0
	v_dot4c_i32_i8_e32 v53, v138, v12
	v_dot4c_i32_i8_e32 v53, v139, v13
	;; [unrolled: 1-line block ×5, first 2 shown]
	v_mov_b32_e32 v8, 0
	v_dot4c_i32_i8_e32 v8, v122, v4
	v_dot4c_i32_i8_e32 v8, v123, v5
	;; [unrolled: 1-line block ×17, first 2 shown]
	v_mul_lo_u32 v0, v51, v135
	v_mul_lo_u32 v1, v53, v135
	v_cvt_f32_i32_e32 v1, v1
	v_cvt_f32_i32_e32 v0, v0
	v_mul_lo_u32 v4, v69, v127
	v_mul_lo_u32 v5, v8, v127
	v_cvt_f32_i32_e32 v5, v5
	v_cvt_f32_i32_e32 v4, v4
	v_dot4c_i32_i8_e32 v65, v182, v2
	v_dot4c_i32_i8_e32 v65, v183, v3
	v_mul_lo_u32 v84, v255, v249
	v_pk_fma_f32 v[2:3], v[114:115], v[200:201], 0 op_sel_hi:[0,1,0]
	v_cvt_f32_i32_e32 v84, v84
	v_mul_lo_u32 v65, v65, v252
	v_pk_fma_f32 v[0:1], v[198:199], v[0:1], 0 op_sel_hi:[1,1,0]
	v_pk_fma_f32 v[2:3], v[112:113], v[196:197], v[2:3] op_sel_hi:[0,1,1]
	v_cvt_f32_i32_e32 v193, v65
	v_pk_fma_f32 v[0:1], v[194:195], v[4:5], v[0:1]
	v_pk_mul_f32 v[2:3], v[2:3], v[110:111]
	v_pk_fma_f32 v[0:1], v[0:1], v[108:109], v[2:3] neg_lo:[0,0,1] neg_hi:[0,0,1]
	v_pk_add_f32 v[40:41], v[40:41], v[0:1]
	v_or_b32_e32 v0, s18, v211
	v_pk_fma_f32 v[84:85], v[198:199], v[84:85], 0 op_sel_hi:[1,1,0]
	v_lshlrev_b32_e32 v1, 2, v0
	v_pk_fma_f32 v[84:85], v[194:195], v[192:193], v[84:85]
	v_lshrrev_b32_e32 v51, 1, v0
	ds_read_b128 v[12:15], v1 offset:33280
	ds_read_b128 v[8:11], v1 offset:33296
	;; [unrolled: 1-line block ×4, first 2 shown]
	ds_read_b64 v[192:193], v51 offset:43584
	v_mov_b32_e32 v51, 0
	v_mov_b32_e32 v53, 0
	;; [unrolled: 1-line block ×8, first 2 shown]
	s_waitcnt lgkmcnt(4)
	v_dot4c_i32_i8_e32 v51, v162, v12
	s_waitcnt lgkmcnt(2)
	v_dot4c_i32_i8_e32 v53, v158, v4
	v_dot4c_i32_i8_e32 v65, v132, v12
	;; [unrolled: 1-line block ×15, first 2 shown]
	v_pk_fma_f32 v[86:87], v[126:127], v[200:201], 0 op_sel_hi:[0,1,0]
	v_dot4c_i32_i8_e32 v51, v170, v14
	v_dot4c_i32_i8_e32 v53, v186, v6
	;; [unrolled: 1-line block ×8, first 2 shown]
	v_pk_fma_f32 v[86:87], v[164:165], v[196:197], v[86:87] op_sel_hi:[0,1,1]
	v_dot4c_i32_i8_e32 v51, v171, v15
	v_dot4c_i32_i8_e32 v53, v187, v7
	v_dot4c_i32_i8_e32 v65, v141, v15
	v_dot4c_i32_i8_e32 v67, v167, v7
	v_dot4c_i32_i8_e32 v69, v147, v15
	v_dot4c_i32_i8_e32 v254, v177, v7
	v_dot4c_i32_i8_e32 v255, v153, v15
	v_dot4c_i32_i8_e32 v71, v117, v7
	v_pk_mul_f32 v[86:87], v[86:87], v[106:107]
	v_dot4c_i32_i8_e32 v51, v174, v8
	s_waitcnt lgkmcnt(1)
	v_dot4c_i32_i8_e32 v53, v188, v0
	v_dot4c_i32_i8_e32 v65, v142, v8
	;; [unrolled: 1-line block ×7, first 2 shown]
	v_pk_fma_f32 v[84:85], v[84:85], v[104:105], v[86:87] neg_lo:[0,0,1] neg_hi:[0,0,1]
	v_dot4c_i32_i8_e32 v51, v175, v9
	v_dot4c_i32_i8_e32 v53, v189, v1
	;; [unrolled: 1-line block ×8, first 2 shown]
	v_or_b32_e32 v0, s18, v214
	v_pk_add_f32 v[42:43], v[42:43], v[84:85]
	v_dot4c_i32_i8_e32 v51, v178, v10
	v_dot4c_i32_i8_e32 v53, v190, v2
	;; [unrolled: 1-line block ×8, first 2 shown]
	v_lshlrev_b32_e32 v1, 2, v0
	v_lshrrev_b32_e32 v84, 1, v0
	v_dot4c_i32_i8_e32 v51, v179, v11
	v_dot4c_i32_i8_e32 v53, v191, v3
	;; [unrolled: 1-line block ×8, first 2 shown]
	ds_read_b128 v[12:15], v1 offset:33280
	ds_read_b128 v[8:11], v1 offset:33296
	;; [unrolled: 1-line block ×4, first 2 shown]
	ds_read_b64 v[84:85], v84 offset:43584
	v_mov_b32_e32 v86, 0
	s_waitcnt lgkmcnt(4)
	v_dot4c_i32_i8_e32 v86, v162, v12
	v_dot4c_i32_i8_e32 v86, v163, v13
	v_dot4c_i32_i8_e32 v86, v170, v14
	v_dot4c_i32_i8_e32 v86, v171, v15
	s_waitcnt lgkmcnt(3)
	v_dot4c_i32_i8_e32 v86, v174, v8
	v_mov_b32_e32 v73, 0
	v_dot4c_i32_i8_e32 v86, v175, v9
	s_waitcnt lgkmcnt(2)
	v_dot4c_i32_i8_e32 v73, v158, v4
	v_dot4c_i32_i8_e32 v86, v178, v10
	;; [unrolled: 1-line block ×6, first 2 shown]
	s_waitcnt lgkmcnt(0)
	v_cvt_f32_f16_e32 v199, v84
	v_cvt_f32_f16_sdwa v201, v84 dst_sel:DWORD dst_unused:UNUSED_PAD src0_sel:WORD_1
	v_mul_lo_u32 v51, v51, v250
	v_mul_lo_u32 v84, v86, v250
	v_dot4c_i32_i8_e32 v73, v188, v0
	v_cvt_f32_f16_e32 v195, v85
	v_cvt_f32_f16_sdwa v197, v85 dst_sel:DWORD dst_unused:UNUSED_PAD src0_sel:WORD_1
	v_cvt_f32_i32_e32 v85, v84
	v_cvt_f32_i32_e32 v84, v51
	v_mul_lo_u32 v51, v53, v253
	v_dot4c_i32_i8_e32 v73, v189, v1
	v_cvt_f32_f16_e32 v198, v192
	v_cvt_f32_f16_sdwa v200, v192 dst_sel:DWORD dst_unused:UNUSED_PAD src0_sel:WORD_1
	v_cvt_f32_i32_e32 v192, v51
	v_mov_b32_e32 v51, 0
	v_dot4c_i32_i8_e32 v73, v190, v2
	v_dot4c_i32_i8_e32 v51, v132, v12
	;; [unrolled: 1-line block ×4, first 2 shown]
	v_cvt_f32_f16_sdwa v196, v193 dst_sel:DWORD dst_unused:UNUSED_PAD src0_sel:WORD_1
	v_dot4c_i32_i8_e32 v51, v140, v14
	v_mul_lo_u32 v53, v73, v253
	v_cvt_f32_f16_e32 v194, v193
	v_cvt_f32_i32_e32 v193, v53
	v_dot4c_i32_i8_e32 v51, v141, v15
	v_dot4c_i32_i8_e32 v51, v142, v8
	v_mov_b32_e32 v53, 0
	v_pk_fma_f32 v[86:87], v[134:135], v[200:201], 0 op_sel_hi:[0,1,0]
	v_dot4c_i32_i8_e32 v51, v143, v9
	v_dot4c_i32_i8_e32 v53, v128, v4
	v_pk_fma_f32 v[84:85], v[84:85], v[198:199], 0 op_sel_hi:[1,1,0]
	v_pk_fma_f32 v[86:87], v[184:185], v[196:197], v[86:87] op_sel_hi:[0,1,1]
	v_dot4c_i32_i8_e32 v51, v144, v10
	v_dot4c_i32_i8_e32 v53, v129, v5
	v_pk_fma_f32 v[84:85], v[192:193], v[194:195], v[84:85]
	v_pk_mul_f32 v[86:87], v[86:87], v[98:99]
	v_dot4c_i32_i8_e32 v51, v145, v11
	v_dot4c_i32_i8_e32 v53, v166, v6
	v_pk_fma_f32 v[84:85], v[84:85], v[96:97], v[86:87] neg_lo:[0,0,1] neg_hi:[0,0,1]
	v_dot4c_i32_i8_e32 v53, v167, v7
	v_mul_lo_u32 v51, v51, v165
	v_pk_add_f32 v[38:39], v[38:39], v[84:85]
	v_dot4c_i32_i8_e32 v53, v168, v0
	v_cvt_f32_i32_e32 v85, v51
	v_mul_lo_u32 v51, v67, v251
	v_dot4c_i32_i8_e32 v53, v169, v1
	v_cvt_f32_i32_e32 v192, v51
	v_mov_b32_e32 v51, 0
	v_dot4c_i32_i8_e32 v53, v172, v2
	v_dot4c_i32_i8_e32 v51, v136, v12
	;; [unrolled: 1-line block ×3, first 2 shown]
	v_mul_lo_u32 v65, v65, v165
	v_dot4c_i32_i8_e32 v51, v137, v13
	v_cvt_f32_i32_e32 v84, v65
	v_mul_lo_u32 v53, v53, v251
	v_dot4c_i32_i8_e32 v51, v146, v14
	v_cvt_f32_i32_e32 v193, v53
	v_dot4c_i32_i8_e32 v51, v147, v15
	v_dot4c_i32_i8_e32 v51, v148, v8
	v_pk_fma_f32 v[86:87], v[124:125], v[200:201], 0 op_sel_hi:[0,1,0]
	v_dot4c_i32_i8_e32 v51, v149, v9
	v_pk_fma_f32 v[84:85], v[84:85], v[198:199], 0 op_sel_hi:[1,1,0]
	v_pk_fma_f32 v[86:87], v[160:161], v[196:197], v[86:87] op_sel_hi:[0,1,1]
	v_dot4c_i32_i8_e32 v51, v150, v10
	v_pk_fma_f32 v[84:85], v[192:193], v[194:195], v[84:85]
	v_pk_mul_f32 v[86:87], v[86:87], v[102:103]
	v_dot4c_i32_i8_e32 v51, v151, v11
	v_pk_fma_f32 v[84:85], v[84:85], v[100:101], v[86:87] neg_lo:[0,0,1] neg_hi:[0,0,1]
	v_pk_add_f32 v[36:37], v[36:37], v[84:85]
	v_mov_b32_e32 v53, 0
	v_mul_lo_u32 v51, v51, v249
	v_cvt_f32_i32_e32 v85, v51
	v_mul_lo_u32 v51, v254, v252
	v_cvt_f32_i32_e32 v192, v51
	v_mov_b32_e32 v51, 0
	v_dot4c_i32_i8_e32 v51, v138, v12
	v_dot4c_i32_i8_e32 v51, v139, v13
	;; [unrolled: 1-line block ×5, first 2 shown]
	v_mov_b32_e32 v8, 0
	v_dot4c_i32_i8_e32 v8, v122, v4
	v_dot4c_i32_i8_e32 v8, v123, v5
	;; [unrolled: 1-line block ×17, first 2 shown]
	v_mul_lo_u32 v0, v255, v135
	v_mul_lo_u32 v1, v51, v135
	v_cvt_f32_i32_e32 v1, v1
	v_cvt_f32_i32_e32 v0, v0
	v_mul_lo_u32 v4, v71, v127
	v_mul_lo_u32 v5, v8, v127
	v_cvt_f32_i32_e32 v5, v5
	v_cvt_f32_i32_e32 v4, v4
	v_dot4c_i32_i8_e32 v53, v182, v2
	v_dot4c_i32_i8_e32 v53, v183, v3
	v_mul_lo_u32 v65, v69, v249
	v_pk_fma_f32 v[2:3], v[114:115], v[200:201], 0 op_sel_hi:[0,1,0]
	v_cvt_f32_i32_e32 v84, v65
	v_mul_lo_u32 v53, v53, v252
	v_pk_fma_f32 v[0:1], v[0:1], v[198:199], 0 op_sel_hi:[1,1,0]
	v_pk_fma_f32 v[2:3], v[112:113], v[196:197], v[2:3] op_sel_hi:[0,1,1]
	v_cvt_f32_i32_e32 v193, v53
	v_pk_fma_f32 v[0:1], v[4:5], v[194:195], v[0:1]
	v_pk_mul_f32 v[2:3], v[2:3], v[110:111]
	v_pk_fma_f32 v[0:1], v[0:1], v[108:109], v[2:3] neg_lo:[0,0,1] neg_hi:[0,0,1]
	v_pk_add_f32 v[32:33], v[32:33], v[0:1]
	v_or_b32_e32 v0, s18, v217
	v_pk_fma_f32 v[84:85], v[84:85], v[198:199], 0 op_sel_hi:[1,1,0]
	v_lshlrev_b32_e32 v1, 2, v0
	v_pk_fma_f32 v[84:85], v[192:193], v[194:195], v[84:85]
	v_lshrrev_b32_e32 v51, 1, v0
	ds_read_b128 v[12:15], v1 offset:33280
	ds_read_b128 v[8:11], v1 offset:33296
	;; [unrolled: 1-line block ×4, first 2 shown]
	ds_read_b64 v[192:193], v51 offset:43584
	v_mov_b32_e32 v51, 0
	v_mov_b32_e32 v53, 0
	;; [unrolled: 1-line block ×8, first 2 shown]
	s_waitcnt lgkmcnt(4)
	v_dot4c_i32_i8_e32 v51, v162, v12
	s_waitcnt lgkmcnt(2)
	v_dot4c_i32_i8_e32 v53, v158, v4
	v_dot4c_i32_i8_e32 v65, v132, v12
	;; [unrolled: 1-line block ×15, first 2 shown]
	v_pk_fma_f32 v[86:87], v[126:127], v[200:201], 0 op_sel_hi:[0,1,0]
	v_dot4c_i32_i8_e32 v51, v170, v14
	v_dot4c_i32_i8_e32 v53, v186, v6
	;; [unrolled: 1-line block ×8, first 2 shown]
	v_pk_fma_f32 v[86:87], v[164:165], v[196:197], v[86:87] op_sel_hi:[0,1,1]
	v_dot4c_i32_i8_e32 v51, v171, v15
	v_dot4c_i32_i8_e32 v53, v187, v7
	;; [unrolled: 1-line block ×8, first 2 shown]
	v_pk_mul_f32 v[86:87], v[86:87], v[106:107]
	v_dot4c_i32_i8_e32 v51, v174, v8
	s_waitcnt lgkmcnt(1)
	v_dot4c_i32_i8_e32 v53, v188, v0
	v_dot4c_i32_i8_e32 v65, v142, v8
	;; [unrolled: 1-line block ×7, first 2 shown]
	v_pk_fma_f32 v[84:85], v[84:85], v[104:105], v[86:87] neg_lo:[0,0,1] neg_hi:[0,0,1]
	v_dot4c_i32_i8_e32 v51, v175, v9
	v_dot4c_i32_i8_e32 v53, v189, v1
	;; [unrolled: 1-line block ×8, first 2 shown]
	v_or_b32_e32 v0, s18, v220
	v_pk_add_f32 v[34:35], v[34:35], v[84:85]
	v_dot4c_i32_i8_e32 v51, v178, v10
	v_dot4c_i32_i8_e32 v53, v190, v2
	;; [unrolled: 1-line block ×8, first 2 shown]
	v_lshlrev_b32_e32 v1, 2, v0
	v_lshrrev_b32_e32 v84, 1, v0
	v_dot4c_i32_i8_e32 v51, v179, v11
	v_dot4c_i32_i8_e32 v53, v191, v3
	;; [unrolled: 1-line block ×8, first 2 shown]
	ds_read_b128 v[12:15], v1 offset:33280
	ds_read_b128 v[8:11], v1 offset:33296
	;; [unrolled: 1-line block ×4, first 2 shown]
	ds_read_b64 v[84:85], v84 offset:43584
	v_mov_b32_e32 v86, 0
	s_waitcnt lgkmcnt(4)
	v_dot4c_i32_i8_e32 v86, v162, v12
	v_dot4c_i32_i8_e32 v86, v163, v13
	;; [unrolled: 1-line block ×4, first 2 shown]
	s_waitcnt lgkmcnt(3)
	v_dot4c_i32_i8_e32 v86, v174, v8
	v_mov_b32_e32 v255, 0
	v_dot4c_i32_i8_e32 v86, v175, v9
	s_waitcnt lgkmcnt(2)
	v_dot4c_i32_i8_e32 v255, v158, v4
	v_dot4c_i32_i8_e32 v86, v178, v10
	;; [unrolled: 1-line block ×6, first 2 shown]
	s_waitcnt lgkmcnt(0)
	v_cvt_f32_f16_e32 v199, v84
	v_cvt_f32_f16_sdwa v201, v84 dst_sel:DWORD dst_unused:UNUSED_PAD src0_sel:WORD_1
	v_mul_lo_u32 v51, v51, v250
	v_mul_lo_u32 v84, v86, v250
	v_dot4c_i32_i8_e32 v255, v188, v0
	v_cvt_f32_f16_e32 v195, v85
	v_cvt_f32_f16_sdwa v197, v85 dst_sel:DWORD dst_unused:UNUSED_PAD src0_sel:WORD_1
	v_cvt_f32_i32_e32 v85, v84
	v_cvt_f32_i32_e32 v84, v51
	v_mul_lo_u32 v51, v53, v253
	v_dot4c_i32_i8_e32 v255, v189, v1
	v_cvt_f32_f16_e32 v198, v192
	v_cvt_f32_f16_sdwa v200, v192 dst_sel:DWORD dst_unused:UNUSED_PAD src0_sel:WORD_1
	v_cvt_f32_i32_e32 v192, v51
	v_mov_b32_e32 v51, 0
	v_dot4c_i32_i8_e32 v255, v190, v2
	v_dot4c_i32_i8_e32 v51, v132, v12
	;; [unrolled: 1-line block ×4, first 2 shown]
	v_cvt_f32_f16_sdwa v196, v193 dst_sel:DWORD dst_unused:UNUSED_PAD src0_sel:WORD_1
	v_dot4c_i32_i8_e32 v51, v140, v14
	v_mul_lo_u32 v53, v255, v253
	v_cvt_f32_f16_e32 v194, v193
	v_cvt_f32_i32_e32 v193, v53
	v_dot4c_i32_i8_e32 v51, v141, v15
	v_dot4c_i32_i8_e32 v51, v142, v8
	v_mov_b32_e32 v53, 0
	v_pk_fma_f32 v[86:87], v[134:135], v[200:201], 0 op_sel_hi:[0,1,0]
	v_dot4c_i32_i8_e32 v51, v143, v9
	v_dot4c_i32_i8_e32 v53, v128, v4
	v_pk_fma_f32 v[84:85], v[84:85], v[198:199], 0 op_sel_hi:[1,1,0]
	v_pk_fma_f32 v[86:87], v[184:185], v[196:197], v[86:87] op_sel_hi:[0,1,1]
	v_dot4c_i32_i8_e32 v51, v144, v10
	v_dot4c_i32_i8_e32 v53, v129, v5
	v_pk_fma_f32 v[84:85], v[192:193], v[194:195], v[84:85]
	v_pk_mul_f32 v[86:87], v[86:87], v[98:99]
	v_dot4c_i32_i8_e32 v51, v145, v11
	v_dot4c_i32_i8_e32 v53, v166, v6
	v_pk_fma_f32 v[84:85], v[84:85], v[96:97], v[86:87] neg_lo:[0,0,1] neg_hi:[0,0,1]
	v_dot4c_i32_i8_e32 v53, v167, v7
	v_mul_lo_u32 v51, v51, v165
	v_pk_add_f32 v[30:31], v[30:31], v[84:85]
	v_dot4c_i32_i8_e32 v53, v168, v0
	v_cvt_f32_i32_e32 v85, v51
	v_mul_lo_u32 v51, v67, v251
	v_dot4c_i32_i8_e32 v53, v169, v1
	v_cvt_f32_i32_e32 v192, v51
	v_mov_b32_e32 v51, 0
	v_dot4c_i32_i8_e32 v53, v172, v2
	v_dot4c_i32_i8_e32 v51, v136, v12
	v_dot4c_i32_i8_e32 v53, v173, v3
	v_mul_lo_u32 v65, v65, v165
	v_dot4c_i32_i8_e32 v51, v137, v13
	v_cvt_f32_i32_e32 v84, v65
	v_mul_lo_u32 v53, v53, v251
	v_dot4c_i32_i8_e32 v51, v146, v14
	v_cvt_f32_i32_e32 v193, v53
	v_dot4c_i32_i8_e32 v51, v147, v15
	v_dot4c_i32_i8_e32 v51, v148, v8
	v_pk_fma_f32 v[86:87], v[124:125], v[200:201], 0 op_sel_hi:[0,1,0]
	v_dot4c_i32_i8_e32 v51, v149, v9
	v_pk_fma_f32 v[84:85], v[84:85], v[198:199], 0 op_sel_hi:[1,1,0]
	v_pk_fma_f32 v[86:87], v[160:161], v[196:197], v[86:87] op_sel_hi:[0,1,1]
	v_dot4c_i32_i8_e32 v51, v150, v10
	v_pk_fma_f32 v[84:85], v[192:193], v[194:195], v[84:85]
	v_pk_mul_f32 v[86:87], v[86:87], v[102:103]
	v_dot4c_i32_i8_e32 v51, v151, v11
	v_pk_fma_f32 v[84:85], v[84:85], v[100:101], v[86:87] neg_lo:[0,0,1] neg_hi:[0,0,1]
	v_pk_add_f32 v[28:29], v[28:29], v[84:85]
	v_mov_b32_e32 v53, 0
	v_mul_lo_u32 v51, v51, v249
	v_cvt_f32_i32_e32 v85, v51
	v_mul_lo_u32 v51, v71, v252
	v_cvt_f32_i32_e32 v192, v51
	v_mov_b32_e32 v51, 0
	v_dot4c_i32_i8_e32 v51, v138, v12
	v_dot4c_i32_i8_e32 v51, v139, v13
	;; [unrolled: 1-line block ×5, first 2 shown]
	v_mov_b32_e32 v8, 0
	v_dot4c_i32_i8_e32 v8, v122, v4
	v_dot4c_i32_i8_e32 v8, v123, v5
	;; [unrolled: 1-line block ×17, first 2 shown]
	v_mul_lo_u32 v0, v73, v135
	v_mul_lo_u32 v1, v51, v135
	v_cvt_f32_i32_e32 v1, v1
	v_cvt_f32_i32_e32 v0, v0
	v_mul_lo_u32 v4, v254, v127
	v_mul_lo_u32 v5, v8, v127
	v_cvt_f32_i32_e32 v5, v5
	v_cvt_f32_i32_e32 v4, v4
	v_dot4c_i32_i8_e32 v53, v182, v2
	v_dot4c_i32_i8_e32 v53, v183, v3
	v_mul_lo_u32 v65, v69, v249
	v_pk_fma_f32 v[2:3], v[114:115], v[200:201], 0 op_sel_hi:[0,1,0]
	v_cvt_f32_i32_e32 v84, v65
	v_mul_lo_u32 v53, v53, v252
	v_pk_fma_f32 v[0:1], v[0:1], v[198:199], 0 op_sel_hi:[1,1,0]
	v_pk_fma_f32 v[2:3], v[112:113], v[196:197], v[2:3] op_sel_hi:[0,1,1]
	v_cvt_f32_i32_e32 v193, v53
	v_pk_fma_f32 v[0:1], v[4:5], v[194:195], v[0:1]
	v_pk_mul_f32 v[2:3], v[2:3], v[110:111]
	v_pk_fma_f32 v[0:1], v[0:1], v[108:109], v[2:3] neg_lo:[0,0,1] neg_hi:[0,0,1]
	v_pk_add_f32 v[24:25], v[24:25], v[0:1]
	v_or_b32_e32 v0, s18, v223
	v_pk_fma_f32 v[84:85], v[84:85], v[198:199], 0 op_sel_hi:[1,1,0]
	v_lshlrev_b32_e32 v1, 2, v0
	v_pk_fma_f32 v[84:85], v[192:193], v[194:195], v[84:85]
	v_lshrrev_b32_e32 v51, 1, v0
	ds_read_b128 v[12:15], v1 offset:33280
	ds_read_b128 v[8:11], v1 offset:33296
	;; [unrolled: 1-line block ×4, first 2 shown]
	ds_read_b64 v[192:193], v51 offset:43584
	v_mov_b32_e32 v51, 0
	v_mov_b32_e32 v53, 0
	;; [unrolled: 1-line block ×8, first 2 shown]
	s_waitcnt lgkmcnt(4)
	v_dot4c_i32_i8_e32 v51, v162, v12
	s_waitcnt lgkmcnt(2)
	v_dot4c_i32_i8_e32 v53, v158, v4
	v_dot4c_i32_i8_e32 v65, v132, v12
	;; [unrolled: 1-line block ×23, first 2 shown]
	v_pk_fma_f32 v[86:87], v[126:127], v[200:201], 0 op_sel_hi:[0,1,0]
	v_dot4c_i32_i8_e32 v51, v171, v15
	v_dot4c_i32_i8_e32 v53, v187, v7
	v_dot4c_i32_i8_e32 v65, v141, v15
	v_dot4c_i32_i8_e32 v67, v167, v7
	v_dot4c_i32_i8_e32 v69, v147, v15
	v_dot4c_i32_i8_e32 v71, v177, v7
	v_dot4c_i32_i8_e32 v195, v153, v15
	v_dot4c_i32_i8_e32 v194, v117, v7
	v_pk_fma_f32 v[86:87], v[164:165], v[196:197], v[86:87] op_sel_hi:[0,1,1]
	v_dot4c_i32_i8_e32 v51, v174, v8
	s_waitcnt lgkmcnt(1)
	v_dot4c_i32_i8_e32 v53, v188, v0
	v_dot4c_i32_i8_e32 v65, v142, v8
	;; [unrolled: 1-line block ×7, first 2 shown]
	v_pk_mul_f32 v[86:87], v[86:87], v[106:107]
	v_dot4c_i32_i8_e32 v51, v175, v9
	v_dot4c_i32_i8_e32 v53, v189, v1
	;; [unrolled: 1-line block ×8, first 2 shown]
	v_or_b32_e32 v0, s18, v226
	v_pk_fma_f32 v[84:85], v[84:85], v[104:105], v[86:87] neg_lo:[0,0,1] neg_hi:[0,0,1]
	v_dot4c_i32_i8_e32 v51, v178, v10
	v_dot4c_i32_i8_e32 v53, v190, v2
	;; [unrolled: 1-line block ×8, first 2 shown]
	v_lshlrev_b32_e32 v1, 2, v0
	v_lshrrev_b32_e32 v73, 1, v0
	v_pk_add_f32 v[26:27], v[26:27], v[84:85]
	v_dot4c_i32_i8_e32 v51, v179, v11
	v_dot4c_i32_i8_e32 v53, v191, v3
	;; [unrolled: 1-line block ×8, first 2 shown]
	ds_read_b128 v[12:15], v1 offset:33280
	ds_read_b128 v[8:11], v1 offset:33296
	;; [unrolled: 1-line block ×4, first 2 shown]
	ds_read_b64 v[84:85], v73 offset:43584
	v_mov_b32_e32 v73, 0
	s_waitcnt lgkmcnt(4)
	v_dot4c_i32_i8_e32 v73, v162, v12
	v_dot4c_i32_i8_e32 v73, v163, v13
	;; [unrolled: 1-line block ×4, first 2 shown]
	s_waitcnt lgkmcnt(3)
	v_dot4c_i32_i8_e32 v73, v174, v8
	v_dot4c_i32_i8_e32 v73, v175, v9
	v_dot4c_i32_i8_e32 v73, v178, v10
	v_mov_b32_e32 v178, 0
	s_waitcnt lgkmcnt(2)
	v_dot4c_i32_i8_e32 v178, v158, v4
	v_dot4c_i32_i8_e32 v178, v159, v5
	;; [unrolled: 1-line block ×4, first 2 shown]
	s_waitcnt lgkmcnt(1)
	v_dot4c_i32_i8_e32 v178, v188, v0
	v_dot4c_i32_i8_e32 v178, v189, v1
	;; [unrolled: 1-line block ×3, first 2 shown]
	v_mul_lo_u32 v51, v51, v250
	v_dot4c_i32_i8_e32 v178, v191, v3
	s_waitcnt lgkmcnt(0)
	v_cvt_f32_f16_e32 v175, v84
	v_cvt_f32_f16_sdwa v171, v84 dst_sel:DWORD dst_unused:UNUSED_PAD src0_sel:WORD_1
	v_cvt_f32_i32_e32 v84, v51
	v_mul_lo_u32 v51, v53, v253
	v_mul_lo_u32 v53, v178, v253
	v_cvt_f32_i32_e32 v178, v51
	v_mov_b32_e32 v51, 0
	v_dot4c_i32_i8_e32 v73, v179, v11
	v_dot4c_i32_i8_e32 v51, v132, v12
	v_cvt_f32_f16_sdwa v170, v192 dst_sel:DWORD dst_unused:UNUSED_PAD src0_sel:WORD_1
	v_dot4c_i32_i8_e32 v51, v133, v13
	v_mul_lo_u32 v73, v73, v250
	v_cvt_f32_f16_e32 v174, v192
	v_cvt_f32_f16_e32 v163, v85
	v_cvt_f32_f16_sdwa v159, v85 dst_sel:DWORD dst_unused:UNUSED_PAD src0_sel:WORD_1
	v_cvt_f32_f16_sdwa v158, v193 dst_sel:DWORD dst_unused:UNUSED_PAD src0_sel:WORD_1
	v_cvt_f32_i32_e32 v85, v73
	v_dot4c_i32_i8_e32 v51, v140, v14
	v_cvt_f32_f16_e32 v162, v193
	v_cvt_f32_i32_e32 v179, v53
	v_dot4c_i32_i8_e32 v51, v141, v15
	v_dot4c_i32_i8_e32 v51, v142, v8
	v_pk_fma_f32 v[86:87], v[134:135], v[170:171], 0 op_sel_hi:[0,1,0]
	v_dot4c_i32_i8_e32 v51, v143, v9
	v_mov_b32_e32 v53, 0
	v_pk_fma_f32 v[84:85], v[84:85], v[174:175], 0 op_sel_hi:[1,1,0]
	v_pk_fma_f32 v[86:87], v[184:185], v[158:159], v[86:87] op_sel_hi:[0,1,1]
	v_dot4c_i32_i8_e32 v51, v144, v10
	v_dot4c_i32_i8_e32 v53, v128, v4
	v_pk_fma_f32 v[84:85], v[178:179], v[162:163], v[84:85]
	v_pk_mul_f32 v[86:87], v[86:87], v[98:99]
	v_dot4c_i32_i8_e32 v51, v145, v11
	v_dot4c_i32_i8_e32 v53, v129, v5
	v_pk_fma_f32 v[84:85], v[84:85], v[96:97], v[86:87] neg_lo:[0,0,1] neg_hi:[0,0,1]
	v_dot4c_i32_i8_e32 v53, v166, v6
	v_mul_lo_u32 v51, v51, v165
	v_pk_add_f32 v[22:23], v[22:23], v[84:85]
	v_dot4c_i32_i8_e32 v53, v167, v7
	v_cvt_f32_i32_e32 v85, v51
	v_mul_lo_u32 v51, v67, v251
	v_dot4c_i32_i8_e32 v53, v168, v0
	v_pk_fma_f32 v[86:87], v[124:125], v[170:171], 0 op_sel_hi:[0,1,0]
	v_cvt_f32_i32_e32 v128, v51
	v_mov_b32_e32 v51, 0
	v_mov_b32_e32 v124, 0
	v_dot4c_i32_i8_e32 v53, v169, v1
	v_dot4c_i32_i8_e32 v51, v136, v12
	;; [unrolled: 1-line block ×10, first 2 shown]
	v_mul_lo_u32 v53, v53, v251
	v_dot4c_i32_i8_e32 v124, v153, v15
	v_cvt_f32_i32_e32 v129, v53
	v_dot4c_i32_i8_e32 v51, v148, v8
	v_mov_b32_e32 v53, 0
	v_dot4c_i32_i8_e32 v124, v154, v8
	v_mov_b32_e32 v8, 0
	v_mul_lo_u32 v65, v65, v165
	v_dot4c_i32_i8_e32 v53, v130, v4
	v_dot4c_i32_i8_e32 v8, v122, v4
	v_cvt_f32_i32_e32 v84, v65
	v_dot4c_i32_i8_e32 v53, v131, v5
	v_dot4c_i32_i8_e32 v8, v123, v5
	;; [unrolled: 1-line block ×10, first 2 shown]
	v_pk_fma_f32 v[84:85], v[84:85], v[174:175], 0 op_sel_hi:[1,1,0]
	v_pk_fma_f32 v[86:87], v[160:161], v[158:159], v[86:87] op_sel_hi:[0,1,1]
	v_dot4c_i32_i8_e32 v51, v150, v10
	v_dot4c_i32_i8_e32 v53, v181, v1
	;; [unrolled: 1-line block ×4, first 2 shown]
	v_pk_fma_f32 v[84:85], v[128:129], v[162:163], v[84:85]
	v_pk_mul_f32 v[86:87], v[86:87], v[102:103]
	v_dot4c_i32_i8_e32 v51, v151, v11
	v_dot4c_i32_i8_e32 v53, v182, v2
	;; [unrolled: 1-line block ×4, first 2 shown]
	v_pk_fma_f32 v[84:85], v[84:85], v[100:101], v[86:87] neg_lo:[0,0,1] neg_hi:[0,0,1]
	v_dot4c_i32_i8_e32 v53, v183, v3
	v_mul_lo_u32 v65, v69, v249
	v_mul_lo_u32 v51, v51, v249
	v_dot4c_i32_i8_e32 v8, v121, v3
	v_mul_lo_u32 v0, v195, v135
	v_mul_lo_u32 v1, v124, v135
	v_pk_add_f32 v[20:21], v[20:21], v[84:85]
	v_cvt_f32_i32_e32 v85, v51
	v_cvt_f32_i32_e32 v84, v65
	v_mul_lo_u32 v51, v71, v252
	v_mul_lo_u32 v53, v53, v252
	v_cvt_f32_i32_e32 v1, v1
	v_cvt_f32_i32_e32 v0, v0
	v_mul_lo_u32 v4, v194, v127
	v_mul_lo_u32 v5, v8, v127
	v_cvt_f32_i32_e32 v129, v53
	v_cvt_f32_i32_e32 v128, v51
	;; [unrolled: 1-line block ×4, first 2 shown]
	v_pk_fma_f32 v[86:87], v[126:127], v[170:171], 0 op_sel_hi:[0,1,0]
	v_pk_fma_f32 v[2:3], v[114:115], v[170:171], 0 op_sel_hi:[0,1,0]
	;; [unrolled: 1-line block ×6, first 2 shown]
	v_pk_fma_f32 v[84:85], v[128:129], v[162:163], v[84:85]
	v_pk_mul_f32 v[86:87], v[86:87], v[106:107]
	v_pk_fma_f32 v[0:1], v[4:5], v[162:163], v[0:1]
	v_pk_mul_f32 v[2:3], v[2:3], v[110:111]
	v_pk_fma_f32 v[84:85], v[84:85], v[104:105], v[86:87] neg_lo:[0,0,1] neg_hi:[0,0,1]
	v_pk_fma_f32 v[0:1], v[0:1], v[108:109], v[2:3] neg_lo:[0,0,1] neg_hi:[0,0,1]
	v_pk_add_f32 v[18:19], v[18:19], v[84:85]
	v_pk_add_f32 v[16:17], v[16:17], v[0:1]
	s_mov_b32 s19, 8
	s_and_b64 vcc, exec, s[4:5]
	s_mov_b64 s[4:5], 0
	s_cbranch_vccnz .LBB133_6
; %bb.7:                                ;   in Loop: Header=BB133_5 Depth=1
	v_add_u32_e32 v14, s17, v229
	v_add_u32_e32 v0, v14, v205
	;; [unrolled: 1-line block ×6, first 2 shown]
	v_mad_i64_i32 v[0:1], s[4:5], v0, 36, v[92:93]
	v_mad_i64_i32 v[2:3], s[4:5], v2, 36, v[92:93]
	v_mad_i64_i32 v[4:5], s[4:5], v4, 36, v[92:93]
	v_mad_i64_i32 v[6:7], s[4:5], v6, 36, v[92:93]
	v_mad_i64_i32 v[8:9], s[4:5], v8, 36, v[92:93]
	v_add_u32_e32 v10, v14, v219
	v_add_u32_e32 v12, v14, v222
	v_add_u32_e32 v14, v14, v225
	s_barrier
	v_mad_i64_i32 v[10:11], s[4:5], v10, 36, v[92:93]
	v_mad_i64_i32 v[12:13], s[4:5], v12, 36, v[92:93]
	;; [unrolled: 1-line block ×3, first 2 shown]
	global_load_dword v51, v[0:1], off offset:4
	s_nop 0
	global_load_dword v2, v[2:3], off offset:4
	s_nop 0
	;; [unrolled: 2-line block ×3, first 2 shown]
	global_load_dword v4, v[6:7], off offset:4
	global_load_dword v5, v[8:9], off offset:4
	s_nop 0
	global_load_dword v6, v[10:11], off offset:4
	global_load_dword v7, v[12:13], off offset:4
	global_load_dword v8, v[14:15], off offset:4
	v_add_u32_e32 v0, 4, v125
	v_mad_u64_u32 v[0:1], s[4:5], v0, 36, s[2:3]
	global_load_dword v0, v[0:1], off
	s_mov_b32 s4, 16
	s_waitcnt vmcnt(8)
	ds_write_b32 v206, v51
	s_waitcnt vmcnt(7)
	ds_write_b32 v209, v2
	;; [unrolled: 2-line block ×9, first 2 shown]
	s_waitcnt lgkmcnt(0)
	s_barrier
	ds_read_b32 v0, v228
	ds_read_b32 v1, v230 offset:128
	ds_read_b32 v2, v232 offset:256
	;; [unrolled: 1-line block ×3, first 2 shown]
	s_waitcnt lgkmcnt(2)
	v_cvt_f32_f16_e32 v100, v1
	v_cvt_f32_f16_e32 v96, v0
	v_cvt_f32_f16_sdwa v98, v0 dst_sel:DWORD dst_unused:UNUSED_PAD src0_sel:WORD_1
	v_cvt_f32_f16_sdwa v102, v1 dst_sel:DWORD dst_unused:UNUSED_PAD src0_sel:WORD_1
	s_waitcnt lgkmcnt(1)
	v_cvt_f32_f16_e32 v104, v2
	v_cvt_f32_f16_sdwa v106, v2 dst_sel:DWORD dst_unused:UNUSED_PAD src0_sel:WORD_1
	s_waitcnt lgkmcnt(0)
	v_cvt_f32_f16_e32 v108, v3
	v_cvt_f32_f16_sdwa v110, v3 dst_sel:DWORD dst_unused:UNUSED_PAD src0_sel:WORD_1
	v_mov_b32_e32 v97, v96
	v_mov_b32_e32 v99, v98
	;; [unrolled: 1-line block ×8, first 2 shown]
.LBB133_8:                              ;   Parent Loop BB133_5 Depth=1
                                        ; =>  This Inner Loop Header: Depth=2
	s_lshr_b32 s5, s4, 2
	s_and_b32 s17, s5, 0x3ffffffe
	s_lshl_b32 s5, s4, 1
	s_and_b32 s5, s5, 16
	v_or_b32_e32 v0, s5, v113
	v_lshlrev_b32_e32 v1, 2, v0
	v_lshrrev_b32_e32 v51, 1, v0
	s_add_i32 s17, s17, 0xa200
	s_lshl_b32 s18, s4, 3
	ds_read_b128 v[12:15], v1 offset:33280
	ds_read_b128 v[8:11], v1 offset:33296
	;; [unrolled: 1-line block ×4, first 2 shown]
	ds_read_b64 v[192:193], v51 offset:43584
	v_add3_u32 v51, s17, v244, v245
	v_add_u32_e32 v53, s18, v235
	ds_read2_b32 v[176:177], v53 offset1:1
	ds_read2_b32 v[178:179], v53 offset0:2 offset1:3
	ds_read2_b32 v[180:181], v53 offset0:4 offset1:5
	;; [unrolled: 1-line block ×3, first 2 shown]
	ds_read_u16 v67, v51
	ds_read_u16 v51, v51 offset:8
	ds_read2_b32 v[158:159], v53 offset0:8 offset1:9
	ds_read2_b32 v[186:187], v53 offset0:10 offset1:11
	;; [unrolled: 1-line block ×4, first 2 shown]
	s_waitcnt lgkmcnt(4)
	v_cvt_f32_ubyte0_e32 v138, v51
	v_cvt_f32_ubyte1_e32 v184, v51
	v_add3_u32 v51, s17, v246, v241
	v_add_u32_e32 v53, s18, v236
	v_and_b32_e32 v249, 0xff, v67
	v_lshrrev_b16_e32 v252, 8, v67
	ds_read2_b32 v[128:129], v53 offset1:1
	ds_read2_b32 v[146:147], v53 offset0:2 offset1:3
	ds_read2_b32 v[152:153], v53 offset0:4 offset1:5
	;; [unrolled: 1-line block ×3, first 2 shown]
	ds_read_u16 v67, v51
	ds_read_u16 v51, v51 offset:8
	ds_read2_b32 v[136:137], v53 offset0:8 offset1:9
	ds_read2_b32 v[166:167], v53 offset0:10 offset1:11
	;; [unrolled: 1-line block ×4, first 2 shown]
	s_waitcnt lgkmcnt(4)
	v_cvt_f32_ubyte0_e32 v132, v51
	v_cvt_f32_ubyte1_e32 v162, v51
	v_add3_u32 v51, s17, v247, v242
	v_add_u32_e32 v53, s18, v237
	v_and_b32_e32 v163, 0xff, v67
	v_lshrrev_b16_e32 v251, 8, v67
	ds_read2_b32 v[126:127], v53 offset1:1
	ds_read2_b32 v[142:143], v53 offset0:2 offset1:3
	ds_read2_b32 v[148:149], v53 offset0:4 offset1:5
	;; [unrolled: 1-line block ×3, first 2 shown]
	ds_read_u16 v67, v51
	ds_read_u16 v51, v51 offset:8
	v_mov_b32_e32 v65, 0
	v_mov_b32_e32 v254, 0
	;; [unrolled: 1-line block ×3, first 2 shown]
	s_waitcnt lgkmcnt(1)
	v_and_b32_e32 v139, 0xff, v67
	v_lshrrev_b16_e32 v250, 8, v67
	v_add_u32_e32 v67, s18, v238
	ds_read2_b32 v[124:125], v67 offset1:1
	ds_read2_b32 v[140:141], v67 offset0:2 offset1:3
	ds_read2_b32 v[144:145], v67 offset0:4 offset1:5
	;; [unrolled: 1-line block ×3, first 2 shown]
	s_waitcnt lgkmcnt(4)
	v_cvt_f32_ubyte0_e32 v130, v51
	v_cvt_f32_ubyte1_e32 v160, v51
	v_mov_b32_e32 v51, 0
	v_dot4c_i32_i8_e32 v65, v176, v12
	v_dot4c_i32_i8_e32 v254, v128, v12
	;; [unrolled: 1-line block ×3, first 2 shown]
	s_waitcnt lgkmcnt(3)
	v_dot4c_i32_i8_e32 v51, v124, v12
	v_dot4c_i32_i8_e32 v65, v177, v13
	;; [unrolled: 1-line block ×8, first 2 shown]
	s_waitcnt lgkmcnt(2)
	v_dot4c_i32_i8_e32 v51, v140, v14
	v_dot4c_i32_i8_e32 v65, v179, v15
	;; [unrolled: 1-line block ×8, first 2 shown]
	ds_read2_b32 v[134:135], v53 offset0:8 offset1:9
	ds_read2_b32 v[164:165], v53 offset0:10 offset1:11
	;; [unrolled: 1-line block ×4, first 2 shown]
	v_add3_u32 v53, s17, v248, v243
	s_waitcnt lgkmcnt(5)
	v_dot4c_i32_i8_e32 v51, v144, v8
	v_dot4c_i32_i8_e32 v65, v181, v9
	;; [unrolled: 1-line block ×5, first 2 shown]
	ds_read_u16 v8, v53
	ds_read_u16 v9, v53 offset:8
	ds_read2_b32 v[122:123], v67 offset0:8 offset1:9
	ds_read2_b32 v[116:117], v67 offset0:10 offset1:11
	;; [unrolled: 1-line block ×4, first 2 shown]
	v_mov_b32_e32 v69, 0
	v_mov_b32_e32 v71, 0
	;; [unrolled: 1-line block ×4, first 2 shown]
	v_dot4c_i32_i8_e32 v69, v158, v4
	v_dot4c_i32_i8_e32 v71, v136, v4
	s_waitcnt lgkmcnt(9)
	v_dot4c_i32_i8_e32 v73, v134, v4
	s_waitcnt lgkmcnt(3)
	v_dot4c_i32_i8_e32 v53, v122, v4
	v_dot4c_i32_i8_e32 v69, v159, v5
	;; [unrolled: 1-line block ×8, first 2 shown]
	s_waitcnt lgkmcnt(2)
	v_dot4c_i32_i8_e32 v53, v116, v6
	v_dot4c_i32_i8_e32 v69, v187, v7
	v_dot4c_i32_i8_e32 v71, v167, v7
	v_dot4c_i32_i8_e32 v73, v165, v7
	v_dot4c_i32_i8_e32 v53, v117, v7
	v_dot4c_i32_i8_e32 v69, v188, v0
	v_dot4c_i32_i8_e32 v71, v170, v0
	v_dot4c_i32_i8_e32 v73, v168, v0
	s_waitcnt lgkmcnt(1)
	v_dot4c_i32_i8_e32 v53, v118, v0
	v_dot4c_i32_i8_e32 v69, v189, v1
	;; [unrolled: 1-line block ×5, first 2 shown]
	v_or_b32_e32 v0, s5, v208
	v_dot4c_i32_i8_e32 v65, v182, v10
	v_dot4c_i32_i8_e32 v69, v190, v2
	;; [unrolled: 1-line block ×7, first 2 shown]
	s_waitcnt lgkmcnt(0)
	v_dot4c_i32_i8_e32 v53, v120, v2
	v_lshlrev_b32_e32 v1, 2, v0
	v_dot4c_i32_i8_e32 v65, v183, v11
	v_dot4c_i32_i8_e32 v69, v191, v3
	v_dot4c_i32_i8_e32 v254, v157, v11
	v_dot4c_i32_i8_e32 v71, v175, v3
	v_dot4c_i32_i8_e32 v253, v155, v11
	v_dot4c_i32_i8_e32 v73, v173, v3
	v_dot4c_i32_i8_e32 v51, v151, v11
	v_and_b32_e32 v133, 0xff, v8
	v_cvt_f32_ubyte0_e32 v114, v9
	v_dot4c_i32_i8_e32 v53, v121, v3
	v_lshrrev_b16_e32 v131, 8, v8
	v_cvt_f32_ubyte1_e32 v112, v9
	v_lshrrev_b32_e32 v67, 1, v0
	ds_read_b128 v[12:15], v1 offset:33280
	ds_read_b128 v[8:11], v1 offset:33296
	ds_read_b128 v[4:7], v1 offset:33312
	ds_read_b128 v[0:3], v1 offset:33328
	ds_read_b64 v[84:85], v67 offset:43584
	v_mov_b32_e32 v67, 0
	s_waitcnt lgkmcnt(4)
	v_dot4c_i32_i8_e32 v67, v176, v12
	v_mov_b32_e32 v255, 0
	v_dot4c_i32_i8_e32 v67, v177, v13
	s_waitcnt lgkmcnt(2)
	v_dot4c_i32_i8_e32 v255, v158, v4
	v_dot4c_i32_i8_e32 v67, v178, v14
	;; [unrolled: 1-line block ×7, first 2 shown]
	v_mul_lo_u32 v65, v65, v249
	v_dot4c_i32_i8_e32 v67, v181, v9
	s_waitcnt lgkmcnt(1)
	v_dot4c_i32_i8_e32 v255, v188, v0
	s_waitcnt lgkmcnt(0)
	v_cvt_f32_f16_e32 v199, v84
	v_cvt_f32_f16_sdwa v201, v84 dst_sel:DWORD dst_unused:UNUSED_PAD src0_sel:WORD_1
	v_cvt_f32_i32_e32 v84, v65
	v_mul_lo_u32 v65, v69, v252
	v_dot4c_i32_i8_e32 v67, v182, v10
	v_dot4c_i32_i8_e32 v255, v189, v1
	v_cvt_f32_f16_e32 v198, v192
	v_cvt_f32_f16_sdwa v200, v192 dst_sel:DWORD dst_unused:UNUSED_PAD src0_sel:WORD_1
	v_cvt_f32_i32_e32 v192, v65
	v_mov_b32_e32 v65, 0
	v_dot4c_i32_i8_e32 v67, v183, v11
	v_dot4c_i32_i8_e32 v255, v190, v2
	;; [unrolled: 1-line block ×4, first 2 shown]
	v_mul_lo_u32 v67, v67, v249
	v_dot4c_i32_i8_e32 v65, v129, v13
	v_cvt_f32_f16_e32 v195, v85
	v_cvt_f32_f16_sdwa v197, v85 dst_sel:DWORD dst_unused:UNUSED_PAD src0_sel:WORD_1
	v_cvt_f32_f16_sdwa v196, v193 dst_sel:DWORD dst_unused:UNUSED_PAD src0_sel:WORD_1
	v_cvt_f32_i32_e32 v85, v67
	v_mul_lo_u32 v67, v255, v252
	v_dot4c_i32_i8_e32 v65, v146, v14
	v_cvt_f32_f16_e32 v194, v193
	v_cvt_f32_i32_e32 v193, v67
	v_dot4c_i32_i8_e32 v65, v147, v15
	v_dot4c_i32_i8_e32 v65, v152, v8
	v_mov_b32_e32 v67, 0
	v_pk_fma_f32 v[86:87], v[138:139], v[200:201], 0 op_sel_hi:[0,1,0]
	v_dot4c_i32_i8_e32 v65, v153, v9
	v_dot4c_i32_i8_e32 v67, v136, v4
	v_pk_fma_f32 v[84:85], v[198:199], v[84:85], 0 op_sel_hi:[1,1,0]
	v_pk_fma_f32 v[86:87], v[184:185], v[196:197], v[86:87] op_sel_hi:[0,1,1]
	v_dot4c_i32_i8_e32 v65, v156, v10
	v_dot4c_i32_i8_e32 v67, v137, v5
	v_pk_fma_f32 v[84:85], v[194:195], v[192:193], v[84:85]
	v_pk_mul_f32 v[86:87], v[86:87], v[98:99]
	v_dot4c_i32_i8_e32 v65, v157, v11
	v_dot4c_i32_i8_e32 v67, v166, v6
	v_pk_fma_f32 v[84:85], v[84:85], v[96:97], v[86:87] neg_lo:[0,0,1] neg_hi:[0,0,1]
	v_dot4c_i32_i8_e32 v67, v167, v7
	v_mul_lo_u32 v65, v65, v163
	v_pk_add_f32 v[46:47], v[46:47], v[84:85]
	v_dot4c_i32_i8_e32 v67, v170, v0
	v_cvt_f32_i32_e32 v85, v65
	v_mul_lo_u32 v65, v71, v251
	v_dot4c_i32_i8_e32 v67, v171, v1
	v_cvt_f32_i32_e32 v192, v65
	v_mov_b32_e32 v65, 0
	v_dot4c_i32_i8_e32 v67, v174, v2
	v_dot4c_i32_i8_e32 v65, v126, v12
	v_dot4c_i32_i8_e32 v67, v175, v3
	v_mul_lo_u32 v69, v254, v163
	v_dot4c_i32_i8_e32 v65, v127, v13
	v_cvt_f32_i32_e32 v84, v69
	v_mul_lo_u32 v67, v67, v251
	v_dot4c_i32_i8_e32 v65, v142, v14
	v_cvt_f32_i32_e32 v193, v67
	v_dot4c_i32_i8_e32 v65, v143, v15
	v_dot4c_i32_i8_e32 v65, v148, v8
	v_pk_fma_f32 v[86:87], v[132:133], v[200:201], 0 op_sel_hi:[0,1,0]
	v_dot4c_i32_i8_e32 v65, v149, v9
	v_pk_fma_f32 v[84:85], v[198:199], v[84:85], 0 op_sel_hi:[1,1,0]
	v_pk_fma_f32 v[86:87], v[162:163], v[196:197], v[86:87] op_sel_hi:[0,1,1]
	v_dot4c_i32_i8_e32 v65, v154, v10
	v_pk_fma_f32 v[84:85], v[194:195], v[192:193], v[84:85]
	v_pk_mul_f32 v[86:87], v[86:87], v[102:103]
	v_dot4c_i32_i8_e32 v65, v155, v11
	v_pk_fma_f32 v[84:85], v[84:85], v[100:101], v[86:87] neg_lo:[0,0,1] neg_hi:[0,0,1]
	v_pk_add_f32 v[44:45], v[44:45], v[84:85]
	v_mov_b32_e32 v67, 0
	v_mul_lo_u32 v65, v65, v139
	v_cvt_f32_i32_e32 v85, v65
	v_mul_lo_u32 v65, v73, v250
	v_cvt_f32_i32_e32 v192, v65
	v_mov_b32_e32 v65, 0
	v_dot4c_i32_i8_e32 v65, v124, v12
	v_dot4c_i32_i8_e32 v65, v125, v13
	;; [unrolled: 1-line block ×5, first 2 shown]
	v_mov_b32_e32 v8, 0
	v_dot4c_i32_i8_e32 v8, v122, v4
	v_dot4c_i32_i8_e32 v8, v123, v5
	;; [unrolled: 1-line block ×17, first 2 shown]
	v_mul_lo_u32 v0, v51, v133
	v_mul_lo_u32 v1, v65, v133
	v_cvt_f32_i32_e32 v1, v1
	v_cvt_f32_i32_e32 v0, v0
	v_mul_lo_u32 v4, v53, v131
	v_mul_lo_u32 v5, v8, v131
	v_cvt_f32_i32_e32 v5, v5
	v_cvt_f32_i32_e32 v4, v4
	v_dot4c_i32_i8_e32 v67, v172, v2
	v_dot4c_i32_i8_e32 v67, v173, v3
	v_mul_lo_u32 v69, v253, v139
	v_pk_fma_f32 v[2:3], v[114:115], v[200:201], 0 op_sel_hi:[0,1,0]
	v_cvt_f32_i32_e32 v84, v69
	v_mul_lo_u32 v67, v67, v250
	v_pk_fma_f32 v[0:1], v[198:199], v[0:1], 0 op_sel_hi:[1,1,0]
	v_pk_fma_f32 v[2:3], v[112:113], v[196:197], v[2:3] op_sel_hi:[0,1,1]
	v_cvt_f32_i32_e32 v193, v67
	v_pk_fma_f32 v[0:1], v[194:195], v[4:5], v[0:1]
	v_pk_mul_f32 v[2:3], v[2:3], v[110:111]
	v_pk_fma_f32 v[0:1], v[0:1], v[108:109], v[2:3] neg_lo:[0,0,1] neg_hi:[0,0,1]
	v_pk_add_f32 v[40:41], v[40:41], v[0:1]
	v_or_b32_e32 v0, s5, v211
	v_pk_fma_f32 v[84:85], v[198:199], v[84:85], 0 op_sel_hi:[1,1,0]
	v_lshlrev_b32_e32 v1, 2, v0
	v_pk_fma_f32 v[84:85], v[194:195], v[192:193], v[84:85]
	v_lshrrev_b32_e32 v51, 1, v0
	ds_read_b128 v[12:15], v1 offset:33280
	ds_read_b128 v[8:11], v1 offset:33296
	;; [unrolled: 1-line block ×4, first 2 shown]
	ds_read_b64 v[192:193], v51 offset:43584
	v_mov_b32_e32 v51, 0
	v_mov_b32_e32 v53, 0
	;; [unrolled: 1-line block ×8, first 2 shown]
	s_waitcnt lgkmcnt(4)
	v_dot4c_i32_i8_e32 v51, v176, v12
	s_waitcnt lgkmcnt(2)
	v_dot4c_i32_i8_e32 v53, v158, v4
	v_dot4c_i32_i8_e32 v65, v128, v12
	v_dot4c_i32_i8_e32 v67, v136, v4
	v_dot4c_i32_i8_e32 v69, v126, v12
	v_dot4c_i32_i8_e32 v71, v134, v4
	v_dot4c_i32_i8_e32 v73, v124, v12
	v_dot4c_i32_i8_e32 v253, v122, v4
	v_dot4c_i32_i8_e32 v51, v177, v13
	v_dot4c_i32_i8_e32 v53, v159, v5
	v_dot4c_i32_i8_e32 v65, v129, v13
	v_dot4c_i32_i8_e32 v67, v137, v5
	v_dot4c_i32_i8_e32 v69, v127, v13
	v_dot4c_i32_i8_e32 v71, v135, v5
	v_dot4c_i32_i8_e32 v73, v125, v13
	v_dot4c_i32_i8_e32 v253, v123, v5
	v_pk_fma_f32 v[86:87], v[130:131], v[200:201], 0 op_sel_hi:[0,1,0]
	v_dot4c_i32_i8_e32 v51, v178, v14
	v_dot4c_i32_i8_e32 v53, v186, v6
	;; [unrolled: 1-line block ×8, first 2 shown]
	v_pk_fma_f32 v[86:87], v[160:161], v[196:197], v[86:87] op_sel_hi:[0,1,1]
	v_dot4c_i32_i8_e32 v51, v179, v15
	v_dot4c_i32_i8_e32 v53, v187, v7
	;; [unrolled: 1-line block ×8, first 2 shown]
	v_pk_mul_f32 v[86:87], v[86:87], v[106:107]
	v_dot4c_i32_i8_e32 v51, v180, v8
	s_waitcnt lgkmcnt(1)
	v_dot4c_i32_i8_e32 v53, v188, v0
	v_dot4c_i32_i8_e32 v65, v152, v8
	;; [unrolled: 1-line block ×7, first 2 shown]
	v_pk_fma_f32 v[84:85], v[84:85], v[104:105], v[86:87] neg_lo:[0,0,1] neg_hi:[0,0,1]
	v_dot4c_i32_i8_e32 v51, v181, v9
	v_dot4c_i32_i8_e32 v53, v189, v1
	;; [unrolled: 1-line block ×8, first 2 shown]
	v_or_b32_e32 v0, s5, v214
	v_pk_add_f32 v[42:43], v[42:43], v[84:85]
	v_dot4c_i32_i8_e32 v51, v182, v10
	v_dot4c_i32_i8_e32 v53, v190, v2
	;; [unrolled: 1-line block ×8, first 2 shown]
	v_lshlrev_b32_e32 v1, 2, v0
	v_lshrrev_b32_e32 v84, 1, v0
	v_dot4c_i32_i8_e32 v51, v183, v11
	v_dot4c_i32_i8_e32 v53, v191, v3
	;; [unrolled: 1-line block ×8, first 2 shown]
	ds_read_b128 v[12:15], v1 offset:33280
	ds_read_b128 v[8:11], v1 offset:33296
	;; [unrolled: 1-line block ×4, first 2 shown]
	ds_read_b64 v[84:85], v84 offset:43584
	v_mov_b32_e32 v86, 0
	s_waitcnt lgkmcnt(4)
	v_dot4c_i32_i8_e32 v86, v176, v12
	v_dot4c_i32_i8_e32 v86, v177, v13
	;; [unrolled: 1-line block ×4, first 2 shown]
	s_waitcnt lgkmcnt(3)
	v_dot4c_i32_i8_e32 v86, v180, v8
	v_mov_b32_e32 v254, 0
	v_dot4c_i32_i8_e32 v86, v181, v9
	s_waitcnt lgkmcnt(2)
	v_dot4c_i32_i8_e32 v254, v158, v4
	v_dot4c_i32_i8_e32 v86, v182, v10
	;; [unrolled: 1-line block ×6, first 2 shown]
	s_waitcnt lgkmcnt(0)
	v_cvt_f32_f16_e32 v199, v84
	v_cvt_f32_f16_sdwa v201, v84 dst_sel:DWORD dst_unused:UNUSED_PAD src0_sel:WORD_1
	v_mul_lo_u32 v51, v51, v249
	v_mul_lo_u32 v84, v86, v249
	v_dot4c_i32_i8_e32 v254, v188, v0
	v_cvt_f32_f16_e32 v195, v85
	v_cvt_f32_f16_sdwa v197, v85 dst_sel:DWORD dst_unused:UNUSED_PAD src0_sel:WORD_1
	v_cvt_f32_i32_e32 v85, v84
	v_cvt_f32_i32_e32 v84, v51
	v_mul_lo_u32 v51, v53, v252
	v_dot4c_i32_i8_e32 v254, v189, v1
	v_cvt_f32_f16_e32 v198, v192
	v_cvt_f32_f16_sdwa v200, v192 dst_sel:DWORD dst_unused:UNUSED_PAD src0_sel:WORD_1
	v_cvt_f32_i32_e32 v192, v51
	v_mov_b32_e32 v51, 0
	v_dot4c_i32_i8_e32 v254, v190, v2
	v_dot4c_i32_i8_e32 v51, v128, v12
	;; [unrolled: 1-line block ×4, first 2 shown]
	v_cvt_f32_f16_sdwa v196, v193 dst_sel:DWORD dst_unused:UNUSED_PAD src0_sel:WORD_1
	v_dot4c_i32_i8_e32 v51, v146, v14
	v_mul_lo_u32 v53, v254, v252
	v_cvt_f32_f16_e32 v194, v193
	v_cvt_f32_i32_e32 v193, v53
	v_dot4c_i32_i8_e32 v51, v147, v15
	v_dot4c_i32_i8_e32 v51, v152, v8
	v_mov_b32_e32 v53, 0
	v_pk_fma_f32 v[86:87], v[138:139], v[200:201], 0 op_sel_hi:[0,1,0]
	v_dot4c_i32_i8_e32 v51, v153, v9
	v_dot4c_i32_i8_e32 v53, v136, v4
	v_pk_fma_f32 v[84:85], v[84:85], v[198:199], 0 op_sel_hi:[1,1,0]
	v_pk_fma_f32 v[86:87], v[184:185], v[196:197], v[86:87] op_sel_hi:[0,1,1]
	v_dot4c_i32_i8_e32 v51, v156, v10
	v_dot4c_i32_i8_e32 v53, v137, v5
	v_pk_fma_f32 v[84:85], v[192:193], v[194:195], v[84:85]
	v_pk_mul_f32 v[86:87], v[86:87], v[98:99]
	v_dot4c_i32_i8_e32 v51, v157, v11
	v_dot4c_i32_i8_e32 v53, v166, v6
	v_pk_fma_f32 v[84:85], v[84:85], v[96:97], v[86:87] neg_lo:[0,0,1] neg_hi:[0,0,1]
	v_dot4c_i32_i8_e32 v53, v167, v7
	v_mul_lo_u32 v51, v51, v163
	v_pk_add_f32 v[38:39], v[38:39], v[84:85]
	v_dot4c_i32_i8_e32 v53, v170, v0
	v_cvt_f32_i32_e32 v85, v51
	v_mul_lo_u32 v51, v67, v251
	v_dot4c_i32_i8_e32 v53, v171, v1
	v_cvt_f32_i32_e32 v192, v51
	v_mov_b32_e32 v51, 0
	v_dot4c_i32_i8_e32 v53, v174, v2
	v_dot4c_i32_i8_e32 v51, v126, v12
	;; [unrolled: 1-line block ×3, first 2 shown]
	v_mul_lo_u32 v65, v65, v163
	v_dot4c_i32_i8_e32 v51, v127, v13
	v_cvt_f32_i32_e32 v84, v65
	v_mul_lo_u32 v53, v53, v251
	v_dot4c_i32_i8_e32 v51, v142, v14
	v_cvt_f32_i32_e32 v193, v53
	v_dot4c_i32_i8_e32 v51, v143, v15
	v_dot4c_i32_i8_e32 v51, v148, v8
	v_pk_fma_f32 v[86:87], v[132:133], v[200:201], 0 op_sel_hi:[0,1,0]
	v_dot4c_i32_i8_e32 v51, v149, v9
	v_pk_fma_f32 v[84:85], v[84:85], v[198:199], 0 op_sel_hi:[1,1,0]
	v_pk_fma_f32 v[86:87], v[162:163], v[196:197], v[86:87] op_sel_hi:[0,1,1]
	v_dot4c_i32_i8_e32 v51, v154, v10
	v_pk_fma_f32 v[84:85], v[192:193], v[194:195], v[84:85]
	v_pk_mul_f32 v[86:87], v[86:87], v[102:103]
	v_dot4c_i32_i8_e32 v51, v155, v11
	v_pk_fma_f32 v[84:85], v[84:85], v[100:101], v[86:87] neg_lo:[0,0,1] neg_hi:[0,0,1]
	v_pk_add_f32 v[36:37], v[36:37], v[84:85]
	v_mov_b32_e32 v53, 0
	v_mul_lo_u32 v51, v51, v139
	v_cvt_f32_i32_e32 v85, v51
	v_mul_lo_u32 v51, v71, v250
	v_cvt_f32_i32_e32 v192, v51
	v_mov_b32_e32 v51, 0
	v_dot4c_i32_i8_e32 v51, v124, v12
	v_dot4c_i32_i8_e32 v51, v125, v13
	;; [unrolled: 1-line block ×5, first 2 shown]
	v_mov_b32_e32 v8, 0
	v_dot4c_i32_i8_e32 v8, v122, v4
	v_dot4c_i32_i8_e32 v8, v123, v5
	;; [unrolled: 1-line block ×17, first 2 shown]
	v_mul_lo_u32 v0, v73, v133
	v_mul_lo_u32 v1, v51, v133
	v_cvt_f32_i32_e32 v1, v1
	v_cvt_f32_i32_e32 v0, v0
	v_mul_lo_u32 v4, v253, v131
	v_mul_lo_u32 v5, v8, v131
	v_cvt_f32_i32_e32 v5, v5
	v_cvt_f32_i32_e32 v4, v4
	v_dot4c_i32_i8_e32 v53, v172, v2
	v_dot4c_i32_i8_e32 v53, v173, v3
	v_mul_lo_u32 v65, v69, v139
	v_pk_fma_f32 v[2:3], v[114:115], v[200:201], 0 op_sel_hi:[0,1,0]
	v_cvt_f32_i32_e32 v84, v65
	v_mul_lo_u32 v53, v53, v250
	v_pk_fma_f32 v[0:1], v[0:1], v[198:199], 0 op_sel_hi:[1,1,0]
	v_pk_fma_f32 v[2:3], v[112:113], v[196:197], v[2:3] op_sel_hi:[0,1,1]
	v_cvt_f32_i32_e32 v193, v53
	v_pk_fma_f32 v[0:1], v[4:5], v[194:195], v[0:1]
	v_pk_mul_f32 v[2:3], v[2:3], v[110:111]
	v_pk_fma_f32 v[0:1], v[0:1], v[108:109], v[2:3] neg_lo:[0,0,1] neg_hi:[0,0,1]
	v_pk_add_f32 v[32:33], v[32:33], v[0:1]
	v_or_b32_e32 v0, s5, v217
	v_pk_fma_f32 v[84:85], v[84:85], v[198:199], 0 op_sel_hi:[1,1,0]
	v_lshlrev_b32_e32 v1, 2, v0
	v_pk_fma_f32 v[84:85], v[192:193], v[194:195], v[84:85]
	v_lshrrev_b32_e32 v51, 1, v0
	ds_read_b128 v[12:15], v1 offset:33280
	ds_read_b128 v[8:11], v1 offset:33296
	;; [unrolled: 1-line block ×4, first 2 shown]
	ds_read_b64 v[192:193], v51 offset:43584
	v_mov_b32_e32 v51, 0
	v_mov_b32_e32 v53, 0
	;; [unrolled: 1-line block ×8, first 2 shown]
	s_waitcnt lgkmcnt(4)
	v_dot4c_i32_i8_e32 v51, v176, v12
	s_waitcnt lgkmcnt(2)
	v_dot4c_i32_i8_e32 v53, v158, v4
	v_dot4c_i32_i8_e32 v65, v128, v12
	;; [unrolled: 1-line block ×15, first 2 shown]
	v_pk_fma_f32 v[86:87], v[130:131], v[200:201], 0 op_sel_hi:[0,1,0]
	v_dot4c_i32_i8_e32 v51, v178, v14
	v_dot4c_i32_i8_e32 v53, v186, v6
	v_dot4c_i32_i8_e32 v65, v146, v14
	v_dot4c_i32_i8_e32 v67, v166, v6
	v_dot4c_i32_i8_e32 v69, v142, v14
	v_dot4c_i32_i8_e32 v71, v164, v6
	v_dot4c_i32_i8_e32 v73, v140, v14
	v_dot4c_i32_i8_e32 v253, v116, v6
	v_pk_fma_f32 v[86:87], v[160:161], v[196:197], v[86:87] op_sel_hi:[0,1,1]
	v_dot4c_i32_i8_e32 v51, v179, v15
	v_dot4c_i32_i8_e32 v53, v187, v7
	;; [unrolled: 1-line block ×8, first 2 shown]
	v_pk_mul_f32 v[86:87], v[86:87], v[106:107]
	v_dot4c_i32_i8_e32 v51, v180, v8
	s_waitcnt lgkmcnt(1)
	v_dot4c_i32_i8_e32 v53, v188, v0
	v_dot4c_i32_i8_e32 v65, v152, v8
	v_dot4c_i32_i8_e32 v67, v170, v0
	v_dot4c_i32_i8_e32 v69, v148, v8
	v_dot4c_i32_i8_e32 v71, v168, v0
	v_dot4c_i32_i8_e32 v73, v144, v8
	v_dot4c_i32_i8_e32 v253, v118, v0
	v_pk_fma_f32 v[84:85], v[84:85], v[104:105], v[86:87] neg_lo:[0,0,1] neg_hi:[0,0,1]
	v_dot4c_i32_i8_e32 v51, v181, v9
	v_dot4c_i32_i8_e32 v53, v189, v1
	;; [unrolled: 1-line block ×8, first 2 shown]
	v_or_b32_e32 v0, s5, v220
	v_pk_add_f32 v[34:35], v[34:35], v[84:85]
	v_dot4c_i32_i8_e32 v51, v182, v10
	v_dot4c_i32_i8_e32 v53, v190, v2
	;; [unrolled: 1-line block ×8, first 2 shown]
	v_lshlrev_b32_e32 v1, 2, v0
	v_lshrrev_b32_e32 v84, 1, v0
	v_dot4c_i32_i8_e32 v51, v183, v11
	v_dot4c_i32_i8_e32 v53, v191, v3
	;; [unrolled: 1-line block ×8, first 2 shown]
	ds_read_b128 v[12:15], v1 offset:33280
	ds_read_b128 v[8:11], v1 offset:33296
	;; [unrolled: 1-line block ×4, first 2 shown]
	ds_read_b64 v[84:85], v84 offset:43584
	v_mov_b32_e32 v86, 0
	s_waitcnt lgkmcnt(4)
	v_dot4c_i32_i8_e32 v86, v176, v12
	v_dot4c_i32_i8_e32 v86, v177, v13
	;; [unrolled: 1-line block ×4, first 2 shown]
	s_waitcnt lgkmcnt(3)
	v_dot4c_i32_i8_e32 v86, v180, v8
	v_mov_b32_e32 v254, 0
	v_dot4c_i32_i8_e32 v86, v181, v9
	s_waitcnt lgkmcnt(2)
	v_dot4c_i32_i8_e32 v254, v158, v4
	v_dot4c_i32_i8_e32 v86, v182, v10
	;; [unrolled: 1-line block ×6, first 2 shown]
	s_waitcnt lgkmcnt(0)
	v_cvt_f32_f16_e32 v199, v84
	v_cvt_f32_f16_sdwa v201, v84 dst_sel:DWORD dst_unused:UNUSED_PAD src0_sel:WORD_1
	v_mul_lo_u32 v51, v51, v249
	v_mul_lo_u32 v84, v86, v249
	v_dot4c_i32_i8_e32 v254, v188, v0
	v_cvt_f32_f16_e32 v195, v85
	v_cvt_f32_f16_sdwa v197, v85 dst_sel:DWORD dst_unused:UNUSED_PAD src0_sel:WORD_1
	v_cvt_f32_i32_e32 v85, v84
	v_cvt_f32_i32_e32 v84, v51
	v_mul_lo_u32 v51, v53, v252
	v_dot4c_i32_i8_e32 v254, v189, v1
	v_cvt_f32_f16_e32 v198, v192
	v_cvt_f32_f16_sdwa v200, v192 dst_sel:DWORD dst_unused:UNUSED_PAD src0_sel:WORD_1
	v_cvt_f32_i32_e32 v192, v51
	v_mov_b32_e32 v51, 0
	v_dot4c_i32_i8_e32 v254, v190, v2
	v_dot4c_i32_i8_e32 v51, v128, v12
	;; [unrolled: 1-line block ×4, first 2 shown]
	v_cvt_f32_f16_sdwa v196, v193 dst_sel:DWORD dst_unused:UNUSED_PAD src0_sel:WORD_1
	v_dot4c_i32_i8_e32 v51, v146, v14
	v_mul_lo_u32 v53, v254, v252
	v_cvt_f32_f16_e32 v194, v193
	v_cvt_f32_i32_e32 v193, v53
	v_dot4c_i32_i8_e32 v51, v147, v15
	v_dot4c_i32_i8_e32 v51, v152, v8
	v_mov_b32_e32 v53, 0
	v_pk_fma_f32 v[86:87], v[138:139], v[200:201], 0 op_sel_hi:[0,1,0]
	v_dot4c_i32_i8_e32 v51, v153, v9
	v_dot4c_i32_i8_e32 v53, v136, v4
	v_pk_fma_f32 v[84:85], v[84:85], v[198:199], 0 op_sel_hi:[1,1,0]
	v_pk_fma_f32 v[86:87], v[184:185], v[196:197], v[86:87] op_sel_hi:[0,1,1]
	v_dot4c_i32_i8_e32 v51, v156, v10
	v_dot4c_i32_i8_e32 v53, v137, v5
	v_pk_fma_f32 v[84:85], v[192:193], v[194:195], v[84:85]
	v_pk_mul_f32 v[86:87], v[86:87], v[98:99]
	v_dot4c_i32_i8_e32 v51, v157, v11
	v_dot4c_i32_i8_e32 v53, v166, v6
	v_pk_fma_f32 v[84:85], v[84:85], v[96:97], v[86:87] neg_lo:[0,0,1] neg_hi:[0,0,1]
	v_dot4c_i32_i8_e32 v53, v167, v7
	v_mul_lo_u32 v51, v51, v163
	v_pk_add_f32 v[30:31], v[30:31], v[84:85]
	v_dot4c_i32_i8_e32 v53, v170, v0
	v_cvt_f32_i32_e32 v85, v51
	v_mul_lo_u32 v51, v67, v251
	v_dot4c_i32_i8_e32 v53, v171, v1
	v_cvt_f32_i32_e32 v192, v51
	v_mov_b32_e32 v51, 0
	v_dot4c_i32_i8_e32 v53, v174, v2
	v_dot4c_i32_i8_e32 v51, v126, v12
	;; [unrolled: 1-line block ×3, first 2 shown]
	v_mul_lo_u32 v65, v65, v163
	v_dot4c_i32_i8_e32 v51, v127, v13
	v_cvt_f32_i32_e32 v84, v65
	v_mul_lo_u32 v53, v53, v251
	v_dot4c_i32_i8_e32 v51, v142, v14
	v_cvt_f32_i32_e32 v193, v53
	v_dot4c_i32_i8_e32 v51, v143, v15
	v_dot4c_i32_i8_e32 v51, v148, v8
	v_pk_fma_f32 v[86:87], v[132:133], v[200:201], 0 op_sel_hi:[0,1,0]
	v_dot4c_i32_i8_e32 v51, v149, v9
	v_pk_fma_f32 v[84:85], v[84:85], v[198:199], 0 op_sel_hi:[1,1,0]
	v_pk_fma_f32 v[86:87], v[162:163], v[196:197], v[86:87] op_sel_hi:[0,1,1]
	v_dot4c_i32_i8_e32 v51, v154, v10
	v_pk_fma_f32 v[84:85], v[192:193], v[194:195], v[84:85]
	v_pk_mul_f32 v[86:87], v[86:87], v[102:103]
	v_dot4c_i32_i8_e32 v51, v155, v11
	v_pk_fma_f32 v[84:85], v[84:85], v[100:101], v[86:87] neg_lo:[0,0,1] neg_hi:[0,0,1]
	v_pk_add_f32 v[28:29], v[28:29], v[84:85]
	v_mov_b32_e32 v53, 0
	v_mul_lo_u32 v51, v51, v139
	v_cvt_f32_i32_e32 v85, v51
	v_mul_lo_u32 v51, v71, v250
	v_cvt_f32_i32_e32 v192, v51
	v_mov_b32_e32 v51, 0
	v_dot4c_i32_i8_e32 v51, v124, v12
	v_dot4c_i32_i8_e32 v51, v125, v13
	;; [unrolled: 1-line block ×5, first 2 shown]
	v_mov_b32_e32 v8, 0
	v_dot4c_i32_i8_e32 v8, v122, v4
	v_dot4c_i32_i8_e32 v8, v123, v5
	;; [unrolled: 1-line block ×17, first 2 shown]
	v_mul_lo_u32 v0, v73, v133
	v_mul_lo_u32 v1, v51, v133
	v_cvt_f32_i32_e32 v1, v1
	v_cvt_f32_i32_e32 v0, v0
	v_mul_lo_u32 v4, v253, v131
	v_mul_lo_u32 v5, v8, v131
	v_cvt_f32_i32_e32 v5, v5
	v_cvt_f32_i32_e32 v4, v4
	v_dot4c_i32_i8_e32 v53, v172, v2
	v_dot4c_i32_i8_e32 v53, v173, v3
	v_mul_lo_u32 v65, v69, v139
	v_pk_fma_f32 v[2:3], v[114:115], v[200:201], 0 op_sel_hi:[0,1,0]
	v_cvt_f32_i32_e32 v84, v65
	v_mul_lo_u32 v53, v53, v250
	v_pk_fma_f32 v[0:1], v[0:1], v[198:199], 0 op_sel_hi:[1,1,0]
	v_pk_fma_f32 v[2:3], v[112:113], v[196:197], v[2:3] op_sel_hi:[0,1,1]
	v_cvt_f32_i32_e32 v193, v53
	v_pk_fma_f32 v[0:1], v[4:5], v[194:195], v[0:1]
	v_pk_mul_f32 v[2:3], v[2:3], v[110:111]
	v_pk_fma_f32 v[0:1], v[0:1], v[108:109], v[2:3] neg_lo:[0,0,1] neg_hi:[0,0,1]
	v_pk_add_f32 v[24:25], v[24:25], v[0:1]
	v_or_b32_e32 v0, s5, v223
	v_pk_fma_f32 v[84:85], v[84:85], v[198:199], 0 op_sel_hi:[1,1,0]
	v_lshlrev_b32_e32 v1, 2, v0
	v_pk_fma_f32 v[84:85], v[192:193], v[194:195], v[84:85]
	v_lshrrev_b32_e32 v51, 1, v0
	ds_read_b128 v[12:15], v1 offset:33280
	ds_read_b128 v[8:11], v1 offset:33296
	;; [unrolled: 1-line block ×4, first 2 shown]
	ds_read_b64 v[192:193], v51 offset:43584
	v_mov_b32_e32 v51, 0
	v_mov_b32_e32 v53, 0
	;; [unrolled: 1-line block ×8, first 2 shown]
	s_waitcnt lgkmcnt(4)
	v_dot4c_i32_i8_e32 v51, v176, v12
	s_waitcnt lgkmcnt(2)
	v_dot4c_i32_i8_e32 v53, v158, v4
	v_dot4c_i32_i8_e32 v65, v128, v12
	;; [unrolled: 1-line block ×23, first 2 shown]
	v_pk_fma_f32 v[86:87], v[130:131], v[200:201], 0 op_sel_hi:[0,1,0]
	v_dot4c_i32_i8_e32 v51, v179, v15
	v_dot4c_i32_i8_e32 v53, v187, v7
	;; [unrolled: 1-line block ×8, first 2 shown]
	v_pk_fma_f32 v[86:87], v[160:161], v[196:197], v[86:87] op_sel_hi:[0,1,1]
	v_dot4c_i32_i8_e32 v51, v180, v8
	s_waitcnt lgkmcnt(1)
	v_dot4c_i32_i8_e32 v53, v188, v0
	v_dot4c_i32_i8_e32 v65, v152, v8
	;; [unrolled: 1-line block ×7, first 2 shown]
	v_pk_mul_f32 v[86:87], v[86:87], v[106:107]
	v_dot4c_i32_i8_e32 v51, v181, v9
	v_dot4c_i32_i8_e32 v53, v189, v1
	;; [unrolled: 1-line block ×8, first 2 shown]
	v_or_b32_e32 v0, s5, v226
	v_pk_fma_f32 v[84:85], v[84:85], v[104:105], v[86:87] neg_lo:[0,0,1] neg_hi:[0,0,1]
	v_dot4c_i32_i8_e32 v51, v182, v10
	v_dot4c_i32_i8_e32 v53, v190, v2
	;; [unrolled: 1-line block ×8, first 2 shown]
	v_lshlrev_b32_e32 v1, 2, v0
	v_lshrrev_b32_e32 v73, 1, v0
	v_pk_add_f32 v[26:27], v[26:27], v[84:85]
	v_dot4c_i32_i8_e32 v51, v183, v11
	v_dot4c_i32_i8_e32 v53, v191, v3
	;; [unrolled: 1-line block ×8, first 2 shown]
	ds_read_b128 v[12:15], v1 offset:33280
	ds_read_b128 v[8:11], v1 offset:33296
	ds_read_b128 v[4:7], v1 offset:33312
	ds_read_b128 v[0:3], v1 offset:33328
	ds_read_b64 v[84:85], v73 offset:43584
	v_mov_b32_e32 v73, 0
	s_waitcnt lgkmcnt(4)
	v_dot4c_i32_i8_e32 v73, v176, v12
	v_dot4c_i32_i8_e32 v73, v177, v13
	;; [unrolled: 1-line block ×4, first 2 shown]
	s_waitcnt lgkmcnt(3)
	v_dot4c_i32_i8_e32 v73, v180, v8
	v_dot4c_i32_i8_e32 v73, v181, v9
	v_dot4c_i32_i8_e32 v73, v182, v10
	v_mov_b32_e32 v182, 0
	s_waitcnt lgkmcnt(2)
	v_dot4c_i32_i8_e32 v182, v158, v4
	v_dot4c_i32_i8_e32 v182, v159, v5
	;; [unrolled: 1-line block ×4, first 2 shown]
	s_waitcnt lgkmcnt(1)
	v_dot4c_i32_i8_e32 v182, v188, v0
	v_dot4c_i32_i8_e32 v182, v189, v1
	v_dot4c_i32_i8_e32 v182, v190, v2
	v_mul_lo_u32 v51, v51, v249
	v_dot4c_i32_i8_e32 v182, v191, v3
	s_waitcnt lgkmcnt(0)
	v_cvt_f32_f16_e32 v181, v84
	v_cvt_f32_f16_sdwa v179, v84 dst_sel:DWORD dst_unused:UNUSED_PAD src0_sel:WORD_1
	v_cvt_f32_i32_e32 v84, v51
	v_mul_lo_u32 v51, v53, v252
	v_mul_lo_u32 v53, v182, v252
	v_cvt_f32_i32_e32 v182, v51
	v_mov_b32_e32 v51, 0
	v_dot4c_i32_i8_e32 v73, v183, v11
	v_dot4c_i32_i8_e32 v51, v128, v12
	v_cvt_f32_f16_sdwa v178, v192 dst_sel:DWORD dst_unused:UNUSED_PAD src0_sel:WORD_1
	v_cvt_f32_i32_e32 v183, v53
	v_mul_lo_u32 v73, v73, v249
	v_dot4c_i32_i8_e32 v51, v129, v13
	v_mov_b32_e32 v53, 0
	v_cvt_f32_f16_e32 v180, v192
	v_cvt_f32_f16_e32 v177, v85
	v_cvt_f32_f16_sdwa v159, v85 dst_sel:DWORD dst_unused:UNUSED_PAD src0_sel:WORD_1
	v_cvt_f32_f16_sdwa v158, v193 dst_sel:DWORD dst_unused:UNUSED_PAD src0_sel:WORD_1
	v_cvt_f32_i32_e32 v85, v73
	v_dot4c_i32_i8_e32 v51, v146, v14
	v_dot4c_i32_i8_e32 v53, v136, v4
	v_cvt_f32_f16_e32 v176, v193
	v_dot4c_i32_i8_e32 v51, v147, v15
	v_dot4c_i32_i8_e32 v53, v137, v5
	;; [unrolled: 1-line block ×4, first 2 shown]
	v_pk_fma_f32 v[86:87], v[138:139], v[178:179], 0 op_sel_hi:[0,1,0]
	v_dot4c_i32_i8_e32 v51, v153, v9
	v_dot4c_i32_i8_e32 v53, v167, v7
	v_pk_fma_f32 v[84:85], v[84:85], v[180:181], 0 op_sel_hi:[1,1,0]
	v_pk_fma_f32 v[86:87], v[184:185], v[158:159], v[86:87] op_sel_hi:[0,1,1]
	v_dot4c_i32_i8_e32 v51, v156, v10
	v_dot4c_i32_i8_e32 v53, v170, v0
	v_pk_fma_f32 v[84:85], v[182:183], v[176:177], v[84:85]
	v_pk_mul_f32 v[86:87], v[86:87], v[98:99]
	v_dot4c_i32_i8_e32 v51, v157, v11
	v_dot4c_i32_i8_e32 v53, v171, v1
	v_pk_fma_f32 v[84:85], v[84:85], v[96:97], v[86:87] neg_lo:[0,0,1] neg_hi:[0,0,1]
	v_dot4c_i32_i8_e32 v53, v174, v2
	v_mul_lo_u32 v51, v51, v163
	v_pk_add_f32 v[22:23], v[22:23], v[84:85]
	v_dot4c_i32_i8_e32 v53, v175, v3
	v_cvt_f32_i32_e32 v85, v51
	v_mul_lo_u32 v51, v67, v251
	v_cvt_f32_i32_e32 v128, v51
	v_mul_lo_u32 v53, v53, v251
	v_mov_b32_e32 v51, 0
	v_cvt_f32_i32_e32 v129, v53
	v_dot4c_i32_i8_e32 v51, v126, v12
	v_mov_b32_e32 v53, 0
	v_mul_lo_u32 v65, v65, v163
	v_dot4c_i32_i8_e32 v51, v127, v13
	v_dot4c_i32_i8_e32 v53, v134, v4
	v_cvt_f32_i32_e32 v84, v65
	v_dot4c_i32_i8_e32 v51, v142, v14
	v_dot4c_i32_i8_e32 v53, v135, v5
	;; [unrolled: 1-line block ×6, first 2 shown]
	v_pk_fma_f32 v[86:87], v[132:133], v[178:179], 0 op_sel_hi:[0,1,0]
	v_dot4c_i32_i8_e32 v51, v149, v9
	v_dot4c_i32_i8_e32 v53, v168, v0
	v_pk_fma_f32 v[84:85], v[84:85], v[180:181], 0 op_sel_hi:[1,1,0]
	v_pk_fma_f32 v[86:87], v[162:163], v[158:159], v[86:87] op_sel_hi:[0,1,1]
	v_dot4c_i32_i8_e32 v51, v154, v10
	v_dot4c_i32_i8_e32 v53, v169, v1
	v_pk_fma_f32 v[84:85], v[128:129], v[176:177], v[84:85]
	v_pk_mul_f32 v[86:87], v[86:87], v[102:103]
	v_dot4c_i32_i8_e32 v51, v155, v11
	v_dot4c_i32_i8_e32 v53, v172, v2
	v_pk_fma_f32 v[84:85], v[84:85], v[100:101], v[86:87] neg_lo:[0,0,1] neg_hi:[0,0,1]
	v_dot4c_i32_i8_e32 v53, v173, v3
	v_mul_lo_u32 v65, v69, v139
	v_mul_lo_u32 v51, v51, v139
	v_pk_add_f32 v[20:21], v[20:21], v[84:85]
	v_cvt_f32_i32_e32 v85, v51
	v_cvt_f32_i32_e32 v84, v65
	v_mul_lo_u32 v51, v71, v250
	v_mul_lo_u32 v53, v53, v250
	v_cvt_f32_i32_e32 v127, v53
	v_cvt_f32_i32_e32 v126, v51
	v_pk_fma_f32 v[84:85], v[84:85], v[180:181], 0 op_sel_hi:[1,1,0]
	v_pk_fma_f32 v[86:87], v[130:131], v[178:179], 0 op_sel_hi:[0,1,0]
	;; [unrolled: 1-line block ×3, first 2 shown]
	v_pk_fma_f32 v[84:85], v[126:127], v[176:177], v[84:85]
	v_mov_b32_e32 v126, 0
	v_dot4c_i32_i8_e32 v126, v124, v12
	v_dot4c_i32_i8_e32 v126, v125, v13
	;; [unrolled: 1-line block ×5, first 2 shown]
	v_mov_b32_e32 v8, 0
	v_dot4c_i32_i8_e32 v8, v122, v4
	v_dot4c_i32_i8_e32 v8, v123, v5
	;; [unrolled: 1-line block ×11, first 2 shown]
	v_mul_lo_u32 v0, v195, v133
	v_mul_lo_u32 v1, v126, v133
	v_cvt_f32_i32_e32 v1, v1
	v_cvt_f32_i32_e32 v0, v0
	v_mul_lo_u32 v4, v194, v131
	v_mul_lo_u32 v5, v8, v131
	v_cvt_f32_i32_e32 v5, v5
	v_cvt_f32_i32_e32 v4, v4
	v_pk_fma_f32 v[2:3], v[114:115], v[178:179], 0 op_sel_hi:[0,1,0]
	v_pk_fma_f32 v[0:1], v[0:1], v[180:181], 0 op_sel_hi:[1,1,0]
	;; [unrolled: 1-line block ×3, first 2 shown]
	v_pk_mul_f32 v[86:87], v[86:87], v[106:107]
	v_pk_fma_f32 v[0:1], v[4:5], v[176:177], v[0:1]
	v_pk_mul_f32 v[2:3], v[2:3], v[110:111]
	v_pk_fma_f32 v[84:85], v[84:85], v[104:105], v[86:87] neg_lo:[0,0,1] neg_hi:[0,0,1]
	v_pk_fma_f32 v[0:1], v[0:1], v[108:109], v[2:3] neg_lo:[0,0,1] neg_hi:[0,0,1]
	s_add_i32 s5, s4, 8
	v_pk_add_f32 v[18:19], v[18:19], v[84:85]
	v_pk_add_f32 v[16:17], v[16:17], v[0:1]
	s_cmp_lt_u32 s4, 24
	s_mov_b32 s4, s5
	s_cbranch_scc1 .LBB133_8
; %bb.9:                                ;   in Loop: Header=BB133_5 Depth=1
	s_add_i32 s0, s0, 1
	s_cmp_eq_u32 s0, s7
	s_barrier
	s_cbranch_scc0 .LBB133_5
; %bb.10:
	buffer_load_dword v1, off, s[24:27], 0 offset:24 ; 4-byte Folded Reload
	buffer_load_dword v2, off, s[24:27], 0 offset:28 ; 4-byte Folded Reload
.LBB133_11:
	s_waitcnt vmcnt(0)
	v_cmp_gt_u32_e32 vcc, s8, v2
	s_and_saveexec_b64 s[0:1], vcc
	s_cbranch_execz .LBB133_62
; %bb.12:
	v_add_u32_e32 v0, s6, v49
	v_mul_lo_u32 v5, v2, s10
	v_cmp_gt_u32_e32 vcc, s10, v0
	s_and_saveexec_b64 s[2:3], vcc
	s_cbranch_execz .LBB133_14
; %bb.13:
	v_add_u32_e32 v2, v0, v5
	v_mov_b32_e32 v3, 0
	v_lshlrev_b64 v[2:3], 2, v[2:3]
	s_waitcnt lgkmcnt(0)
	v_mov_b32_e32 v4, s13
	v_add_co_u32_e64 v2, s[0:1], s12, v2
	v_addc_co_u32_e64 v3, s[0:1], v4, v3, s[0:1]
	global_store_dword v[2:3], v46, off
.LBB133_14:
	s_or_b64 exec, exec, s[2:3]
	v_add_u32_e32 v2, 32, v0
	v_cmp_gt_u32_e64 s[0:1], s10, v2
	s_and_saveexec_b64 s[4:5], s[0:1]
	s_cbranch_execz .LBB133_16
; %bb.15:
	v_add_u32_e32 v6, v2, v5
	v_mov_b32_e32 v7, 0
	v_lshlrev_b64 v[6:7], 2, v[6:7]
	s_waitcnt lgkmcnt(0)
	v_mov_b32_e32 v3, s13
	v_add_co_u32_e64 v6, s[2:3], s12, v6
	v_addc_co_u32_e64 v7, s[2:3], v3, v7, s[2:3]
	global_store_dword v[6:7], v44, off
.LBB133_16:
	s_or_b64 exec, exec, s[4:5]
	v_add_u32_e32 v3, 64, v0
	v_cmp_gt_u32_e64 s[2:3], s10, v3
	s_and_saveexec_b64 s[6:7], s[2:3]
	s_cbranch_execz .LBB133_18
; %bb.17:
	v_add_u32_e32 v6, v3, v5
	v_mov_b32_e32 v7, 0
	v_lshlrev_b64 v[6:7], 2, v[6:7]
	s_waitcnt lgkmcnt(0)
	v_mov_b32_e32 v4, s13
	v_add_co_u32_e64 v6, s[4:5], s12, v6
	v_addc_co_u32_e64 v7, s[4:5], v4, v7, s[4:5]
	global_store_dword v[6:7], v42, off
.LBB133_18:
	s_or_b64 exec, exec, s[6:7]
	v_add_u32_e32 v4, 0x60, v0
	v_cmp_gt_u32_e64 s[4:5], s10, v4
	s_and_saveexec_b64 s[14:15], s[4:5]
	s_cbranch_execz .LBB133_20
; %bb.19:
	v_add_u32_e32 v6, v4, v5
	v_mov_b32_e32 v7, 0
	v_lshlrev_b64 v[6:7], 2, v[6:7]
	s_waitcnt lgkmcnt(0)
	v_mov_b32_e32 v5, s13
	v_add_co_u32_e64 v6, s[6:7], s12, v6
	v_addc_co_u32_e64 v7, s[6:7], v5, v7, s[6:7]
	global_store_dword v[6:7], v40, off
.LBB133_20:
	s_or_b64 exec, exec, s[14:15]
	v_add3_u32 v5, v1, s11, 8
	v_cmp_gt_u32_e64 s[6:7], s8, v5
	s_and_b64 exec, exec, s[6:7]
	s_cbranch_execz .LBB133_62
; %bb.21:
	v_mul_lo_u32 v5, v5, s10
	s_and_saveexec_b64 s[14:15], vcc
	s_cbranch_execnz .LBB133_63
; %bb.22:
	s_or_b64 exec, exec, s[14:15]
	s_and_saveexec_b64 s[14:15], s[0:1]
	s_cbranch_execnz .LBB133_64
.LBB133_23:
	s_or_b64 exec, exec, s[14:15]
	s_and_saveexec_b64 s[14:15], s[2:3]
	s_cbranch_execnz .LBB133_65
.LBB133_24:
	s_or_b64 exec, exec, s[14:15]
	s_and_saveexec_b64 s[14:15], s[4:5]
	s_cbranch_execz .LBB133_26
.LBB133_25:
	v_add_u32_e32 v6, v5, v4
	v_mov_b32_e32 v7, 0
	v_lshlrev_b64 v[6:7], 2, v[6:7]
	s_waitcnt lgkmcnt(0)
	v_mov_b32_e32 v5, s13
	v_add_co_u32_e64 v6, s[6:7], s12, v6
	v_addc_co_u32_e64 v7, s[6:7], v5, v7, s[6:7]
	global_store_dword v[6:7], v41, off
.LBB133_26:
	s_or_b64 exec, exec, s[14:15]
	v_add3_u32 v5, v1, s11, 16
	v_cmp_gt_u32_e64 s[6:7], s8, v5
	s_and_b64 exec, exec, s[6:7]
	s_cbranch_execz .LBB133_62
; %bb.27:
	v_mul_lo_u32 v5, v5, s10
	s_and_saveexec_b64 s[14:15], vcc
	s_cbranch_execnz .LBB133_66
; %bb.28:
	s_or_b64 exec, exec, s[14:15]
	s_and_saveexec_b64 s[14:15], s[0:1]
	s_cbranch_execnz .LBB133_67
.LBB133_29:
	s_or_b64 exec, exec, s[14:15]
	s_and_saveexec_b64 s[14:15], s[2:3]
	s_cbranch_execnz .LBB133_68
.LBB133_30:
	s_or_b64 exec, exec, s[14:15]
	s_and_saveexec_b64 s[14:15], s[4:5]
	s_cbranch_execz .LBB133_32
.LBB133_31:
	v_add_u32_e32 v6, v5, v4
	v_mov_b32_e32 v7, 0
	v_lshlrev_b64 v[6:7], 2, v[6:7]
	s_waitcnt lgkmcnt(0)
	v_mov_b32_e32 v5, s13
	v_add_co_u32_e64 v6, s[6:7], s12, v6
	v_addc_co_u32_e64 v7, s[6:7], v5, v7, s[6:7]
	global_store_dword v[6:7], v32, off
.LBB133_32:
	s_or_b64 exec, exec, s[14:15]
	v_add3_u32 v5, v1, s11, 24
	v_cmp_gt_u32_e64 s[6:7], s8, v5
	s_and_b64 exec, exec, s[6:7]
	s_cbranch_execz .LBB133_62
; %bb.33:
	v_mul_lo_u32 v5, v5, s10
	s_and_saveexec_b64 s[14:15], vcc
	s_cbranch_execnz .LBB133_69
; %bb.34:
	s_or_b64 exec, exec, s[14:15]
	s_and_saveexec_b64 s[14:15], s[0:1]
	s_cbranch_execnz .LBB133_70
.LBB133_35:
	s_or_b64 exec, exec, s[14:15]
	s_and_saveexec_b64 s[14:15], s[2:3]
	s_cbranch_execnz .LBB133_71
.LBB133_36:
	s_or_b64 exec, exec, s[14:15]
	s_and_saveexec_b64 s[14:15], s[4:5]
	s_cbranch_execz .LBB133_38
.LBB133_37:
	v_add_u32_e32 v6, v5, v4
	v_mov_b32_e32 v7, 0
	v_lshlrev_b64 v[6:7], 2, v[6:7]
	s_waitcnt lgkmcnt(0)
	v_mov_b32_e32 v5, s13
	v_add_co_u32_e64 v6, s[6:7], s12, v6
	v_addc_co_u32_e64 v7, s[6:7], v5, v7, s[6:7]
	global_store_dword v[6:7], v33, off
.LBB133_38:
	s_or_b64 exec, exec, s[14:15]
	v_add3_u32 v5, v1, s11, 32
	v_cmp_gt_u32_e64 s[6:7], s8, v5
	s_and_b64 exec, exec, s[6:7]
	s_cbranch_execz .LBB133_62
; %bb.39:
	v_mul_lo_u32 v5, v5, s10
	s_and_saveexec_b64 s[14:15], vcc
	s_cbranch_execnz .LBB133_72
; %bb.40:
	s_or_b64 exec, exec, s[14:15]
	s_and_saveexec_b64 s[14:15], s[0:1]
	s_cbranch_execnz .LBB133_73
.LBB133_41:
	s_or_b64 exec, exec, s[14:15]
	s_and_saveexec_b64 s[14:15], s[2:3]
	s_cbranch_execnz .LBB133_74
.LBB133_42:
	s_or_b64 exec, exec, s[14:15]
	s_and_saveexec_b64 s[14:15], s[4:5]
	s_cbranch_execz .LBB133_44
.LBB133_43:
	v_add_u32_e32 v6, v5, v4
	v_mov_b32_e32 v7, 0
	v_lshlrev_b64 v[6:7], 2, v[6:7]
	s_waitcnt lgkmcnt(0)
	v_mov_b32_e32 v5, s13
	v_add_co_u32_e64 v6, s[6:7], s12, v6
	v_addc_co_u32_e64 v7, s[6:7], v5, v7, s[6:7]
	global_store_dword v[6:7], v24, off
.LBB133_44:
	s_or_b64 exec, exec, s[14:15]
	v_add3_u32 v5, v1, s11, 40
	v_cmp_gt_u32_e64 s[6:7], s8, v5
	s_and_b64 exec, exec, s[6:7]
	s_cbranch_execz .LBB133_62
; %bb.45:
	v_mul_lo_u32 v5, v5, s10
	s_and_saveexec_b64 s[14:15], vcc
	s_cbranch_execnz .LBB133_75
; %bb.46:
	s_or_b64 exec, exec, s[14:15]
	s_and_saveexec_b64 s[14:15], s[0:1]
	s_cbranch_execnz .LBB133_76
.LBB133_47:
	s_or_b64 exec, exec, s[14:15]
	s_and_saveexec_b64 s[14:15], s[2:3]
	s_cbranch_execnz .LBB133_77
.LBB133_48:
	s_or_b64 exec, exec, s[14:15]
	s_and_saveexec_b64 s[14:15], s[4:5]
	s_cbranch_execz .LBB133_50
.LBB133_49:
	v_add_u32_e32 v6, v5, v4
	v_mov_b32_e32 v7, 0
	v_lshlrev_b64 v[6:7], 2, v[6:7]
	s_waitcnt lgkmcnt(0)
	v_mov_b32_e32 v5, s13
	v_add_co_u32_e64 v6, s[6:7], s12, v6
	v_addc_co_u32_e64 v7, s[6:7], v5, v7, s[6:7]
	global_store_dword v[6:7], v25, off
.LBB133_50:
	s_or_b64 exec, exec, s[14:15]
	v_add3_u32 v5, v1, s11, 48
	v_cmp_gt_u32_e64 s[6:7], s8, v5
	s_and_b64 exec, exec, s[6:7]
	s_cbranch_execz .LBB133_62
; %bb.51:
	v_mul_lo_u32 v5, v5, s10
	s_and_saveexec_b64 s[14:15], vcc
	s_cbranch_execnz .LBB133_78
; %bb.52:
	s_or_b64 exec, exec, s[14:15]
	s_and_saveexec_b64 s[14:15], s[0:1]
	s_cbranch_execnz .LBB133_79
.LBB133_53:
	s_or_b64 exec, exec, s[14:15]
	s_and_saveexec_b64 s[14:15], s[2:3]
	s_cbranch_execnz .LBB133_80
.LBB133_54:
	s_or_b64 exec, exec, s[14:15]
	s_and_saveexec_b64 s[14:15], s[4:5]
	s_cbranch_execz .LBB133_56
.LBB133_55:
	v_add_u32_e32 v6, v5, v4
	v_mov_b32_e32 v7, 0
	v_lshlrev_b64 v[6:7], 2, v[6:7]
	s_waitcnt lgkmcnt(0)
	v_mov_b32_e32 v5, s13
	v_add_co_u32_e64 v6, s[6:7], s12, v6
	v_addc_co_u32_e64 v7, s[6:7], v5, v7, s[6:7]
	global_store_dword v[6:7], v16, off
.LBB133_56:
	s_or_b64 exec, exec, s[14:15]
	v_add3_u32 v1, v1, s11, 56
	v_cmp_gt_u32_e64 s[6:7], s8, v1
	s_and_b64 exec, exec, s[6:7]
	s_cbranch_execz .LBB133_62
; %bb.57:
	v_mul_lo_u32 v1, v1, s10
	s_and_saveexec_b64 s[6:7], vcc
	s_cbranch_execnz .LBB133_81
; %bb.58:
	s_or_b64 exec, exec, s[6:7]
	s_and_saveexec_b64 s[6:7], s[0:1]
	s_cbranch_execnz .LBB133_82
.LBB133_59:
	s_or_b64 exec, exec, s[6:7]
	s_and_saveexec_b64 s[0:1], s[2:3]
	s_cbranch_execnz .LBB133_83
.LBB133_60:
	s_or_b64 exec, exec, s[0:1]
	s_and_b64 exec, exec, s[4:5]
	s_cbranch_execz .LBB133_62
.LBB133_61:
	v_add_u32_e32 v0, v1, v4
	v_mov_b32_e32 v1, 0
	v_lshlrev_b64 v[0:1], 2, v[0:1]
	s_waitcnt lgkmcnt(0)
	v_mov_b32_e32 v2, s13
	v_add_co_u32_e32 v0, vcc, s12, v0
	v_addc_co_u32_e32 v1, vcc, v2, v1, vcc
	global_store_dword v[0:1], v17, off
.LBB133_62:
	s_endpgm
.LBB133_63:
	v_add_u32_e32 v6, v5, v0
	v_mov_b32_e32 v7, 0
	v_lshlrev_b64 v[6:7], 2, v[6:7]
	s_waitcnt lgkmcnt(0)
	v_mov_b32_e32 v8, s13
	v_add_co_u32_e64 v6, s[6:7], s12, v6
	v_addc_co_u32_e64 v7, s[6:7], v8, v7, s[6:7]
	global_store_dword v[6:7], v47, off
	s_or_b64 exec, exec, s[14:15]
	s_and_saveexec_b64 s[14:15], s[0:1]
	s_cbranch_execz .LBB133_23
.LBB133_64:
	v_add_u32_e32 v6, v5, v2
	v_mov_b32_e32 v7, 0
	v_lshlrev_b64 v[6:7], 2, v[6:7]
	s_waitcnt lgkmcnt(0)
	v_mov_b32_e32 v8, s13
	v_add_co_u32_e64 v6, s[6:7], s12, v6
	v_addc_co_u32_e64 v7, s[6:7], v8, v7, s[6:7]
	global_store_dword v[6:7], v45, off
	s_or_b64 exec, exec, s[14:15]
	s_and_saveexec_b64 s[14:15], s[2:3]
	s_cbranch_execz .LBB133_24
.LBB133_65:
	v_add_u32_e32 v6, v5, v3
	v_mov_b32_e32 v7, 0
	v_lshlrev_b64 v[6:7], 2, v[6:7]
	s_waitcnt lgkmcnt(0)
	v_mov_b32_e32 v8, s13
	v_add_co_u32_e64 v6, s[6:7], s12, v6
	v_addc_co_u32_e64 v7, s[6:7], v8, v7, s[6:7]
	global_store_dword v[6:7], v43, off
	s_or_b64 exec, exec, s[14:15]
	s_and_saveexec_b64 s[14:15], s[4:5]
	s_cbranch_execnz .LBB133_25
	s_branch .LBB133_26
.LBB133_66:
	v_add_u32_e32 v6, v5, v0
	v_mov_b32_e32 v7, 0
	v_lshlrev_b64 v[6:7], 2, v[6:7]
	s_waitcnt lgkmcnt(0)
	v_mov_b32_e32 v8, s13
	v_add_co_u32_e64 v6, s[6:7], s12, v6
	v_addc_co_u32_e64 v7, s[6:7], v8, v7, s[6:7]
	global_store_dword v[6:7], v38, off
	s_or_b64 exec, exec, s[14:15]
	s_and_saveexec_b64 s[14:15], s[0:1]
	s_cbranch_execz .LBB133_29
.LBB133_67:
	v_add_u32_e32 v6, v5, v2
	v_mov_b32_e32 v7, 0
	v_lshlrev_b64 v[6:7], 2, v[6:7]
	s_waitcnt lgkmcnt(0)
	v_mov_b32_e32 v8, s13
	v_add_co_u32_e64 v6, s[6:7], s12, v6
	v_addc_co_u32_e64 v7, s[6:7], v8, v7, s[6:7]
	global_store_dword v[6:7], v36, off
	s_or_b64 exec, exec, s[14:15]
	s_and_saveexec_b64 s[14:15], s[2:3]
	s_cbranch_execz .LBB133_30
.LBB133_68:
	v_add_u32_e32 v6, v5, v3
	v_mov_b32_e32 v7, 0
	v_lshlrev_b64 v[6:7], 2, v[6:7]
	s_waitcnt lgkmcnt(0)
	v_mov_b32_e32 v8, s13
	v_add_co_u32_e64 v6, s[6:7], s12, v6
	v_addc_co_u32_e64 v7, s[6:7], v8, v7, s[6:7]
	global_store_dword v[6:7], v34, off
	s_or_b64 exec, exec, s[14:15]
	s_and_saveexec_b64 s[14:15], s[4:5]
	s_cbranch_execnz .LBB133_31
	s_branch .LBB133_32
.LBB133_69:
	v_add_u32_e32 v6, v5, v0
	v_mov_b32_e32 v7, 0
	v_lshlrev_b64 v[6:7], 2, v[6:7]
	s_waitcnt lgkmcnt(0)
	v_mov_b32_e32 v8, s13
	v_add_co_u32_e64 v6, s[6:7], s12, v6
	v_addc_co_u32_e64 v7, s[6:7], v8, v7, s[6:7]
	global_store_dword v[6:7], v39, off
	s_or_b64 exec, exec, s[14:15]
	s_and_saveexec_b64 s[14:15], s[0:1]
	s_cbranch_execz .LBB133_35
.LBB133_70:
	v_add_u32_e32 v6, v5, v2
	v_mov_b32_e32 v7, 0
	v_lshlrev_b64 v[6:7], 2, v[6:7]
	s_waitcnt lgkmcnt(0)
	v_mov_b32_e32 v8, s13
	v_add_co_u32_e64 v6, s[6:7], s12, v6
	v_addc_co_u32_e64 v7, s[6:7], v8, v7, s[6:7]
	global_store_dword v[6:7], v37, off
	s_or_b64 exec, exec, s[14:15]
	s_and_saveexec_b64 s[14:15], s[2:3]
	s_cbranch_execz .LBB133_36
.LBB133_71:
	v_add_u32_e32 v6, v5, v3
	v_mov_b32_e32 v7, 0
	v_lshlrev_b64 v[6:7], 2, v[6:7]
	s_waitcnt lgkmcnt(0)
	v_mov_b32_e32 v8, s13
	v_add_co_u32_e64 v6, s[6:7], s12, v6
	v_addc_co_u32_e64 v7, s[6:7], v8, v7, s[6:7]
	global_store_dword v[6:7], v35, off
	s_or_b64 exec, exec, s[14:15]
	s_and_saveexec_b64 s[14:15], s[4:5]
	s_cbranch_execnz .LBB133_37
	s_branch .LBB133_38
.LBB133_72:
	v_add_u32_e32 v6, v5, v0
	v_mov_b32_e32 v7, 0
	v_lshlrev_b64 v[6:7], 2, v[6:7]
	s_waitcnt lgkmcnt(0)
	v_mov_b32_e32 v8, s13
	v_add_co_u32_e64 v6, s[6:7], s12, v6
	v_addc_co_u32_e64 v7, s[6:7], v8, v7, s[6:7]
	global_store_dword v[6:7], v30, off
	s_or_b64 exec, exec, s[14:15]
	s_and_saveexec_b64 s[14:15], s[0:1]
	s_cbranch_execz .LBB133_41
.LBB133_73:
	v_add_u32_e32 v6, v5, v2
	v_mov_b32_e32 v7, 0
	v_lshlrev_b64 v[6:7], 2, v[6:7]
	s_waitcnt lgkmcnt(0)
	v_mov_b32_e32 v8, s13
	v_add_co_u32_e64 v6, s[6:7], s12, v6
	v_addc_co_u32_e64 v7, s[6:7], v8, v7, s[6:7]
	global_store_dword v[6:7], v28, off
	s_or_b64 exec, exec, s[14:15]
	s_and_saveexec_b64 s[14:15], s[2:3]
	s_cbranch_execz .LBB133_42
.LBB133_74:
	v_add_u32_e32 v6, v5, v3
	v_mov_b32_e32 v7, 0
	v_lshlrev_b64 v[6:7], 2, v[6:7]
	s_waitcnt lgkmcnt(0)
	v_mov_b32_e32 v8, s13
	v_add_co_u32_e64 v6, s[6:7], s12, v6
	v_addc_co_u32_e64 v7, s[6:7], v8, v7, s[6:7]
	global_store_dword v[6:7], v26, off
	s_or_b64 exec, exec, s[14:15]
	s_and_saveexec_b64 s[14:15], s[4:5]
	s_cbranch_execnz .LBB133_43
	s_branch .LBB133_44
.LBB133_75:
	v_add_u32_e32 v6, v5, v0
	v_mov_b32_e32 v7, 0
	v_lshlrev_b64 v[6:7], 2, v[6:7]
	s_waitcnt lgkmcnt(0)
	v_mov_b32_e32 v8, s13
	v_add_co_u32_e64 v6, s[6:7], s12, v6
	v_addc_co_u32_e64 v7, s[6:7], v8, v7, s[6:7]
	global_store_dword v[6:7], v31, off
	s_or_b64 exec, exec, s[14:15]
	s_and_saveexec_b64 s[14:15], s[0:1]
	s_cbranch_execz .LBB133_47
.LBB133_76:
	v_add_u32_e32 v6, v5, v2
	v_mov_b32_e32 v7, 0
	v_lshlrev_b64 v[6:7], 2, v[6:7]
	s_waitcnt lgkmcnt(0)
	v_mov_b32_e32 v8, s13
	v_add_co_u32_e64 v6, s[6:7], s12, v6
	v_addc_co_u32_e64 v7, s[6:7], v8, v7, s[6:7]
	global_store_dword v[6:7], v29, off
	s_or_b64 exec, exec, s[14:15]
	s_and_saveexec_b64 s[14:15], s[2:3]
	s_cbranch_execz .LBB133_48
.LBB133_77:
	v_add_u32_e32 v6, v5, v3
	v_mov_b32_e32 v7, 0
	v_lshlrev_b64 v[6:7], 2, v[6:7]
	s_waitcnt lgkmcnt(0)
	v_mov_b32_e32 v8, s13
	v_add_co_u32_e64 v6, s[6:7], s12, v6
	v_addc_co_u32_e64 v7, s[6:7], v8, v7, s[6:7]
	global_store_dword v[6:7], v27, off
	s_or_b64 exec, exec, s[14:15]
	s_and_saveexec_b64 s[14:15], s[4:5]
	s_cbranch_execnz .LBB133_49
	s_branch .LBB133_50
.LBB133_78:
	v_add_u32_e32 v6, v5, v0
	v_mov_b32_e32 v7, 0
	v_lshlrev_b64 v[6:7], 2, v[6:7]
	s_waitcnt lgkmcnt(0)
	v_mov_b32_e32 v8, s13
	v_add_co_u32_e64 v6, s[6:7], s12, v6
	v_addc_co_u32_e64 v7, s[6:7], v8, v7, s[6:7]
	global_store_dword v[6:7], v22, off
	s_or_b64 exec, exec, s[14:15]
	s_and_saveexec_b64 s[14:15], s[0:1]
	s_cbranch_execz .LBB133_53
.LBB133_79:
	v_add_u32_e32 v6, v5, v2
	v_mov_b32_e32 v7, 0
	v_lshlrev_b64 v[6:7], 2, v[6:7]
	s_waitcnt lgkmcnt(0)
	v_mov_b32_e32 v8, s13
	v_add_co_u32_e64 v6, s[6:7], s12, v6
	v_addc_co_u32_e64 v7, s[6:7], v8, v7, s[6:7]
	global_store_dword v[6:7], v20, off
	s_or_b64 exec, exec, s[14:15]
	s_and_saveexec_b64 s[14:15], s[2:3]
	s_cbranch_execz .LBB133_54
.LBB133_80:
	v_add_u32_e32 v6, v5, v3
	v_mov_b32_e32 v7, 0
	v_lshlrev_b64 v[6:7], 2, v[6:7]
	s_waitcnt lgkmcnt(0)
	v_mov_b32_e32 v8, s13
	v_add_co_u32_e64 v6, s[6:7], s12, v6
	v_addc_co_u32_e64 v7, s[6:7], v8, v7, s[6:7]
	global_store_dword v[6:7], v18, off
	s_or_b64 exec, exec, s[14:15]
	s_and_saveexec_b64 s[14:15], s[4:5]
	s_cbranch_execnz .LBB133_55
	s_branch .LBB133_56
.LBB133_81:
	v_add_u32_e32 v6, v1, v0
	v_mov_b32_e32 v7, 0
	v_lshlrev_b64 v[6:7], 2, v[6:7]
	s_waitcnt lgkmcnt(0)
	v_mov_b32_e32 v0, s13
	v_add_co_u32_e32 v6, vcc, s12, v6
	v_addc_co_u32_e32 v7, vcc, v0, v7, vcc
	global_store_dword v[6:7], v23, off
	s_or_b64 exec, exec, s[6:7]
	s_and_saveexec_b64 s[6:7], s[0:1]
	s_cbranch_execz .LBB133_59
.LBB133_82:
	v_add_u32_e32 v6, v1, v2
	v_mov_b32_e32 v7, 0
	v_lshlrev_b64 v[6:7], 2, v[6:7]
	s_waitcnt lgkmcnt(0)
	v_mov_b32_e32 v0, s13
	v_add_co_u32_e32 v6, vcc, s12, v6
	v_addc_co_u32_e32 v7, vcc, v0, v7, vcc
	global_store_dword v[6:7], v21, off
	s_or_b64 exec, exec, s[6:7]
	s_and_saveexec_b64 s[0:1], s[2:3]
	s_cbranch_execz .LBB133_60
.LBB133_83:
	v_add_u32_e32 v2, v1, v3
	v_mov_b32_e32 v3, 0
	v_lshlrev_b64 v[2:3], 2, v[2:3]
	s_waitcnt lgkmcnt(0)
	v_mov_b32_e32 v0, s13
	v_add_co_u32_e32 v2, vcc, s12, v2
	v_addc_co_u32_e32 v3, vcc, v0, v3, vcc
	global_store_dword v[2:3], v19, off
	s_or_b64 exec, exec, s[0:1]
	s_and_b64 exec, exec, s[4:5]
	s_cbranch_execnz .LBB133_61
	s_branch .LBB133_62
	.section	.rodata,"a",@progbits
	.p2align	6, 0x0
	.amdhsa_kernel _ZL12mul_mat_q5_KIfLb0EEvPKvS1_PT_iiiii
		.amdhsa_group_segment_fixed_size 45136
		.amdhsa_private_segment_fixed_size 36
		.amdhsa_kernarg_size 44
		.amdhsa_user_sgpr_count 6
		.amdhsa_user_sgpr_private_segment_buffer 1
		.amdhsa_user_sgpr_dispatch_ptr 0
		.amdhsa_user_sgpr_queue_ptr 0
		.amdhsa_user_sgpr_kernarg_segment_ptr 1
		.amdhsa_user_sgpr_dispatch_id 0
		.amdhsa_user_sgpr_flat_scratch_init 0
		.amdhsa_user_sgpr_kernarg_preload_length 0
		.amdhsa_user_sgpr_kernarg_preload_offset 0
		.amdhsa_user_sgpr_private_segment_size 0
		.amdhsa_uses_dynamic_stack 0
		.amdhsa_system_sgpr_private_segment_wavefront_offset 1
		.amdhsa_system_sgpr_workgroup_id_x 1
		.amdhsa_system_sgpr_workgroup_id_y 1
		.amdhsa_system_sgpr_workgroup_id_z 0
		.amdhsa_system_sgpr_workgroup_info 0
		.amdhsa_system_vgpr_workitem_id 1
		.amdhsa_next_free_vgpr 256
		.amdhsa_next_free_sgpr 28
		.amdhsa_accum_offset 256
		.amdhsa_reserve_vcc 1
		.amdhsa_reserve_flat_scratch 0
		.amdhsa_float_round_mode_32 0
		.amdhsa_float_round_mode_16_64 0
		.amdhsa_float_denorm_mode_32 3
		.amdhsa_float_denorm_mode_16_64 3
		.amdhsa_dx10_clamp 1
		.amdhsa_ieee_mode 1
		.amdhsa_fp16_overflow 0
		.amdhsa_tg_split 0
		.amdhsa_exception_fp_ieee_invalid_op 0
		.amdhsa_exception_fp_denorm_src 0
		.amdhsa_exception_fp_ieee_div_zero 0
		.amdhsa_exception_fp_ieee_overflow 0
		.amdhsa_exception_fp_ieee_underflow 0
		.amdhsa_exception_fp_ieee_inexact 0
		.amdhsa_exception_int_div_zero 0
	.end_amdhsa_kernel
	.section	.text._ZL12mul_mat_q5_KIfLb0EEvPKvS1_PT_iiiii,"axG",@progbits,_ZL12mul_mat_q5_KIfLb0EEvPKvS1_PT_iiiii,comdat
.Lfunc_end133:
	.size	_ZL12mul_mat_q5_KIfLb0EEvPKvS1_PT_iiiii, .Lfunc_end133-_ZL12mul_mat_q5_KIfLb0EEvPKvS1_PT_iiiii
                                        ; -- End function
	.section	.AMDGPU.csdata,"",@progbits
; Kernel info:
; codeLenInByte = 17516
; NumSgprs: 32
; NumVgprs: 256
; NumAgprs: 0
; TotalNumVgprs: 256
; ScratchSize: 36
; MemoryBound: 0
; FloatMode: 240
; IeeeMode: 1
; LDSByteSize: 45136 bytes/workgroup (compile time only)
; SGPRBlocks: 3
; VGPRBlocks: 31
; NumSGPRsForWavesPerEU: 32
; NumVGPRsForWavesPerEU: 256
; AccumOffset: 256
; Occupancy: 1
; WaveLimiterHint : 0
; COMPUTE_PGM_RSRC2:SCRATCH_EN: 1
; COMPUTE_PGM_RSRC2:USER_SGPR: 6
; COMPUTE_PGM_RSRC2:TRAP_HANDLER: 0
; COMPUTE_PGM_RSRC2:TGID_X_EN: 1
; COMPUTE_PGM_RSRC2:TGID_Y_EN: 1
; COMPUTE_PGM_RSRC2:TGID_Z_EN: 0
; COMPUTE_PGM_RSRC2:TIDIG_COMP_CNT: 1
; COMPUTE_PGM_RSRC3_GFX90A:ACCUM_OFFSET: 63
; COMPUTE_PGM_RSRC3_GFX90A:TG_SPLIT: 0
	.section	.text._ZL12mul_mat_q5_KIfLb1EEvPKvS1_PT_iiiii,"axG",@progbits,_ZL12mul_mat_q5_KIfLb1EEvPKvS1_PT_iiiii,comdat
	.globl	_ZL12mul_mat_q5_KIfLb1EEvPKvS1_PT_iiiii ; -- Begin function _ZL12mul_mat_q5_KIfLb1EEvPKvS1_PT_iiiii
	.p2align	8
	.type	_ZL12mul_mat_q5_KIfLb1EEvPKvS1_PT_iiiii,@function
_ZL12mul_mat_q5_KIfLb1EEvPKvS1_PT_iiiii: ; @_ZL12mul_mat_q5_KIfLb1EEvPKvS1_PT_iiiii
; %bb.0:
	s_mov_b64 s[26:27], s[2:3]
	s_mov_b64 s[24:25], s[0:1]
	s_add_u32 s24, s24, s8
	s_load_dwordx4 s[8:11], s[4:5], 0x18
	s_load_dword s14, s[4:5], 0x28
	s_addc_u32 s25, s25, 0
	s_lshl_b32 s15, s7, 6
	v_bfe_u32 v44, v0, 10, 10
	s_waitcnt lgkmcnt(0)
	s_cmpk_gt_i32 s8, 0xff
	s_cbranch_scc1 .LBB134_2
; %bb.1:
	v_bfe_u32 v1, v0, 10, 10
	v_and_b32_e32 v52, 0x3ff, v0
	v_add_u32_e32 v2, s15, v1
	s_mov_b64 s[0:1], 0
	s_mov_b32 s2, 0
	s_branch .LBB134_3
.LBB134_2:
	s_mov_b64 s[0:1], -1
                                        ; implicit-def: $sgpr2
                                        ; implicit-def: $vgpr1
                                        ; implicit-def: $vgpr52
                                        ; implicit-def: $vgpr2
.LBB134_3:
	s_load_dwordx2 s[12:13], s[4:5], 0x10
	s_lshl_b32 s6, s6, 7
	s_andn2_b64 vcc, exec, s[0:1]
	v_mov_b32_e32 v17, s2
	v_mov_b32_e32 v16, s2
	;; [unrolled: 1-line block ×32, first 2 shown]
	s_cbranch_vccnz .LBB134_11
; %bb.4:
	s_load_dwordx4 s[0:3], s[4:5], 0x0
	s_ashr_i32 s4, s8, 31
	s_lshr_b32 s4, s4, 24
	s_add_i32 s4, s8, s4
	s_ashr_i32 s7, s4, 8
	s_ashr_i32 s4, s11, 31
	s_lshr_b32 s4, s4, 27
	s_add_i32 s4, s11, s4
	s_mul_i32 s5, s7, s6
	s_ashr_i32 s4, s4, 5
	s_mul_hi_i32 s16, s5, 0xb0
	s_mulk_i32 s5, 0xb0
	s_waitcnt lgkmcnt(0)
	s_add_u32 s11, s0, s5
	s_addc_u32 s16, s1, s16
	s_not_b32 s0, s6
	v_and_b32_e32 v52, 0x3ff, v0
	s_add_i32 s5, s0, s9
	v_lshlrev_b32_e32 v0, 1, v52
	v_and_b32_e32 v2, 7, v52
	v_and_or_b32 v0, v0, 48, v2
	v_min_i32_e32 v2, s5, v44
	v_mul_lo_u32 v4, v2, s7
	buffer_store_dword v4, off, s[24:27], 0 ; 4-byte Folded Spill
	s_nop 0
	buffer_store_dword v5, off, s[24:27], 0 offset:4 ; 4-byte Folded Spill
	v_lshrrev_b32_e32 v1, 2, v52
	v_lshlrev_b32_e32 v0, 2, v0
	s_movk_i32 s1, 0x104
	v_add_u32_e32 v3, 8, v44
	v_mad_u64_u32 v[54:55], s[18:19], v2, s1, v[0:1]
	v_min_i32_e32 v2, s5, v3
	v_mul_lo_u32 v4, v2, s7
	v_mad_u64_u32 v[60:61], s[18:19], v2, s1, v[0:1]
	v_add_u32_e32 v8, 24, v44
	v_add_u32_e32 v9, 32, v44
	;; [unrolled: 1-line block ×5, first 2 shown]
	v_lshlrev_b32_e32 v55, 5, v44
	s_mov_b32 s9, 0xae40
	v_and_b32_e32 v59, 6, v1
	v_lshlrev_b32_e32 v53, 2, v52
	v_and_b32_e32 v48, 28, v53
	v_mov_b32_e32 v19, s3
	s_mov_b32 s17, 0xa200
	v_add_u32_e32 v21, s15, v44
	v_and_b32_e32 v18, 31, v52
	v_lshlrev_b32_e32 v79, 5, v3
	v_lshlrev_b32_e32 v91, 5, v8
	;; [unrolled: 1-line block ×4, first 2 shown]
	v_lshrrev_b32_e32 v22, 5, v52
	s_mov_b32 s0, 0
	s_movk_i32 s8, 0xb0
	v_and_b32_e32 v46, 0x7c, v53
	v_or_b32_e32 v63, 1, v59
	v_lshrrev_b32_e32 v71, 3, v52
	v_mov_b32_e32 v86, v22
	v_mul_u32_u24_e32 v217, 0x104, v52
	buffer_store_dword v4, off, s[24:27], 0 offset:8 ; 4-byte Folded Spill
	s_nop 0
	buffer_store_dword v5, off, s[24:27], 0 offset:12 ; 4-byte Folded Spill
	v_add_u32_e32 v5, 16, v44
	v_min_i32_e32 v2, s5, v5
	v_mul_lo_u32 v4, v2, s7
	buffer_store_dword v4, off, s[24:27], 0 offset:16 ; 4-byte Folded Spill
	s_nop 0
	buffer_store_dword v5, off, s[24:27], 0 offset:20 ; 4-byte Folded Spill
	v_mad_u64_u32 v[64:65], s[18:19], v2, s1, v[0:1]
	v_min_i32_e32 v2, s5, v8
	v_mul_lo_u32 v4, v2, s7
	v_mad_u64_u32 v[68:69], s[18:19], v2, s1, v[0:1]
	v_min_i32_e32 v2, s5, v9
	v_mad_u64_u32 v[72:73], s[18:19], v2, s1, v[0:1]
	buffer_store_dword v4, off, s[24:27], 0 offset:24 ; 4-byte Folded Spill
	s_nop 0
	buffer_store_dword v5, off, s[24:27], 0 offset:28 ; 4-byte Folded Spill
	v_mul_lo_u32 v4, v2, s7
	v_min_i32_e32 v2, s5, v10
	v_mad_u64_u32 v[76:77], s[18:19], v2, s1, v[0:1]
	buffer_store_dword v4, off, s[24:27], 0 offset:32 ; 4-byte Folded Spill
	s_nop 0
	buffer_store_dword v5, off, s[24:27], 0 offset:36 ; 4-byte Folded Spill
	v_mul_lo_u32 v4, v2, s7
	;; [unrolled: 6-line block ×4, first 2 shown]
	v_add_u32_e32 v2, 64, v44
	v_min_i32_e32 v2, s5, v2
	v_mad_u64_u32 v[88:89], s[18:19], v2, s1, v[0:1]
	buffer_store_dword v4, off, s[24:27], 0 offset:56 ; 4-byte Folded Spill
	s_nop 0
	buffer_store_dword v5, off, s[24:27], 0 offset:60 ; 4-byte Folded Spill
	v_mul_lo_u32 v4, v2, s7
	v_add_u32_e32 v2, 0x48, v44
	v_min_i32_e32 v2, s5, v2
	v_mul_lo_u32 v90, v2, s7
	v_mad_u64_u32 v[92:93], s[18:19], v2, s1, v[0:1]
	v_add_u32_e32 v2, 0x50, v44
	v_min_i32_e32 v2, s5, v2
	v_mul_lo_u32 v94, v2, s7
	v_mad_u64_u32 v[96:97], s[18:19], v2, s1, v[0:1]
	;; [unrolled: 4-line block ×6, first 2 shown]
	v_add_u32_e32 v2, 0x78, v44
	v_min_i32_e32 v2, s5, v2
	v_mad_u64_u32 v[116:117], s[18:19], v2, s1, v[0:1]
	v_add_u32_e32 v0, v55, v52
	v_and_b32_e32 v0, 0x7f, v0
	v_min_i32_e32 v0, s5, v0
	v_mul_lo_u32 v114, v2, s7
	v_ashrrev_i32_e32 v2, 31, v0
	v_lshrrev_b32_e32 v2, 27, v2
	v_add_u32_e32 v2, v0, v2
	v_ashrrev_i32_e32 v2, 5, v2
	v_mul_lo_u32 v118, v0, s7
	v_lshlrev_b32_e32 v2, 2, v2
	v_lshlrev_b32_e32 v0, 2, v0
	v_add3_u32 v61, v2, v0, s9
	v_and_b32_e32 v0, 3, v52
	v_add_u32_e32 v2, 0xfe, v0
	v_cmp_gt_u32_e32 vcc, 2, v0
	v_cndmask_b32_e32 v2, v2, v0, vcc
	v_lshl_add_u32 v1, v44, 3, v1
	v_and_b32_e32 v6, 0xff, v2
	v_cmp_ne_u32_e32 vcc, 0, v0
	v_addc_co_u32_e32 v2, vcc, 0, v6, vcc
	v_lshlrev_b32_e32 v58, 1, v6
	v_and_b32_e32 v6, 0x7f, v1
	v_min_i32_e32 v7, s5, v6
	v_ashrrev_i32_e32 v13, 31, v7
	v_xor_b32_e32 v6, 64, v6
	v_lshrrev_b32_e32 v13, 29, v13
	v_min_i32_e32 v6, s5, v6
	v_cmp_lt_u32_e32 vcc, 1, v0
	v_mul_lo_u32 v120, v7, s7
	v_add_u32_e32 v13, v7, v13
	v_lshlrev_b32_e32 v15, 4, v7
	v_ashrrev_i32_e32 v7, 31, v6
	buffer_store_dword v4, off, s[24:27], 0 offset:64 ; 4-byte Folded Spill
	s_nop 0
	buffer_store_dword v5, off, s[24:27], 0 offset:68 ; 4-byte Folded Spill
	v_and_b32_e32 v4, 4, v53
	v_cndmask_b32_e32 v65, 0, v4, vcc
	v_cndmask_b32_e64 v4, 0, 1, vcc
	v_lshrrev_b32_e32 v7, 29, v7
	v_add_co_u32_e32 v124, vcc, s2, v48
	v_and_b32_e32 v1, 63, v1
	v_add_u32_e32 v7, v6, v7
	s_add_i32 s5, s10, -1
	v_addc_co_u32_e32 v125, vcc, 0, v19, vcc
	v_or_b32_e32 v19, s15, v1
	v_lshlrev_b32_e32 v14, 2, v0
	v_ashrrev_i32_e32 v7, 3, v7
	v_min_i32_e32 v19, s5, v19
	v_lshlrev_b32_e32 v7, 2, v7
	v_mad_u64_u32 v[126:127], s[18:19], v19, s4, v[0:1]
	v_lshl_or_b32 v0, v1, 4, v14
	v_mul_lo_u32 v122, v6, s7
	v_add3_u32 v16, v7, v14, s17
	v_lshlrev_b32_e32 v17, 4, v6
	v_cvt_f64_i32_e32 v[6:7], s5
	v_add_u32_e32 v69, 0xaa40, v0
	v_cvt_f64_u32_e32 v[0:1], v21
	v_ashrrev_i32_e32 v13, 3, v13
	v_min_f64 v[0:1], v[0:1], v[6:7]
	v_lshlrev_b32_e32 v13, 2, v13
	v_cvt_i32_f64_e32 v0, v[0:1]
	v_add3_u32 v13, v13, v14, s17
	v_mul_lo_u32 v73, s4, v0
	v_or_b32_e32 v0, v55, v18
	v_mov_b32_e32 v14, 0x8200
	v_lshl_add_u32 v75, v0, 2, v14
	v_add_u32_e32 v0, 8, v21
	v_cvt_f64_u32_e32 v[0:1], v0
	v_min_f64 v[0:1], v[0:1], v[6:7]
	v_cvt_i32_f64_e32 v0, v[0:1]
	v_mul_lo_u32 v77, s4, v0
	v_or_b32_e32 v0, v79, v18
	v_lshl_add_u32 v81, v0, 2, v14
	v_add_u32_e32 v0, 16, v21
	v_cvt_f64_u32_e32 v[0:1], v0
	v_min_f64 v[0:1], v[0:1], v[6:7]
	v_cvt_i32_f64_e32 v0, v[0:1]
	v_mul_lo_u32 v83, s4, v0
	v_lshlrev_b32_e32 v97, 5, v9
	v_lshlrev_b32_e32 v109, 5, v11
	buffer_store_dword v21, off, s[24:27], 0 offset:76 ; 4-byte Folded Spill
	v_lshlrev_b32_e32 v237, 2, v2
	v_lshlrev_b32_e32 v238, 2, v4
	v_add_u32_e32 v239, v13, v15
	v_add_u32_e32 v240, v16, v17
	buffer_store_dword v44, off, s[24:27], 0 offset:72 ; 4-byte Folded Spill
	v_lshlrev_b32_e32 v85, 5, v5
	v_or_b32_e32 v0, v85, v18
	v_lshl_add_u32 v87, v0, 2, v14
	v_add_u32_e32 v0, 24, v21
	v_cvt_f64_u32_e32 v[0:1], v0
	v_min_f64 v[0:1], v[0:1], v[6:7]
	v_cvt_i32_f64_e32 v0, v[0:1]
	v_mul_lo_u32 v89, s4, v0
	v_or_b32_e32 v0, v91, v18
	v_lshl_add_u32 v93, v0, 2, v14
	v_add_u32_e32 v0, 32, v21
	v_cvt_f64_u32_e32 v[0:1], v0
	v_min_f64 v[0:1], v[0:1], v[6:7]
	v_cvt_i32_f64_e32 v0, v[0:1]
	v_mul_lo_u32 v95, s4, v0
	;; [unrolled: 7-line block ×5, first 2 shown]
	v_or_b32_e32 v0, v115, v18
	v_lshl_add_u32 v117, v0, 2, v14
	v_lshlrev_b32_e32 v0, 2, v22
	v_add3_u32 v119, v0, v53, s9
	v_add_u32_e32 v0, 32, v52
	v_lshrrev_b32_e32 v121, 3, v0
	v_lshlrev_b32_e32 v1, 2, v0
	v_and_b32_e32 v0, 60, v121
	v_add3_u32 v123, v53, v0, s9
	v_add_u32_e32 v0, 64, v52
	v_lshrrev_b32_e32 v127, 3, v0
	v_lshlrev_b32_e32 v3, 2, v0
	v_and_b32_e32 v0, 60, v127
	v_add3_u32 v145, v53, v0, s9
	v_add_u32_e32 v0, 0x60, v52
	v_lshrrev_b32_e32 v147, 3, v0
	v_lshlrev_b32_e32 v5, 2, v0
	v_and_b32_e32 v0, 60, v147
	v_add3_u32 v193, v53, v0, s9
	v_mov_b32_e32 v0, 0x2080
	v_mad_u32_u24 v234, v52, s1, v0
	v_mov_b32_e32 v0, 0x4100
	v_mad_u32_u24 v235, v52, s1, v0
	;; [unrolled: 2-line block ×3, first 2 shown]
	s_mov_b32 s1, s0
	v_pk_mov_b32 v[56:57], s[0:1], s[0:1] op_sel:[0,1]
	s_mov_b32 s1, 0x10101010
	s_mov_b32 s9, 0x30303030
	v_lshlrev_b32_e32 v241, 2, v1
	v_lshlrev_b32_e32 v242, 2, v3
	;; [unrolled: 1-line block ×3, first 2 shown]
	v_pk_mov_b32 v[38:39], v[56:57], v[56:57] op_sel:[0,1]
	v_pk_mov_b32 v[30:31], v[56:57], v[56:57] op_sel:[0,1]
	;; [unrolled: 1-line block ×15, first 2 shown]
.LBB134_5:                              ; =>This Loop Header: Depth=1
                                        ;     Child Loop BB134_6 Depth 2
                                        ;     Child Loop BB134_8 Depth 2
	buffer_load_dword v4, off, s[24:27], 0  ; 4-byte Folded Reload
	buffer_load_dword v5, off, s[24:27], 0 offset:4 ; 4-byte Folded Reload
	buffer_load_dword v8, off, s[24:27], 0 offset:8 ; 4-byte Folded Reload
	;; [unrolled: 1-line block ×3, first 2 shown]
	s_mul_i32 s4, s0, 0xb0
	s_mul_hi_u32 s5, s0, 0xb0
	s_add_u32 s4, s11, s4
	s_addc_u32 s5, s16, s5
	v_pk_mov_b32 v[0:1], s[4:5], s[4:5] op_sel:[0,1]
	v_mad_u64_u32 v[2:3], s[4:5], v86, s8, v[0:1]
	s_lshl_b32 s17, s0, 3
	v_add_u32_e32 v157, s17, v126
	s_mov_b32 s19, 0
	s_waitcnt vmcnt(2)
	v_mad_i64_i32 v[4:5], s[4:5], v4, s8, v[2:3]
	v_add_co_u32_e32 v6, vcc, v4, v46
	v_addc_co_u32_e32 v7, vcc, 0, v5, vcc
	v_add_co_u32_e32 v4, vcc, v4, v48
	v_addc_co_u32_e32 v5, vcc, 0, v5, vcc
	s_waitcnt vmcnt(0)
	v_mad_i64_i32 v[8:9], s[4:5], v8, s8, v[2:3]
	v_add_co_u32_e32 v10, vcc, v8, v46
	v_addc_co_u32_e32 v11, vcc, 0, v9, vcc
	global_load_dword v12, v[6:7], off offset:48
	global_load_dword v13, v[4:5], off offset:16
	;; [unrolled: 1-line block ×3, first 2 shown]
	v_add_co_u32_e32 v4, vcc, v8, v48
	v_addc_co_u32_e32 v5, vcc, 0, v9, vcc
	global_load_dword v15, v[4:5], off offset:16
	s_nop 0
	buffer_load_dword v4, off, s[24:27], 0 offset:16 ; 4-byte Folded Reload
	buffer_load_dword v5, off, s[24:27], 0 offset:20 ; 4-byte Folded Reload
	;; [unrolled: 1-line block ×6, first 2 shown]
	s_waitcnt vmcnt(6)
	v_ashrrev_i32_e32 v67, v59, v15
	s_waitcnt vmcnt(4)
	v_mad_i64_i32 v[4:5], s[4:5], v4, s8, v[2:3]
	v_add_co_u32_e32 v10, vcc, v4, v46
	v_addc_co_u32_e32 v11, vcc, 0, v5, vcc
	v_add_co_u32_e32 v4, vcc, v4, v48
	s_waitcnt vmcnt(2)
	v_mad_i64_i32 v[6:7], s[4:5], v6, s8, v[2:3]
	v_addc_co_u32_e32 v5, vcc, 0, v5, vcc
	global_load_dword v44, v[10:11], off offset:48
	global_load_dword v45, v[4:5], off offset:16
	v_add_co_u32_e32 v4, vcc, v6, v46
	v_addc_co_u32_e32 v5, vcc, 0, v7, vcc
	global_load_dword v47, v[4:5], off offset:48
	v_add_co_u32_e32 v4, vcc, v6, v48
	v_addc_co_u32_e32 v5, vcc, 0, v7, vcc
	global_load_dword v49, v[4:5], off offset:16
	s_nop 0
	buffer_load_dword v4, off, s[24:27], 0 offset:40 ; 4-byte Folded Reload
	buffer_load_dword v5, off, s[24:27], 0 offset:44 ; 4-byte Folded Reload
	s_waitcnt vmcnt(6)
	v_mad_i64_i32 v[8:9], s[4:5], v8, s8, v[2:3]
	v_add_co_u32_e32 v6, vcc, v8, v46
	v_addc_co_u32_e32 v7, vcc, 0, v9, vcc
	v_add_co_u32_e32 v8, vcc, v8, v48
	v_addc_co_u32_e32 v9, vcc, 0, v9, vcc
	global_load_dword v66, v[6:7], off offset:48
	s_nop 0
	global_load_dword v8, v[8:9], off offset:16
	v_and_b32_e32 v6, 0xf0f0f0f, v12
	v_lshrrev_b32_e32 v7, 4, v12
	v_ashrrev_i32_e32 v9, v59, v13
	v_ashrrev_i32_e32 v12, v63, v13
	v_and_b32_e32 v7, 0xf0f0f0f, v7
	v_lshlrev_b32_e32 v9, 4, v9
	v_lshlrev_b32_e32 v12, 4, v12
	v_and_or_b32 v6, v9, s1, v6
	v_and_or_b32 v7, v12, s1, v7
	ds_write2_b32 v54, v6, v7 offset1:8
	v_and_b32_e32 v13, 0xf0f0f0f, v14
	v_lshlrev_b32_e32 v67, 4, v67
	v_and_or_b32 v9, v67, s1, v13
	v_lshrrev_b32_e32 v14, 4, v14
	v_ashrrev_i32_e32 v15, v63, v15
	v_and_b32_e32 v14, 0xf0f0f0f, v14
	v_lshlrev_b32_e32 v15, 4, v15
	s_waitcnt vmcnt(2)
	v_mad_i64_i32 v[4:5], s[4:5], v4, s8, v[2:3]
	v_add_co_u32_e32 v10, vcc, v4, v46
	v_addc_co_u32_e32 v11, vcc, 0, v5, vcc
	v_add_co_u32_e32 v4, vcc, v4, v48
	v_addc_co_u32_e32 v5, vcc, 0, v5, vcc
	global_load_dword v10, v[10:11], off offset:48
	s_nop 0
	global_load_dword v11, v[4:5], off offset:16
	s_nop 0
	buffer_load_dword v4, off, s[24:27], 0 offset:48 ; 4-byte Folded Reload
	buffer_load_dword v5, off, s[24:27], 0 offset:52 ; 4-byte Folded Reload
	s_waitcnt vmcnt(0)
	v_mad_i64_i32 v[4:5], s[4:5], v4, s8, v[2:3]
	v_add_co_u32_e32 v6, vcc, v4, v46
	v_addc_co_u32_e32 v7, vcc, 0, v5, vcc
	v_add_co_u32_e32 v4, vcc, v4, v48
	v_addc_co_u32_e32 v5, vcc, 0, v5, vcc
	global_load_dword v12, v[6:7], off offset:48
	global_load_dword v13, v[4:5], off offset:16
	s_nop 0
	buffer_load_dword v4, off, s[24:27], 0 offset:56 ; 4-byte Folded Reload
	buffer_load_dword v5, off, s[24:27], 0 offset:60 ; 4-byte Folded Reload
	s_waitcnt vmcnt(0)
	v_mad_i64_i32 v[4:5], s[4:5], v4, s8, v[2:3]
	v_add_co_u32_e32 v6, vcc, v4, v46
	v_addc_co_u32_e32 v7, vcc, 0, v5, vcc
	v_add_co_u32_e32 v4, vcc, v4, v48
	v_addc_co_u32_e32 v5, vcc, 0, v5, vcc
	global_load_dword v67, v[6:7], off offset:48
	global_load_dword v128, v[4:5], off offset:16
	v_and_or_b32 v4, v15, s1, v14
	v_lshrrev_b32_e32 v5, 4, v44
	v_ashrrev_i32_e32 v6, v59, v45
	v_ashrrev_i32_e32 v7, v63, v45
	ds_write2_b32 v60, v9, v4 offset1:8
	v_and_b32_e32 v4, 0xf0f0f0f, v44
	v_and_b32_e32 v5, 0xf0f0f0f, v5
	v_lshlrev_b32_e32 v6, 4, v6
	v_lshlrev_b32_e32 v7, 4, v7
	v_and_or_b32 v4, v6, s1, v4
	v_and_or_b32 v5, v7, s1, v5
	ds_write2_b32 v64, v4, v5 offset1:8
	v_lshrrev_b32_e32 v5, 4, v47
	v_and_b32_e32 v9, 0xf0f0f0f, v5
	v_ashrrev_i32_e32 v5, v59, v49
	v_and_b32_e32 v4, 0xf0f0f0f, v47
	v_lshlrev_b32_e32 v5, 4, v5
	v_and_or_b32 v15, v5, s1, v4
	buffer_load_dword v4, off, s[24:27], 0 offset:64 ; 4-byte Folded Reload
	buffer_load_dword v5, off, s[24:27], 0 offset:68 ; 4-byte Folded Reload
	v_ashrrev_i32_e32 v6, v63, v49
	v_lshlrev_b32_e32 v14, 4, v6
	s_waitcnt vmcnt(0)
	v_mad_i64_i32 v[4:5], s[4:5], v4, s8, v[2:3]
	v_add_co_u32_e32 v6, vcc, v4, v46
	v_addc_co_u32_e32 v7, vcc, 0, v5, vcc
	v_add_co_u32_e32 v4, vcc, v4, v48
	v_addc_co_u32_e32 v5, vcc, 0, v5, vcc
	global_load_dword v44, v[6:7], off offset:48
	global_load_dword v45, v[4:5], off offset:16
	v_mad_i64_i32 v[4:5], s[4:5], v90, s8, v[2:3]
	v_add_co_u32_e32 v6, vcc, v4, v46
	v_addc_co_u32_e32 v7, vcc, 0, v5, vcc
	v_add_co_u32_e32 v4, vcc, v4, v48
	v_addc_co_u32_e32 v5, vcc, 0, v5, vcc
	global_load_dword v47, v[6:7], off offset:48
	global_load_dword v49, v[4:5], off offset:16
	v_and_or_b32 v4, v14, s1, v9
	v_lshrrev_b32_e32 v5, 4, v66
	v_ashrrev_i32_e32 v6, v59, v8
	v_ashrrev_i32_e32 v7, v63, v8
	ds_write2_b32 v68, v15, v4 offset1:8
	v_and_b32_e32 v4, 0xf0f0f0f, v66
	v_and_b32_e32 v5, 0xf0f0f0f, v5
	v_lshlrev_b32_e32 v6, 4, v6
	v_lshlrev_b32_e32 v7, 4, v7
	v_and_or_b32 v4, v6, s1, v4
	v_and_or_b32 v5, v7, s1, v5
	ds_write2_b32 v72, v4, v5 offset1:8
	v_lshrrev_b32_e32 v5, 4, v10
	v_ashrrev_i32_e32 v6, v59, v11
	v_ashrrev_i32_e32 v7, v63, v11
	v_and_b32_e32 v4, 0xf0f0f0f, v10
	v_and_b32_e32 v5, 0xf0f0f0f, v5
	v_lshlrev_b32_e32 v6, 4, v6
	v_lshlrev_b32_e32 v7, 4, v7
	v_and_or_b32 v4, v6, s1, v4
	v_and_or_b32 v5, v7, s1, v5
	ds_write2_b32 v76, v4, v5 offset1:8
	v_lshrrev_b32_e32 v5, 4, v12
	v_ashrrev_i32_e32 v6, v59, v13
	v_ashrrev_i32_e32 v7, v63, v13
	;; [unrolled: 10-line block ×3, first 2 shown]
	v_and_b32_e32 v4, 0xf0f0f0f, v67
	v_and_b32_e32 v5, 0xf0f0f0f, v5
	v_lshlrev_b32_e32 v6, 4, v6
	v_lshlrev_b32_e32 v7, 4, v7
	v_and_or_b32 v4, v6, s1, v4
	v_and_or_b32 v5, v7, s1, v5
	ds_write2_b32 v84, v4, v5 offset1:8
	v_mad_i64_i32 v[4:5], s[4:5], v94, s8, v[2:3]
	v_add_co_u32_e32 v6, vcc, v4, v46
	v_addc_co_u32_e32 v7, vcc, 0, v5, vcc
	v_add_co_u32_e32 v4, vcc, v4, v48
	v_addc_co_u32_e32 v5, vcc, 0, v5, vcc
	v_mad_i64_i32 v[8:9], s[4:5], v98, s8, v[2:3]
	v_add_co_u32_e32 v10, vcc, v8, v46
	v_addc_co_u32_e32 v11, vcc, 0, v9, vcc
	v_add_co_u32_e32 v8, vcc, v8, v48
	v_addc_co_u32_e32 v9, vcc, 0, v9, vcc
	global_load_dword v66, v[6:7], off offset:48
	global_load_dword v67, v[4:5], off offset:16
	;; [unrolled: 1-line block ×4, first 2 shown]
	v_mad_i64_i32 v[8:9], s[4:5], v106, s8, v[2:3]
	v_mad_i64_i32 v[12:13], s[4:5], v110, s8, v[2:3]
	s_waitcnt vmcnt(7)
	v_lshrrev_b32_e32 v5, 4, v44
	s_waitcnt vmcnt(6)
	v_ashrrev_i32_e32 v6, v59, v45
	v_ashrrev_i32_e32 v7, v63, v45
	v_and_b32_e32 v4, 0xf0f0f0f, v44
	v_and_b32_e32 v5, 0xf0f0f0f, v5
	v_lshlrev_b32_e32 v6, 4, v6
	v_lshlrev_b32_e32 v7, 4, v7
	v_and_or_b32 v4, v6, s1, v4
	v_and_or_b32 v5, v7, s1, v5
	ds_write2_b32 v88, v4, v5 offset1:8
	s_waitcnt vmcnt(5)
	v_lshrrev_b32_e32 v5, 4, v47
	s_waitcnt vmcnt(4)
	v_ashrrev_i32_e32 v6, v59, v49
	v_ashrrev_i32_e32 v7, v63, v49
	v_and_b32_e32 v4, 0xf0f0f0f, v47
	v_and_b32_e32 v5, 0xf0f0f0f, v5
	v_lshlrev_b32_e32 v6, 4, v6
	v_lshlrev_b32_e32 v7, 4, v7
	v_and_or_b32 v4, v6, s1, v4
	v_and_or_b32 v5, v7, s1, v5
	ds_write2_b32 v92, v4, v5 offset1:8
	v_mad_i64_i32 v[4:5], s[4:5], v102, s8, v[2:3]
	v_add_co_u32_e32 v6, vcc, v4, v46
	v_addc_co_u32_e32 v7, vcc, 0, v5, vcc
	v_add_co_u32_e32 v4, vcc, v4, v48
	v_addc_co_u32_e32 v5, vcc, 0, v5, vcc
	;; [unrolled: 2-line block ×6, first 2 shown]
	v_mad_i64_i32 v[2:3], s[4:5], v114, s8, v[2:3]
	v_add_co_u32_e32 v128, vcc, v2, v46
	v_addc_co_u32_e32 v129, vcc, 0, v3, vcc
	v_add_co_u32_e32 v2, vcc, v2, v48
	v_addc_co_u32_e32 v3, vcc, 0, v3, vcc
	global_load_dword v44, v[6:7], off offset:48
	global_load_dword v45, v[4:5], off offset:16
	global_load_dword v47, v[10:11], off offset:48
	global_load_dword v49, v[8:9], off offset:16
	global_load_dword v132, v[14:15], off offset:48
	global_load_dword v133, v[12:13], off offset:16
	s_nop 0
	global_load_dword v128, v[128:129], off offset:48
	s_nop 0
	global_load_dword v129, v[2:3], off offset:16
	v_mad_i64_i32 v[4:5], s[4:5], v120, s8, v[0:1]
	v_add_co_u32_e32 v6, vcc, 4, v4
	v_addc_co_u32_e32 v7, vcc, 0, v5, vcc
	v_add_co_u32_e32 v4, vcc, v6, v237
	v_addc_co_u32_e32 v5, vcc, 0, v7, vcc
	v_add_co_u32_e32 v6, vcc, v6, v238
	v_mad_i64_i32 v[2:3], s[4:5], v118, s8, v[0:1]
	v_addc_co_u32_e32 v7, vcc, 0, v7, vcc
	v_mad_i64_i32 v[0:1], s[4:5], v122, s8, v[0:1]
	v_add_co_u32_e32 v8, vcc, 4, v0
	v_addc_co_u32_e32 v9, vcc, 0, v1, vcc
	v_add_co_u32_e32 v0, vcc, v8, v237
	v_addc_co_u32_e32 v1, vcc, 0, v9, vcc
	v_add_co_u32_e32 v8, vcc, v8, v238
	v_addc_co_u32_e32 v9, vcc, 0, v9, vcc
	global_load_dword v134, v[2:3], off
	global_load_dword v135, v[4:5], off
	global_load_dword v136, v[6:7], off
	global_load_dword v137, v[0:1], off
	global_load_dword v138, v[8:9], off
	v_add_u32_e32 v14, s17, v71
	v_add_u32_e32 v0, v14, v73
	v_add_u32_e32 v2, v14, v77
	v_add_u32_e32 v4, v14, v83
	v_add_u32_e32 v6, v14, v89
	v_add_u32_e32 v8, v14, v95
	v_mad_i64_i32 v[0:1], s[4:5], v0, 36, v[124:125]
	v_mad_i64_i32 v[2:3], s[4:5], v2, 36, v[124:125]
	;; [unrolled: 1-line block ×5, first 2 shown]
	v_add_u32_e32 v10, v14, v101
	v_add_u32_e32 v12, v14, v107
	;; [unrolled: 1-line block ×3, first 2 shown]
	v_mad_i64_i32 v[10:11], s[4:5], v10, 36, v[124:125]
	v_mad_i64_i32 v[12:13], s[4:5], v12, 36, v[124:125]
	;; [unrolled: 1-line block ×3, first 2 shown]
	global_load_dword v139, v[0:1], off offset:4
	s_nop 0
	global_load_dword v2, v[2:3], off offset:4
	s_nop 0
	;; [unrolled: 2-line block ×3, first 2 shown]
	global_load_dword v4, v[6:7], off offset:4
	global_load_dword v5, v[8:9], off offset:4
	s_nop 0
	global_load_dword v6, v[10:11], off offset:4
	global_load_dword v7, v[12:13], off offset:4
	;; [unrolled: 1-line block ×3, first 2 shown]
	v_mad_u64_u32 v[0:1], s[4:5], v157, 36, s[2:3]
	global_load_dword v0, v[0:1], off
	s_waitcnt vmcnt(25)
	v_lshrrev_b32_e32 v9, 4, v66
	s_waitcnt vmcnt(24)
	v_ashrrev_i32_e32 v10, v59, v67
	v_ashrrev_i32_e32 v11, v63, v67
	v_and_b32_e32 v1, 0xf0f0f0f, v66
	v_and_b32_e32 v9, 0xf0f0f0f, v9
	v_lshlrev_b32_e32 v10, 4, v10
	v_lshlrev_b32_e32 v11, 4, v11
	v_and_or_b32 v1, v10, s1, v1
	v_and_or_b32 v9, v11, s1, v9
	ds_write2_b32 v96, v1, v9 offset1:8
	s_waitcnt vmcnt(23)
	v_lshrrev_b32_e32 v9, 4, v130
	s_waitcnt vmcnt(22)
	v_ashrrev_i32_e32 v10, v59, v131
	v_ashrrev_i32_e32 v11, v63, v131
	v_and_b32_e32 v1, 0xf0f0f0f, v130
	v_and_b32_e32 v9, 0xf0f0f0f, v9
	v_lshlrev_b32_e32 v10, 4, v10
	v_lshlrev_b32_e32 v11, 4, v11
	v_and_or_b32 v1, v10, s1, v1
	v_and_or_b32 v9, v11, s1, v9
	ds_write2_b32 v100, v1, v9 offset1:8
	;; [unrolled: 12-line block ×6, first 2 shown]
	s_waitcnt vmcnt(13)
	ds_write_b32 v61, v134
	s_waitcnt vmcnt(12)
	v_ashrrev_i32_e32 v1, v65, v135
	v_and_b32_e32 v1, 0xf0f0f0f, v1
	s_waitcnt vmcnt(11)
	v_ashrrev_i32_e32 v9, v58, v136
	v_and_or_b32 v1, v9, s9, v1
	ds_write_b32 v239, v1
	s_waitcnt vmcnt(10)
	v_ashrrev_i32_e32 v1, v65, v137
	v_and_b32_e32 v1, 0xf0f0f0f, v1
	s_waitcnt vmcnt(9)
	v_ashrrev_i32_e32 v9, v58, v138
	v_and_or_b32 v1, v9, s9, v1
	ds_write_b32 v240, v1
	s_waitcnt vmcnt(8)
	ds_write_b32 v75, v139
	s_waitcnt vmcnt(7)
	;; [unrolled: 2-line block ×9, first 2 shown]
	ds_write_b32 v69, v0
	s_waitcnt lgkmcnt(0)
	s_barrier
	ds_read_b32 v0, v119
	ds_read_b32 v1, v123 offset:128
	ds_read_b32 v2, v145 offset:256
	ds_read_b32 v3, v193 offset:384
	s_mov_b64 s[4:5], -1
	s_waitcnt lgkmcnt(3)
	v_cvt_f32_f16_e32 v128, v0
	v_cvt_f32_f16_sdwa v130, v0 dst_sel:DWORD dst_unused:UNUSED_PAD src0_sel:WORD_1
	s_waitcnt lgkmcnt(2)
	v_cvt_f32_f16_e32 v132, v1
	v_cvt_f32_f16_sdwa v134, v1 dst_sel:DWORD dst_unused:UNUSED_PAD src0_sel:WORD_1
	;; [unrolled: 3-line block ×4, first 2 shown]
	v_mov_b32_e32 v129, v128
	v_mov_b32_e32 v131, v130
	;; [unrolled: 1-line block ×8, first 2 shown]
.LBB134_6:                              ;   Parent Loop BB134_5 Depth=1
                                        ; =>  This Inner Loop Header: Depth=2
	s_lshl_b32 s18, s19, 1
	s_lshr_b32 s20, s19, 2
	v_or_b32_e32 v0, s18, v55
	s_add_i32 s20, s20, 0xa200
	v_lshlrev_b32_e32 v1, 2, v0
	v_lshrrev_b32_e32 v44, 1, v0
	v_lshlrev_b32_e32 v244, 2, v71
	v_lshlrev_b32_e32 v245, 2, v53
	s_lshl_b32 s19, s19, 3
	ds_read_b128 v[12:15], v1 offset:33280
	ds_read_b128 v[8:11], v1 offset:33296
	;; [unrolled: 1-line block ×4, first 2 shown]
	ds_read_b64 v[224:225], v44 offset:43584
	v_add3_u32 v44, s20, v244, v245
	v_add_u32_e32 v45, s19, v217
	ds_read2_b32 v[194:195], v45 offset1:1
	ds_read2_b32 v[202:203], v45 offset0:2 offset1:3
	ds_read2_b32 v[206:207], v45 offset0:4 offset1:5
	;; [unrolled: 1-line block ×3, first 2 shown]
	ds_read_u16 v47, v44
	ds_read_u8 v66, v44 offset:8
	ds_read_u8 v44, v44 offset:9
	v_lshlrev_b32_e32 v246, 2, v121
	ds_read2_b32 v[190:191], v45 offset0:8 offset1:9
	ds_read2_b32 v[218:219], v45 offset0:10 offset1:11
	ds_read2_b32 v[220:221], v45 offset0:12 offset1:13
	ds_read2_b32 v[222:223], v45 offset0:14 offset1:15
	s_waitcnt lgkmcnt(4)
	v_cvt_f32_ubyte0_e32 v216, v44
	v_add3_u32 v44, s20, v246, v241
	v_add_u32_e32 v45, s19, v234
	v_and_b32_e32 v250, 0xff, v47
	v_lshrrev_b16_e32 v253, 8, v47
	ds_read2_b32 v[164:165], v45 offset1:1
	ds_read2_b32 v[172:173], v45 offset0:2 offset1:3
	ds_read2_b32 v[174:175], v45 offset0:4 offset1:5
	;; [unrolled: 1-line block ×3, first 2 shown]
	ds_read_u16 v47, v44
	ds_read_u8 v67, v44 offset:8
	ds_read_u8 v44, v44 offset:9
	v_lshlrev_b32_e32 v247, 2, v127
	ds_read2_b32 v[160:161], v45 offset0:8 offset1:9
	ds_read2_b32 v[198:199], v45 offset0:10 offset1:11
	;; [unrolled: 1-line block ×4, first 2 shown]
	s_waitcnt lgkmcnt(4)
	v_cvt_f32_ubyte0_e32 v192, v44
	v_add3_u32 v44, s20, v247, v242
	v_add_u32_e32 v45, s19, v235
	v_and_b32_e32 v197, 0xff, v47
	v_cvt_f32_ubyte0_e32 v156, v67
	v_lshrrev_b16_e32 v251, 8, v47
	ds_read2_b32 v[168:169], v45 offset1:1
	ds_read2_b32 v[178:179], v45 offset0:2 offset1:3
	ds_read2_b32 v[180:181], v45 offset0:4 offset1:5
	;; [unrolled: 1-line block ×3, first 2 shown]
	ds_read_u16 v47, v44
	ds_read_u8 v67, v44 offset:8
	ds_read_u8 v44, v44 offset:9
	ds_read2_b32 v[162:163], v45 offset0:8 offset1:9
	ds_read2_b32 v[208:209], v45 offset0:10 offset1:11
	;; [unrolled: 1-line block ×4, first 2 shown]
	v_add_u32_e32 v45, s19, v236
	ds_read2_b32 v[170:171], v45 offset1:1
	ds_read2_b32 v[184:185], v45 offset0:2 offset1:3
	ds_read2_b32 v[186:187], v45 offset0:4 offset1:5
	;; [unrolled: 1-line block ×3, first 2 shown]
	v_mov_b32_e32 v49, 0
	v_mov_b32_e32 v254, 0
	;; [unrolled: 1-line block ×3, first 2 shown]
	s_waitcnt lgkmcnt(10)
	v_and_b32_e32 v249, 0xff, v47
	v_lshrrev_b16_e32 v252, 8, v47
	v_mov_b32_e32 v47, 0
	v_dot4c_i32_i8_e32 v49, v194, v12
	v_dot4c_i32_i8_e32 v254, v164, v12
	;; [unrolled: 1-line block ×3, first 2 shown]
	s_waitcnt lgkmcnt(3)
	v_dot4c_i32_i8_e32 v47, v170, v12
	v_dot4c_i32_i8_e32 v49, v195, v13
	;; [unrolled: 1-line block ×8, first 2 shown]
	s_waitcnt lgkmcnt(2)
	v_dot4c_i32_i8_e32 v47, v184, v14
	v_dot4c_i32_i8_e32 v49, v203, v15
	;; [unrolled: 1-line block ×8, first 2 shown]
	v_lshlrev_b32_e32 v248, 2, v147
	s_waitcnt lgkmcnt(1)
	v_dot4c_i32_i8_e32 v47, v186, v8
	v_dot4c_i32_i8_e32 v49, v207, v9
	;; [unrolled: 1-line block ×4, first 2 shown]
	v_cvt_f32_ubyte0_e32 v196, v44
	v_add3_u32 v44, s20, v248, v243
	v_dot4c_i32_i8_e32 v47, v187, v9
	v_dot4c_i32_i8_e32 v49, v210, v10
	;; [unrolled: 1-line block ×4, first 2 shown]
	s_waitcnt lgkmcnt(0)
	v_dot4c_i32_i8_e32 v47, v188, v10
	ds_read_u16 v8, v44
	ds_read_u8 v9, v44 offset:8
	ds_read_u8 v10, v44 offset:9
	ds_read2_b32 v[154:155], v45 offset0:8 offset1:9
	ds_read2_b32 v[148:149], v45 offset0:10 offset1:11
	;; [unrolled: 1-line block ×4, first 2 shown]
	v_cvt_f32_ubyte0_e32 v166, v66
	v_mov_b32_e32 v66, 0
	v_mov_b32_e32 v62, 0
	;; [unrolled: 1-line block ×4, first 2 shown]
	v_dot4c_i32_i8_e32 v66, v190, v4
	v_dot4c_i32_i8_e32 v62, v160, v4
	v_dot4c_i32_i8_e32 v70, v162, v4
	s_waitcnt lgkmcnt(3)
	v_dot4c_i32_i8_e32 v74, v154, v4
	v_dot4c_i32_i8_e32 v66, v191, v5
	v_dot4c_i32_i8_e32 v62, v161, v5
	v_dot4c_i32_i8_e32 v70, v163, v5
	v_dot4c_i32_i8_e32 v74, v155, v5
	v_dot4c_i32_i8_e32 v66, v218, v6
	v_dot4c_i32_i8_e32 v62, v198, v6
	v_dot4c_i32_i8_e32 v70, v208, v6
	s_waitcnt lgkmcnt(2)
	v_dot4c_i32_i8_e32 v74, v148, v6
	v_dot4c_i32_i8_e32 v66, v219, v7
	v_dot4c_i32_i8_e32 v62, v199, v7
	v_dot4c_i32_i8_e32 v70, v209, v7
	v_dot4c_i32_i8_e32 v74, v149, v7
	;; [unrolled: 9-line block ×3, first 2 shown]
	v_or_b32_e32 v0, s18, v79
	v_dot4c_i32_i8_e32 v66, v222, v2
	v_dot4c_i32_i8_e32 v62, v204, v2
	v_dot4c_i32_i8_e32 v70, v214, v2
	s_waitcnt lgkmcnt(0)
	v_dot4c_i32_i8_e32 v74, v152, v2
	v_lshlrev_b32_e32 v1, 2, v0
	v_dot4c_i32_i8_e32 v49, v211, v11
	v_dot4c_i32_i8_e32 v66, v223, v3
	;; [unrolled: 1-line block ×7, first 2 shown]
	v_and_b32_e32 v167, 0xff, v8
	v_cvt_f32_ubyte0_e32 v146, v9
	v_dot4c_i32_i8_e32 v74, v153, v3
	v_lshrrev_b16_e32 v159, 8, v8
	v_cvt_f32_ubyte0_e32 v144, v10
	v_lshrrev_b32_e32 v44, 1, v0
	ds_read_b128 v[12:15], v1 offset:33280
	ds_read_b128 v[8:11], v1 offset:33296
	;; [unrolled: 1-line block ×4, first 2 shown]
	ds_read_b64 v[228:229], v44 offset:43584
	v_mov_b32_e32 v44, 0
	v_cvt_f32_ubyte0_e32 v158, v67
	s_waitcnt lgkmcnt(4)
	v_dot4c_i32_i8_e32 v44, v194, v12
	v_mov_b32_e32 v67, 0
	v_dot4c_i32_i8_e32 v44, v195, v13
	s_waitcnt lgkmcnt(2)
	v_dot4c_i32_i8_e32 v67, v190, v4
	v_dot4c_i32_i8_e32 v44, v202, v14
	;; [unrolled: 1-line block ×8, first 2 shown]
	s_waitcnt lgkmcnt(1)
	v_dot4c_i32_i8_e32 v67, v220, v0
	v_dot4c_i32_i8_e32 v44, v210, v10
	;; [unrolled: 1-line block ×6, first 2 shown]
	s_waitcnt lgkmcnt(0)
	v_cvt_f32_f16_sdwa v233, v228 dst_sel:DWORD dst_unused:UNUSED_PAD src0_sel:WORD_1
	v_cvt_f32_f16_sdwa v232, v224 dst_sel:DWORD dst_unused:UNUSED_PAD src0_sel:WORD_1
	v_mul_lo_u32 v45, v49, v250
	v_mul_lo_u32 v44, v44, v250
	v_cvt_f32_f16_e32 v231, v228
	v_cvt_f32_f16_e32 v230, v224
	v_cvt_f32_f16_e32 v227, v229
	v_cvt_f32_f16_e32 v226, v225
	v_cvt_f32_f16_sdwa v229, v229 dst_sel:DWORD dst_unused:UNUSED_PAD src0_sel:WORD_1
	v_cvt_f32_f16_sdwa v228, v225 dst_sel:DWORD dst_unused:UNUSED_PAD src0_sel:WORD_1
	v_cvt_f32_i32_e32 v225, v44
	v_cvt_f32_i32_e32 v224, v45
	v_mul_lo_u32 v49, v66, v253
	v_mul_lo_u32 v66, v67, v253
	v_cvt_f32_i32_e32 v67, v66
	v_cvt_f32_i32_e32 v66, v49
	v_pk_fma_f32 v[44:45], v[166:167], v[232:233], 0 op_sel_hi:[0,1,0]
	v_pk_fma_f32 v[224:225], v[230:231], v[224:225], 0 op_sel_hi:[1,1,0]
	;; [unrolled: 1-line block ×3, first 2 shown]
	v_pk_fma_f32 v[66:67], v[226:227], v[66:67], v[224:225]
	v_pk_mul_f32 v[44:45], v[44:45], v[130:131]
	v_pk_fma_f32 v[44:45], v[66:67], v[128:129], v[44:45] neg_lo:[0,0,1] neg_hi:[0,0,1]
	v_pk_add_f32 v[56:57], v[56:57], v[44:45]
	v_mov_b32_e32 v44, 0
	v_dot4c_i32_i8_e32 v44, v164, v12
	v_mov_b32_e32 v49, 0
	v_dot4c_i32_i8_e32 v44, v165, v13
	v_dot4c_i32_i8_e32 v49, v160, v4
	;; [unrolled: 1-line block ×15, first 2 shown]
	v_mul_lo_u32 v66, v254, v197
	v_mul_lo_u32 v44, v44, v197
	v_cvt_f32_i32_e32 v45, v44
	v_cvt_f32_i32_e32 v44, v66
	v_mul_lo_u32 v62, v62, v251
	v_mul_lo_u32 v49, v49, v251
	v_cvt_f32_i32_e32 v225, v49
	v_cvt_f32_i32_e32 v224, v62
	v_pk_fma_f32 v[66:67], v[156:157], v[232:233], 0 op_sel_hi:[0,1,0]
	v_pk_fma_f32 v[44:45], v[230:231], v[44:45], 0 op_sel_hi:[1,1,0]
	;; [unrolled: 1-line block ×3, first 2 shown]
	v_pk_fma_f32 v[44:45], v[226:227], v[224:225], v[44:45]
	v_pk_mul_f32 v[66:67], v[66:67], v[134:135]
	v_pk_fma_f32 v[44:45], v[44:45], v[132:133], v[66:67] neg_lo:[0,0,1] neg_hi:[0,0,1]
	v_pk_add_f32 v[50:51], v[50:51], v[44:45]
	v_mov_b32_e32 v44, 0
	v_dot4c_i32_i8_e32 v44, v168, v12
	v_mov_b32_e32 v49, 0
	v_dot4c_i32_i8_e32 v44, v169, v13
	v_dot4c_i32_i8_e32 v49, v162, v4
	;; [unrolled: 1-line block ×15, first 2 shown]
	v_mul_lo_u32 v62, v255, v249
	v_mul_lo_u32 v44, v44, v249
	v_cvt_f32_i32_e32 v45, v44
	v_cvt_f32_i32_e32 v44, v62
	v_mul_lo_u32 v62, v70, v252
	v_mul_lo_u32 v49, v49, v252
	v_cvt_f32_i32_e32 v225, v49
	v_cvt_f32_i32_e32 v224, v62
	v_pk_fma_f32 v[66:67], v[158:159], v[232:233], 0 op_sel_hi:[0,1,0]
	v_pk_fma_f32 v[44:45], v[230:231], v[44:45], 0 op_sel_hi:[1,1,0]
	;; [unrolled: 1-line block ×3, first 2 shown]
	v_pk_fma_f32 v[44:45], v[226:227], v[224:225], v[44:45]
	v_pk_mul_f32 v[66:67], v[66:67], v[138:139]
	v_pk_fma_f32 v[44:45], v[44:45], v[136:137], v[66:67] neg_lo:[0,0,1] neg_hi:[0,0,1]
	v_pk_add_f32 v[42:43], v[42:43], v[44:45]
	v_mov_b32_e32 v44, 0
	v_dot4c_i32_i8_e32 v44, v170, v12
	v_dot4c_i32_i8_e32 v44, v171, v13
	;; [unrolled: 1-line block ×5, first 2 shown]
	v_mov_b32_e32 v8, 0
	v_dot4c_i32_i8_e32 v8, v154, v4
	v_dot4c_i32_i8_e32 v8, v155, v5
	v_dot4c_i32_i8_e32 v8, v148, v6
	v_dot4c_i32_i8_e32 v8, v149, v7
	v_dot4c_i32_i8_e32 v44, v187, v9
	v_dot4c_i32_i8_e32 v8, v150, v0
	v_dot4c_i32_i8_e32 v44, v188, v10
	v_dot4c_i32_i8_e32 v8, v151, v1
	v_dot4c_i32_i8_e32 v44, v189, v11
	v_dot4c_i32_i8_e32 v8, v152, v2
	v_dot4c_i32_i8_e32 v8, v153, v3
	v_mul_lo_u32 v0, v47, v167
	v_mul_lo_u32 v1, v44, v167
	v_cvt_f32_i32_e32 v1, v1
	v_cvt_f32_i32_e32 v0, v0
	v_mul_lo_u32 v4, v74, v159
	v_mul_lo_u32 v5, v8, v159
	v_cvt_f32_i32_e32 v5, v5
	v_cvt_f32_i32_e32 v4, v4
	v_pk_fma_f32 v[2:3], v[146:147], v[232:233], 0 op_sel_hi:[0,1,0]
	v_pk_fma_f32 v[0:1], v[230:231], v[0:1], 0 op_sel_hi:[1,1,0]
	;; [unrolled: 1-line block ×3, first 2 shown]
	v_pk_fma_f32 v[0:1], v[226:227], v[4:5], v[0:1]
	v_pk_mul_f32 v[2:3], v[2:3], v[142:143]
	v_pk_fma_f32 v[0:1], v[0:1], v[140:141], v[2:3] neg_lo:[0,0,1] neg_hi:[0,0,1]
	v_pk_add_f32 v[40:41], v[40:41], v[0:1]
	v_or_b32_e32 v0, s18, v85
	v_lshlrev_b32_e32 v1, 2, v0
	v_lshrrev_b32_e32 v44, 1, v0
	ds_read_b128 v[12:15], v1 offset:33280
	ds_read_b128 v[8:11], v1 offset:33296
	;; [unrolled: 1-line block ×4, first 2 shown]
	ds_read_b64 v[224:225], v44 offset:43584
	v_mov_b32_e32 v47, 0
	v_mov_b32_e32 v49, 0
	;; [unrolled: 1-line block ×8, first 2 shown]
	s_waitcnt lgkmcnt(4)
	v_dot4c_i32_i8_e32 v47, v194, v12
	s_waitcnt lgkmcnt(2)
	v_dot4c_i32_i8_e32 v49, v190, v4
	v_dot4c_i32_i8_e32 v62, v164, v12
	v_dot4c_i32_i8_e32 v70, v160, v4
	v_dot4c_i32_i8_e32 v74, v168, v12
	v_dot4c_i32_i8_e32 v254, v162, v4
	v_dot4c_i32_i8_e32 v255, v170, v12
	v_dot4c_i32_i8_e32 v78, v154, v4
	v_dot4c_i32_i8_e32 v47, v195, v13
	v_dot4c_i32_i8_e32 v49, v191, v5
	v_dot4c_i32_i8_e32 v62, v165, v13
	v_dot4c_i32_i8_e32 v70, v161, v5
	v_dot4c_i32_i8_e32 v74, v169, v13
	v_dot4c_i32_i8_e32 v254, v163, v5
	v_dot4c_i32_i8_e32 v255, v171, v13
	v_dot4c_i32_i8_e32 v78, v155, v5
	v_dot4c_i32_i8_e32 v47, v202, v14
	v_dot4c_i32_i8_e32 v49, v218, v6
	v_dot4c_i32_i8_e32 v62, v172, v14
	v_dot4c_i32_i8_e32 v70, v198, v6
	v_dot4c_i32_i8_e32 v74, v178, v14
	v_dot4c_i32_i8_e32 v254, v208, v6
	v_dot4c_i32_i8_e32 v255, v184, v14
	v_dot4c_i32_i8_e32 v78, v148, v6
	v_dot4c_i32_i8_e32 v47, v203, v15
	v_dot4c_i32_i8_e32 v49, v219, v7
	v_dot4c_i32_i8_e32 v62, v173, v15
	v_dot4c_i32_i8_e32 v70, v199, v7
	v_dot4c_i32_i8_e32 v74, v179, v15
	v_dot4c_i32_i8_e32 v254, v209, v7
	v_dot4c_i32_i8_e32 v255, v185, v15
	v_dot4c_i32_i8_e32 v78, v149, v7
	v_dot4c_i32_i8_e32 v47, v206, v8
	s_waitcnt lgkmcnt(1)
	v_dot4c_i32_i8_e32 v49, v220, v0
	v_dot4c_i32_i8_e32 v62, v174, v8
	;; [unrolled: 1-line block ×15, first 2 shown]
	v_or_b32_e32 v0, s18, v91
	v_dot4c_i32_i8_e32 v47, v210, v10
	v_dot4c_i32_i8_e32 v49, v222, v2
	;; [unrolled: 1-line block ×8, first 2 shown]
	v_lshlrev_b32_e32 v1, 2, v0
	v_lshrrev_b32_e32 v44, 1, v0
	v_dot4c_i32_i8_e32 v47, v211, v11
	v_dot4c_i32_i8_e32 v49, v223, v3
	;; [unrolled: 1-line block ×8, first 2 shown]
	ds_read_b128 v[12:15], v1 offset:33280
	ds_read_b128 v[8:11], v1 offset:33296
	;; [unrolled: 1-line block ×4, first 2 shown]
	ds_read_b64 v[44:45], v44 offset:43584
	v_mov_b32_e32 v66, 0
	s_waitcnt lgkmcnt(4)
	v_dot4c_i32_i8_e32 v66, v194, v12
	v_mov_b32_e32 v82, 0
	v_dot4c_i32_i8_e32 v66, v195, v13
	s_waitcnt lgkmcnt(2)
	v_dot4c_i32_i8_e32 v82, v190, v4
	v_dot4c_i32_i8_e32 v66, v202, v14
	;; [unrolled: 1-line block ×8, first 2 shown]
	s_waitcnt lgkmcnt(1)
	v_dot4c_i32_i8_e32 v82, v220, v0
	v_dot4c_i32_i8_e32 v66, v210, v10
	;; [unrolled: 1-line block ×6, first 2 shown]
	s_waitcnt lgkmcnt(0)
	v_cvt_f32_f16_e32 v231, v44
	v_cvt_f32_f16_sdwa v233, v44 dst_sel:DWORD dst_unused:UNUSED_PAD src0_sel:WORD_1
	v_cvt_f32_f16_sdwa v232, v224 dst_sel:DWORD dst_unused:UNUSED_PAD src0_sel:WORD_1
	v_cvt_f32_f16_e32 v227, v45
	v_cvt_f32_f16_sdwa v229, v45 dst_sel:DWORD dst_unused:UNUSED_PAD src0_sel:WORD_1
	v_mul_lo_u32 v44, v47, v250
	v_mul_lo_u32 v45, v66, v250
	v_cvt_f32_f16_e32 v230, v224
	v_cvt_f32_f16_sdwa v228, v225 dst_sel:DWORD dst_unused:UNUSED_PAD src0_sel:WORD_1
	v_cvt_f32_i32_e32 v45, v45
	v_cvt_f32_i32_e32 v44, v44
	v_mul_lo_u32 v47, v49, v253
	v_mul_lo_u32 v49, v82, v253
	v_cvt_f32_f16_e32 v226, v225
	v_cvt_f32_i32_e32 v225, v49
	v_cvt_f32_i32_e32 v224, v47
	v_pk_fma_f32 v[66:67], v[166:167], v[232:233], 0 op_sel_hi:[0,1,0]
	v_pk_fma_f32 v[44:45], v[44:45], v[230:231], 0 op_sel_hi:[1,1,0]
	;; [unrolled: 1-line block ×3, first 2 shown]
	v_pk_fma_f32 v[44:45], v[224:225], v[226:227], v[44:45]
	v_pk_mul_f32 v[66:67], v[66:67], v[130:131]
	v_pk_fma_f32 v[44:45], v[44:45], v[128:129], v[66:67] neg_lo:[0,0,1] neg_hi:[0,0,1]
	v_pk_add_f32 v[38:39], v[38:39], v[44:45]
	v_mov_b32_e32 v44, 0
	v_dot4c_i32_i8_e32 v44, v164, v12
	v_mov_b32_e32 v47, 0
	v_dot4c_i32_i8_e32 v44, v165, v13
	v_dot4c_i32_i8_e32 v47, v160, v4
	;; [unrolled: 1-line block ×15, first 2 shown]
	v_mul_lo_u32 v49, v62, v197
	v_mul_lo_u32 v44, v44, v197
	v_cvt_f32_i32_e32 v45, v44
	v_cvt_f32_i32_e32 v44, v49
	v_mul_lo_u32 v49, v70, v251
	v_mul_lo_u32 v47, v47, v251
	v_cvt_f32_i32_e32 v225, v47
	v_cvt_f32_i32_e32 v224, v49
	v_pk_fma_f32 v[66:67], v[156:157], v[232:233], 0 op_sel_hi:[0,1,0]
	v_pk_fma_f32 v[44:45], v[44:45], v[230:231], 0 op_sel_hi:[1,1,0]
	;; [unrolled: 1-line block ×3, first 2 shown]
	v_pk_fma_f32 v[44:45], v[224:225], v[226:227], v[44:45]
	v_pk_mul_f32 v[66:67], v[66:67], v[134:135]
	v_pk_fma_f32 v[44:45], v[44:45], v[132:133], v[66:67] neg_lo:[0,0,1] neg_hi:[0,0,1]
	v_pk_add_f32 v[36:37], v[36:37], v[44:45]
	v_mov_b32_e32 v44, 0
	v_dot4c_i32_i8_e32 v44, v168, v12
	v_mov_b32_e32 v47, 0
	v_dot4c_i32_i8_e32 v44, v169, v13
	v_dot4c_i32_i8_e32 v47, v162, v4
	;; [unrolled: 1-line block ×15, first 2 shown]
	v_mul_lo_u32 v49, v74, v249
	v_mul_lo_u32 v44, v44, v249
	v_cvt_f32_i32_e32 v45, v44
	v_cvt_f32_i32_e32 v44, v49
	v_mul_lo_u32 v49, v254, v252
	v_mul_lo_u32 v47, v47, v252
	v_cvt_f32_i32_e32 v225, v47
	v_cvt_f32_i32_e32 v224, v49
	v_pk_fma_f32 v[66:67], v[158:159], v[232:233], 0 op_sel_hi:[0,1,0]
	v_pk_fma_f32 v[44:45], v[44:45], v[230:231], 0 op_sel_hi:[1,1,0]
	;; [unrolled: 1-line block ×3, first 2 shown]
	v_pk_fma_f32 v[44:45], v[224:225], v[226:227], v[44:45]
	v_pk_mul_f32 v[66:67], v[66:67], v[138:139]
	v_pk_fma_f32 v[44:45], v[44:45], v[136:137], v[66:67] neg_lo:[0,0,1] neg_hi:[0,0,1]
	v_pk_add_f32 v[34:35], v[34:35], v[44:45]
	v_mov_b32_e32 v44, 0
	v_dot4c_i32_i8_e32 v44, v170, v12
	v_dot4c_i32_i8_e32 v44, v171, v13
	;; [unrolled: 1-line block ×5, first 2 shown]
	v_mov_b32_e32 v8, 0
	v_dot4c_i32_i8_e32 v8, v154, v4
	v_dot4c_i32_i8_e32 v8, v155, v5
	;; [unrolled: 1-line block ×11, first 2 shown]
	v_mul_lo_u32 v0, v255, v167
	v_mul_lo_u32 v1, v44, v167
	v_cvt_f32_i32_e32 v1, v1
	v_cvt_f32_i32_e32 v0, v0
	v_mul_lo_u32 v4, v78, v159
	v_mul_lo_u32 v5, v8, v159
	v_cvt_f32_i32_e32 v5, v5
	v_cvt_f32_i32_e32 v4, v4
	v_pk_fma_f32 v[2:3], v[146:147], v[232:233], 0 op_sel_hi:[0,1,0]
	v_pk_fma_f32 v[0:1], v[0:1], v[230:231], 0 op_sel_hi:[1,1,0]
	;; [unrolled: 1-line block ×3, first 2 shown]
	v_pk_fma_f32 v[0:1], v[4:5], v[226:227], v[0:1]
	v_pk_mul_f32 v[2:3], v[2:3], v[142:143]
	v_pk_fma_f32 v[0:1], v[0:1], v[140:141], v[2:3] neg_lo:[0,0,1] neg_hi:[0,0,1]
	v_pk_add_f32 v[32:33], v[32:33], v[0:1]
	v_or_b32_e32 v0, s18, v97
	v_lshlrev_b32_e32 v1, 2, v0
	v_lshrrev_b32_e32 v44, 1, v0
	ds_read_b128 v[12:15], v1 offset:33280
	ds_read_b128 v[8:11], v1 offset:33296
	;; [unrolled: 1-line block ×4, first 2 shown]
	ds_read_b64 v[224:225], v44 offset:43584
	v_mov_b32_e32 v47, 0
	v_mov_b32_e32 v49, 0
	;; [unrolled: 1-line block ×8, first 2 shown]
	s_waitcnt lgkmcnt(4)
	v_dot4c_i32_i8_e32 v47, v194, v12
	s_waitcnt lgkmcnt(2)
	v_dot4c_i32_i8_e32 v49, v190, v4
	v_dot4c_i32_i8_e32 v62, v164, v12
	;; [unrolled: 1-line block ×32, first 2 shown]
	s_waitcnt lgkmcnt(1)
	v_dot4c_i32_i8_e32 v49, v220, v0
	v_dot4c_i32_i8_e32 v62, v174, v8
	;; [unrolled: 1-line block ×15, first 2 shown]
	v_or_b32_e32 v0, s18, v103
	v_dot4c_i32_i8_e32 v47, v210, v10
	v_dot4c_i32_i8_e32 v49, v222, v2
	;; [unrolled: 1-line block ×8, first 2 shown]
	v_lshlrev_b32_e32 v1, 2, v0
	v_lshrrev_b32_e32 v44, 1, v0
	v_dot4c_i32_i8_e32 v47, v211, v11
	v_dot4c_i32_i8_e32 v49, v223, v3
	;; [unrolled: 1-line block ×8, first 2 shown]
	ds_read_b128 v[12:15], v1 offset:33280
	ds_read_b128 v[8:11], v1 offset:33296
	;; [unrolled: 1-line block ×4, first 2 shown]
	ds_read_b64 v[44:45], v44 offset:43584
	v_mov_b32_e32 v66, 0
	s_waitcnt lgkmcnt(4)
	v_dot4c_i32_i8_e32 v66, v194, v12
	v_mov_b32_e32 v255, 0
	v_dot4c_i32_i8_e32 v66, v195, v13
	s_waitcnt lgkmcnt(2)
	v_dot4c_i32_i8_e32 v255, v190, v4
	v_dot4c_i32_i8_e32 v66, v202, v14
	;; [unrolled: 1-line block ×8, first 2 shown]
	s_waitcnt lgkmcnt(1)
	v_dot4c_i32_i8_e32 v255, v220, v0
	v_dot4c_i32_i8_e32 v66, v210, v10
	;; [unrolled: 1-line block ×6, first 2 shown]
	s_waitcnt lgkmcnt(0)
	v_cvt_f32_f16_e32 v231, v44
	v_cvt_f32_f16_sdwa v233, v44 dst_sel:DWORD dst_unused:UNUSED_PAD src0_sel:WORD_1
	v_cvt_f32_f16_sdwa v232, v224 dst_sel:DWORD dst_unused:UNUSED_PAD src0_sel:WORD_1
	v_cvt_f32_f16_e32 v227, v45
	v_cvt_f32_f16_sdwa v229, v45 dst_sel:DWORD dst_unused:UNUSED_PAD src0_sel:WORD_1
	v_mul_lo_u32 v44, v47, v250
	v_mul_lo_u32 v45, v66, v250
	v_cvt_f32_f16_e32 v230, v224
	v_cvt_f32_f16_sdwa v228, v225 dst_sel:DWORD dst_unused:UNUSED_PAD src0_sel:WORD_1
	v_cvt_f32_i32_e32 v45, v45
	v_cvt_f32_i32_e32 v44, v44
	v_mul_lo_u32 v47, v49, v253
	v_mul_lo_u32 v49, v255, v253
	v_cvt_f32_f16_e32 v226, v225
	v_cvt_f32_i32_e32 v225, v49
	v_cvt_f32_i32_e32 v224, v47
	v_pk_fma_f32 v[66:67], v[166:167], v[232:233], 0 op_sel_hi:[0,1,0]
	v_pk_fma_f32 v[44:45], v[44:45], v[230:231], 0 op_sel_hi:[1,1,0]
	;; [unrolled: 1-line block ×3, first 2 shown]
	v_pk_fma_f32 v[44:45], v[224:225], v[226:227], v[44:45]
	v_pk_mul_f32 v[66:67], v[66:67], v[130:131]
	v_pk_fma_f32 v[44:45], v[44:45], v[128:129], v[66:67] neg_lo:[0,0,1] neg_hi:[0,0,1]
	v_pk_add_f32 v[30:31], v[30:31], v[44:45]
	v_mov_b32_e32 v44, 0
	v_dot4c_i32_i8_e32 v44, v164, v12
	v_mov_b32_e32 v47, 0
	v_dot4c_i32_i8_e32 v44, v165, v13
	v_dot4c_i32_i8_e32 v47, v160, v4
	;; [unrolled: 1-line block ×15, first 2 shown]
	v_mul_lo_u32 v49, v62, v197
	v_mul_lo_u32 v44, v44, v197
	v_cvt_f32_i32_e32 v45, v44
	v_cvt_f32_i32_e32 v44, v49
	v_mul_lo_u32 v49, v70, v251
	v_mul_lo_u32 v47, v47, v251
	v_cvt_f32_i32_e32 v225, v47
	v_cvt_f32_i32_e32 v224, v49
	v_pk_fma_f32 v[66:67], v[156:157], v[232:233], 0 op_sel_hi:[0,1,0]
	v_pk_fma_f32 v[44:45], v[44:45], v[230:231], 0 op_sel_hi:[1,1,0]
	;; [unrolled: 1-line block ×3, first 2 shown]
	v_pk_fma_f32 v[44:45], v[224:225], v[226:227], v[44:45]
	v_pk_mul_f32 v[66:67], v[66:67], v[134:135]
	v_pk_fma_f32 v[44:45], v[44:45], v[132:133], v[66:67] neg_lo:[0,0,1] neg_hi:[0,0,1]
	v_pk_add_f32 v[28:29], v[28:29], v[44:45]
	v_mov_b32_e32 v44, 0
	v_dot4c_i32_i8_e32 v44, v168, v12
	v_mov_b32_e32 v47, 0
	v_dot4c_i32_i8_e32 v44, v169, v13
	v_dot4c_i32_i8_e32 v47, v162, v4
	;; [unrolled: 1-line block ×15, first 2 shown]
	v_mul_lo_u32 v49, v74, v249
	v_mul_lo_u32 v44, v44, v249
	v_cvt_f32_i32_e32 v45, v44
	v_cvt_f32_i32_e32 v44, v49
	v_mul_lo_u32 v49, v78, v252
	v_mul_lo_u32 v47, v47, v252
	v_cvt_f32_i32_e32 v225, v47
	v_cvt_f32_i32_e32 v224, v49
	v_pk_fma_f32 v[66:67], v[158:159], v[232:233], 0 op_sel_hi:[0,1,0]
	v_pk_fma_f32 v[44:45], v[44:45], v[230:231], 0 op_sel_hi:[1,1,0]
	v_pk_fma_f32 v[66:67], v[196:197], v[228:229], v[66:67] op_sel_hi:[0,1,1]
	v_pk_fma_f32 v[44:45], v[224:225], v[226:227], v[44:45]
	v_pk_mul_f32 v[66:67], v[66:67], v[138:139]
	v_pk_fma_f32 v[44:45], v[44:45], v[136:137], v[66:67] neg_lo:[0,0,1] neg_hi:[0,0,1]
	v_pk_add_f32 v[26:27], v[26:27], v[44:45]
	v_mov_b32_e32 v44, 0
	v_dot4c_i32_i8_e32 v44, v170, v12
	v_dot4c_i32_i8_e32 v44, v171, v13
	v_dot4c_i32_i8_e32 v44, v184, v14
	v_dot4c_i32_i8_e32 v44, v185, v15
	v_dot4c_i32_i8_e32 v44, v186, v8
	v_mov_b32_e32 v8, 0
	v_dot4c_i32_i8_e32 v8, v154, v4
	v_dot4c_i32_i8_e32 v8, v155, v5
	;; [unrolled: 1-line block ×11, first 2 shown]
	v_mul_lo_u32 v0, v82, v167
	v_mul_lo_u32 v1, v44, v167
	v_cvt_f32_i32_e32 v1, v1
	v_cvt_f32_i32_e32 v0, v0
	v_mul_lo_u32 v4, v254, v159
	v_mul_lo_u32 v5, v8, v159
	v_cvt_f32_i32_e32 v5, v5
	v_cvt_f32_i32_e32 v4, v4
	v_pk_fma_f32 v[2:3], v[146:147], v[232:233], 0 op_sel_hi:[0,1,0]
	v_pk_fma_f32 v[0:1], v[0:1], v[230:231], 0 op_sel_hi:[1,1,0]
	;; [unrolled: 1-line block ×3, first 2 shown]
	v_pk_fma_f32 v[0:1], v[4:5], v[226:227], v[0:1]
	v_pk_mul_f32 v[2:3], v[2:3], v[142:143]
	v_pk_fma_f32 v[0:1], v[0:1], v[140:141], v[2:3] neg_lo:[0,0,1] neg_hi:[0,0,1]
	v_pk_add_f32 v[24:25], v[24:25], v[0:1]
	v_or_b32_e32 v0, s18, v109
	v_lshlrev_b32_e32 v1, 2, v0
	v_lshrrev_b32_e32 v44, 1, v0
	ds_read_b128 v[12:15], v1 offset:33280
	ds_read_b128 v[8:11], v1 offset:33296
	;; [unrolled: 1-line block ×4, first 2 shown]
	ds_read_b64 v[224:225], v44 offset:43584
	v_mov_b32_e32 v47, 0
	v_mov_b32_e32 v49, 0
	;; [unrolled: 1-line block ×8, first 2 shown]
	s_waitcnt lgkmcnt(4)
	v_dot4c_i32_i8_e32 v47, v194, v12
	s_waitcnt lgkmcnt(2)
	v_dot4c_i32_i8_e32 v49, v190, v4
	v_dot4c_i32_i8_e32 v62, v164, v12
	;; [unrolled: 1-line block ×32, first 2 shown]
	s_waitcnt lgkmcnt(1)
	v_dot4c_i32_i8_e32 v49, v220, v0
	v_dot4c_i32_i8_e32 v62, v174, v8
	;; [unrolled: 1-line block ×15, first 2 shown]
	v_or_b32_e32 v0, s18, v115
	v_dot4c_i32_i8_e32 v47, v210, v10
	v_dot4c_i32_i8_e32 v49, v222, v2
	;; [unrolled: 1-line block ×8, first 2 shown]
	v_lshlrev_b32_e32 v1, 2, v0
	v_lshrrev_b32_e32 v44, 1, v0
	v_dot4c_i32_i8_e32 v47, v211, v11
	v_dot4c_i32_i8_e32 v49, v223, v3
	v_dot4c_i32_i8_e32 v62, v177, v11
	v_dot4c_i32_i8_e32 v70, v205, v3
	v_dot4c_i32_i8_e32 v74, v183, v11
	v_dot4c_i32_i8_e32 v78, v215, v3
	v_dot4c_i32_i8_e32 v227, v189, v11
	v_dot4c_i32_i8_e32 v226, v153, v3
	ds_read_b128 v[12:15], v1 offset:33280
	ds_read_b128 v[8:11], v1 offset:33296
	;; [unrolled: 1-line block ×4, first 2 shown]
	ds_read_b64 v[44:45], v44 offset:43584
	v_mov_b32_e32 v66, 0
	s_waitcnt lgkmcnt(4)
	v_dot4c_i32_i8_e32 v66, v194, v12
	v_mov_b32_e32 v82, 0
	v_dot4c_i32_i8_e32 v66, v195, v13
	s_waitcnt lgkmcnt(2)
	v_dot4c_i32_i8_e32 v82, v190, v4
	v_dot4c_i32_i8_e32 v66, v202, v14
	v_dot4c_i32_i8_e32 v82, v191, v5
	v_dot4c_i32_i8_e32 v66, v203, v15
	v_dot4c_i32_i8_e32 v82, v218, v6
	v_dot4c_i32_i8_e32 v66, v206, v8
	v_dot4c_i32_i8_e32 v82, v219, v7
	v_dot4c_i32_i8_e32 v66, v207, v9
	s_waitcnt lgkmcnt(1)
	v_dot4c_i32_i8_e32 v82, v220, v0
	v_dot4c_i32_i8_e32 v66, v210, v10
	;; [unrolled: 1-line block ×6, first 2 shown]
	s_waitcnt lgkmcnt(0)
	v_cvt_f32_f16_e32 v207, v44
	v_cvt_f32_f16_sdwa v203, v44 dst_sel:DWORD dst_unused:UNUSED_PAD src0_sel:WORD_1
	v_cvt_f32_f16_sdwa v202, v224 dst_sel:DWORD dst_unused:UNUSED_PAD src0_sel:WORD_1
	v_cvt_f32_f16_e32 v195, v45
	v_cvt_f32_f16_sdwa v191, v45 dst_sel:DWORD dst_unused:UNUSED_PAD src0_sel:WORD_1
	v_mul_lo_u32 v44, v47, v250
	v_mul_lo_u32 v45, v66, v250
	v_cvt_f32_f16_e32 v206, v224
	v_cvt_f32_f16_sdwa v190, v225 dst_sel:DWORD dst_unused:UNUSED_PAD src0_sel:WORD_1
	v_cvt_f32_i32_e32 v45, v45
	v_cvt_f32_i32_e32 v44, v44
	v_mul_lo_u32 v47, v49, v253
	v_mul_lo_u32 v49, v82, v253
	v_cvt_f32_f16_e32 v194, v225
	v_cvt_f32_i32_e32 v211, v49
	v_cvt_f32_i32_e32 v210, v47
	v_pk_fma_f32 v[66:67], v[166:167], v[202:203], 0 op_sel_hi:[0,1,0]
	v_pk_fma_f32 v[44:45], v[44:45], v[206:207], 0 op_sel_hi:[1,1,0]
	;; [unrolled: 1-line block ×3, first 2 shown]
	v_pk_fma_f32 v[44:45], v[210:211], v[194:195], v[44:45]
	v_pk_mul_f32 v[66:67], v[66:67], v[130:131]
	v_pk_fma_f32 v[44:45], v[44:45], v[128:129], v[66:67] neg_lo:[0,0,1] neg_hi:[0,0,1]
	v_pk_add_f32 v[22:23], v[22:23], v[44:45]
	v_mov_b32_e32 v44, 0
	v_dot4c_i32_i8_e32 v44, v164, v12
	v_mov_b32_e32 v47, 0
	v_dot4c_i32_i8_e32 v44, v165, v13
	v_dot4c_i32_i8_e32 v47, v160, v4
	;; [unrolled: 1-line block ×15, first 2 shown]
	v_mul_lo_u32 v49, v62, v197
	v_mul_lo_u32 v44, v44, v197
	v_cvt_f32_i32_e32 v45, v44
	v_cvt_f32_i32_e32 v44, v49
	v_mul_lo_u32 v49, v70, v251
	v_mul_lo_u32 v47, v47, v251
	v_cvt_f32_i32_e32 v161, v47
	v_cvt_f32_i32_e32 v160, v49
	v_pk_fma_f32 v[66:67], v[156:157], v[202:203], 0 op_sel_hi:[0,1,0]
	v_pk_fma_f32 v[44:45], v[44:45], v[206:207], 0 op_sel_hi:[1,1,0]
	v_pk_fma_f32 v[66:67], v[192:193], v[190:191], v[66:67] op_sel_hi:[0,1,1]
	v_pk_fma_f32 v[44:45], v[160:161], v[194:195], v[44:45]
	v_pk_mul_f32 v[66:67], v[66:67], v[134:135]
	v_pk_fma_f32 v[44:45], v[44:45], v[132:133], v[66:67] neg_lo:[0,0,1] neg_hi:[0,0,1]
	v_pk_add_f32 v[20:21], v[20:21], v[44:45]
	v_mov_b32_e32 v44, 0
	v_mov_b32_e32 v156, 0
	v_dot4c_i32_i8_e32 v44, v168, v12
	v_dot4c_i32_i8_e32 v156, v170, v12
	;; [unrolled: 1-line block ×9, first 2 shown]
	v_mov_b32_e32 v47, 0
	v_dot4c_i32_i8_e32 v156, v186, v8
	v_mov_b32_e32 v8, 0
	v_dot4c_i32_i8_e32 v47, v162, v4
	v_dot4c_i32_i8_e32 v8, v154, v4
	v_dot4c_i32_i8_e32 v47, v163, v5
	v_dot4c_i32_i8_e32 v8, v155, v5
	v_dot4c_i32_i8_e32 v47, v208, v6
	v_dot4c_i32_i8_e32 v8, v148, v6
	v_dot4c_i32_i8_e32 v47, v209, v7
	v_dot4c_i32_i8_e32 v8, v149, v7
	v_dot4c_i32_i8_e32 v44, v181, v9
	v_dot4c_i32_i8_e32 v47, v212, v0
	v_dot4c_i32_i8_e32 v156, v187, v9
	v_dot4c_i32_i8_e32 v8, v150, v0
	v_dot4c_i32_i8_e32 v44, v182, v10
	v_dot4c_i32_i8_e32 v47, v213, v1
	v_dot4c_i32_i8_e32 v156, v188, v10
	v_dot4c_i32_i8_e32 v8, v151, v1
	v_dot4c_i32_i8_e32 v44, v183, v11
	v_dot4c_i32_i8_e32 v47, v214, v2
	v_dot4c_i32_i8_e32 v156, v189, v11
	v_dot4c_i32_i8_e32 v8, v152, v2
	v_dot4c_i32_i8_e32 v47, v215, v3
	v_mul_lo_u32 v49, v74, v249
	v_mul_lo_u32 v44, v44, v249
	v_dot4c_i32_i8_e32 v8, v153, v3
	v_mul_lo_u32 v0, v227, v167
	v_mul_lo_u32 v1, v156, v167
	v_cvt_f32_i32_e32 v45, v44
	v_cvt_f32_i32_e32 v44, v49
	v_mul_lo_u32 v49, v78, v252
	v_mul_lo_u32 v47, v47, v252
	v_cvt_f32_i32_e32 v1, v1
	v_cvt_f32_i32_e32 v0, v0
	;; [unrolled: 4-line block ×3, first 2 shown]
	v_cvt_f32_i32_e32 v5, v5
	v_cvt_f32_i32_e32 v4, v4
	v_pk_fma_f32 v[66:67], v[158:159], v[202:203], 0 op_sel_hi:[0,1,0]
	v_pk_fma_f32 v[2:3], v[146:147], v[202:203], 0 op_sel_hi:[0,1,0]
	;; [unrolled: 1-line block ×6, first 2 shown]
	v_pk_fma_f32 v[44:45], v[160:161], v[194:195], v[44:45]
	v_pk_mul_f32 v[66:67], v[66:67], v[138:139]
	v_pk_fma_f32 v[0:1], v[4:5], v[194:195], v[0:1]
	v_pk_mul_f32 v[2:3], v[2:3], v[142:143]
	v_pk_fma_f32 v[44:45], v[44:45], v[136:137], v[66:67] neg_lo:[0,0,1] neg_hi:[0,0,1]
	v_pk_fma_f32 v[0:1], v[0:1], v[140:141], v[2:3] neg_lo:[0,0,1] neg_hi:[0,0,1]
	v_pk_add_f32 v[18:19], v[18:19], v[44:45]
	v_pk_add_f32 v[16:17], v[16:17], v[0:1]
	s_mov_b32 s19, 8
	s_and_b64 vcc, exec, s[4:5]
	s_mov_b64 s[4:5], 0
	s_cbranch_vccnz .LBB134_6
; %bb.7:                                ;   in Loop: Header=BB134_5 Depth=1
	v_add_u32_e32 v14, s17, v121
	v_add_u32_e32 v0, v14, v73
	;; [unrolled: 1-line block ×6, first 2 shown]
	v_mad_i64_i32 v[0:1], s[4:5], v0, 36, v[124:125]
	v_mad_i64_i32 v[2:3], s[4:5], v2, 36, v[124:125]
	;; [unrolled: 1-line block ×5, first 2 shown]
	v_add_u32_e32 v10, v14, v101
	v_add_u32_e32 v12, v14, v107
	;; [unrolled: 1-line block ×3, first 2 shown]
	s_barrier
	v_mad_i64_i32 v[10:11], s[4:5], v10, 36, v[124:125]
	v_mad_i64_i32 v[12:13], s[4:5], v12, 36, v[124:125]
	;; [unrolled: 1-line block ×3, first 2 shown]
	global_load_dword v44, v[0:1], off offset:4
	s_nop 0
	global_load_dword v2, v[2:3], off offset:4
	s_nop 0
	;; [unrolled: 2-line block ×3, first 2 shown]
	global_load_dword v4, v[6:7], off offset:4
	global_load_dword v5, v[8:9], off offset:4
	s_nop 0
	global_load_dword v6, v[10:11], off offset:4
	global_load_dword v7, v[12:13], off offset:4
	;; [unrolled: 1-line block ×3, first 2 shown]
	v_add_u32_e32 v0, 4, v157
	v_mad_u64_u32 v[0:1], s[4:5], v0, 36, s[2:3]
	global_load_dword v0, v[0:1], off
	s_mov_b32 s4, 16
	s_waitcnt vmcnt(8)
	ds_write_b32 v75, v44
	s_waitcnt vmcnt(7)
	ds_write_b32 v81, v2
	;; [unrolled: 2-line block ×9, first 2 shown]
	s_waitcnt lgkmcnt(0)
	s_barrier
	ds_read_b32 v0, v119
	ds_read_b32 v1, v123 offset:128
	ds_read_b32 v2, v145 offset:256
	;; [unrolled: 1-line block ×3, first 2 shown]
	s_waitcnt lgkmcnt(2)
	v_cvt_f32_f16_e32 v132, v1
	v_cvt_f32_f16_e32 v128, v0
	v_cvt_f32_f16_sdwa v130, v0 dst_sel:DWORD dst_unused:UNUSED_PAD src0_sel:WORD_1
	v_cvt_f32_f16_sdwa v134, v1 dst_sel:DWORD dst_unused:UNUSED_PAD src0_sel:WORD_1
	s_waitcnt lgkmcnt(1)
	v_cvt_f32_f16_e32 v136, v2
	v_cvt_f32_f16_sdwa v138, v2 dst_sel:DWORD dst_unused:UNUSED_PAD src0_sel:WORD_1
	s_waitcnt lgkmcnt(0)
	v_cvt_f32_f16_e32 v140, v3
	v_cvt_f32_f16_sdwa v142, v3 dst_sel:DWORD dst_unused:UNUSED_PAD src0_sel:WORD_1
	v_mov_b32_e32 v129, v128
	v_mov_b32_e32 v131, v130
	;; [unrolled: 1-line block ×8, first 2 shown]
.LBB134_8:                              ;   Parent Loop BB134_5 Depth=1
                                        ; =>  This Inner Loop Header: Depth=2
	s_lshr_b32 s5, s4, 2
	s_and_b32 s17, s5, 0x3ffffffe
	s_lshl_b32 s5, s4, 1
	s_and_b32 s5, s5, 16
	v_or_b32_e32 v0, s5, v55
	v_lshlrev_b32_e32 v1, 2, v0
	v_lshrrev_b32_e32 v44, 1, v0
	s_add_i32 s17, s17, 0xa200
	s_lshl_b32 s18, s4, 3
	ds_read_b128 v[12:15], v1 offset:33280
	ds_read_b128 v[8:11], v1 offset:33296
	ds_read_b128 v[4:7], v1 offset:33312
	ds_read_b128 v[0:3], v1 offset:33328
	ds_read_b64 v[224:225], v44 offset:43584
	v_add3_u32 v44, s17, v244, v245
	v_add_u32_e32 v45, s18, v217
	ds_read2_b32 v[208:209], v45 offset1:1
	ds_read2_b32 v[210:211], v45 offset0:2 offset1:3
	ds_read2_b32 v[212:213], v45 offset0:4 offset1:5
	;; [unrolled: 1-line block ×3, first 2 shown]
	ds_read_u16 v47, v44
	ds_read_u16 v44, v44 offset:8
	ds_read2_b32 v[190:191], v45 offset0:8 offset1:9
	ds_read2_b32 v[218:219], v45 offset0:10 offset1:11
	;; [unrolled: 1-line block ×4, first 2 shown]
	s_waitcnt lgkmcnt(4)
	v_cvt_f32_ubyte0_e32 v170, v44
	v_cvt_f32_ubyte1_e32 v216, v44
	v_add3_u32 v44, s17, v246, v241
	v_add_u32_e32 v45, s18, v234
	v_and_b32_e32 v249, 0xff, v47
	v_lshrrev_b16_e32 v252, 8, v47
	ds_read2_b32 v[160:161], v45 offset1:1
	ds_read2_b32 v[178:179], v45 offset0:2 offset1:3
	ds_read2_b32 v[184:185], v45 offset0:4 offset1:5
	;; [unrolled: 1-line block ×3, first 2 shown]
	ds_read_u16 v47, v44
	ds_read_u16 v44, v44 offset:8
	ds_read2_b32 v[168:169], v45 offset0:8 offset1:9
	ds_read2_b32 v[198:199], v45 offset0:10 offset1:11
	;; [unrolled: 1-line block ×4, first 2 shown]
	s_waitcnt lgkmcnt(4)
	v_cvt_f32_ubyte0_e32 v164, v44
	v_cvt_f32_ubyte1_e32 v194, v44
	v_add3_u32 v44, s17, v247, v242
	v_add_u32_e32 v45, s18, v235
	v_and_b32_e32 v195, 0xff, v47
	v_lshrrev_b16_e32 v251, 8, v47
	ds_read2_b32 v[158:159], v45 offset1:1
	ds_read2_b32 v[174:175], v45 offset0:2 offset1:3
	ds_read2_b32 v[180:181], v45 offset0:4 offset1:5
	;; [unrolled: 1-line block ×3, first 2 shown]
	ds_read_u16 v47, v44
	ds_read_u16 v44, v44 offset:8
	ds_read2_b32 v[166:167], v45 offset0:8 offset1:9
	ds_read2_b32 v[196:197], v45 offset0:10 offset1:11
	;; [unrolled: 1-line block ×4, first 2 shown]
	v_add_u32_e32 v45, s18, v236
	ds_read2_b32 v[156:157], v45 offset1:1
	ds_read2_b32 v[172:173], v45 offset0:2 offset1:3
	ds_read2_b32 v[176:177], v45 offset0:4 offset1:5
	;; [unrolled: 1-line block ×3, first 2 shown]
	v_mov_b32_e32 v49, 0
	v_mov_b32_e32 v254, 0
	;; [unrolled: 1-line block ×3, first 2 shown]
	s_waitcnt lgkmcnt(9)
	v_and_b32_e32 v171, 0xff, v47
	v_lshrrev_b16_e32 v250, 8, v47
	v_mov_b32_e32 v47, 0
	v_dot4c_i32_i8_e32 v49, v208, v12
	v_dot4c_i32_i8_e32 v254, v160, v12
	;; [unrolled: 1-line block ×3, first 2 shown]
	s_waitcnt lgkmcnt(3)
	v_dot4c_i32_i8_e32 v47, v156, v12
	v_dot4c_i32_i8_e32 v49, v209, v13
	;; [unrolled: 1-line block ×8, first 2 shown]
	s_waitcnt lgkmcnt(2)
	v_dot4c_i32_i8_e32 v47, v172, v14
	v_dot4c_i32_i8_e32 v49, v211, v15
	;; [unrolled: 1-line block ×8, first 2 shown]
	v_cvt_f32_ubyte0_e32 v162, v44
	v_cvt_f32_ubyte1_e32 v192, v44
	v_add3_u32 v44, s17, v248, v243
	s_waitcnt lgkmcnt(1)
	v_dot4c_i32_i8_e32 v47, v176, v8
	v_dot4c_i32_i8_e32 v49, v213, v9
	;; [unrolled: 1-line block ×5, first 2 shown]
	ds_read_u16 v8, v44
	ds_read_u16 v9, v44 offset:8
	ds_read2_b32 v[154:155], v45 offset0:8 offset1:9
	ds_read2_b32 v[148:149], v45 offset0:10 offset1:11
	;; [unrolled: 1-line block ×4, first 2 shown]
	v_mov_b32_e32 v62, 0
	v_mov_b32_e32 v70, 0
	;; [unrolled: 1-line block ×4, first 2 shown]
	v_dot4c_i32_i8_e32 v62, v190, v4
	v_dot4c_i32_i8_e32 v70, v168, v4
	v_dot4c_i32_i8_e32 v74, v166, v4
	s_waitcnt lgkmcnt(3)
	v_dot4c_i32_i8_e32 v78, v154, v4
	v_dot4c_i32_i8_e32 v62, v191, v5
	v_dot4c_i32_i8_e32 v70, v169, v5
	v_dot4c_i32_i8_e32 v74, v167, v5
	v_dot4c_i32_i8_e32 v78, v155, v5
	v_dot4c_i32_i8_e32 v62, v218, v6
	v_dot4c_i32_i8_e32 v70, v198, v6
	v_dot4c_i32_i8_e32 v74, v196, v6
	s_waitcnt lgkmcnt(2)
	v_dot4c_i32_i8_e32 v78, v148, v6
	v_dot4c_i32_i8_e32 v62, v219, v7
	v_dot4c_i32_i8_e32 v70, v199, v7
	v_dot4c_i32_i8_e32 v74, v197, v7
	v_dot4c_i32_i8_e32 v78, v149, v7
	;; [unrolled: 9-line block ×3, first 2 shown]
	v_or_b32_e32 v0, s5, v79
	v_dot4c_i32_i8_e32 v49, v214, v10
	v_dot4c_i32_i8_e32 v62, v222, v2
	;; [unrolled: 1-line block ×7, first 2 shown]
	s_waitcnt lgkmcnt(0)
	v_dot4c_i32_i8_e32 v78, v152, v2
	v_lshlrev_b32_e32 v1, 2, v0
	v_lshrrev_b32_e32 v44, 1, v0
	v_dot4c_i32_i8_e32 v49, v215, v11
	v_dot4c_i32_i8_e32 v62, v223, v3
	;; [unrolled: 1-line block ×7, first 2 shown]
	v_and_b32_e32 v165, 0xff, v8
	v_cvt_f32_ubyte0_e32 v146, v9
	v_dot4c_i32_i8_e32 v78, v153, v3
	v_lshrrev_b16_e32 v163, 8, v8
	v_cvt_f32_ubyte1_e32 v144, v9
	ds_read_b128 v[12:15], v1 offset:33280
	ds_read_b128 v[8:11], v1 offset:33296
	;; [unrolled: 1-line block ×4, first 2 shown]
	ds_read_b64 v[44:45], v44 offset:43584
	v_mov_b32_e32 v66, 0
	s_waitcnt lgkmcnt(4)
	v_dot4c_i32_i8_e32 v66, v208, v12
	v_mov_b32_e32 v82, 0
	v_dot4c_i32_i8_e32 v66, v209, v13
	s_waitcnt lgkmcnt(2)
	v_dot4c_i32_i8_e32 v82, v190, v4
	v_dot4c_i32_i8_e32 v66, v210, v14
	;; [unrolled: 1-line block ×8, first 2 shown]
	s_waitcnt lgkmcnt(1)
	v_dot4c_i32_i8_e32 v82, v220, v0
	v_dot4c_i32_i8_e32 v66, v214, v10
	;; [unrolled: 1-line block ×6, first 2 shown]
	s_waitcnt lgkmcnt(0)
	v_cvt_f32_f16_e32 v231, v44
	v_cvt_f32_f16_sdwa v233, v44 dst_sel:DWORD dst_unused:UNUSED_PAD src0_sel:WORD_1
	v_cvt_f32_f16_sdwa v232, v224 dst_sel:DWORD dst_unused:UNUSED_PAD src0_sel:WORD_1
	v_cvt_f32_f16_e32 v227, v45
	v_cvt_f32_f16_sdwa v229, v45 dst_sel:DWORD dst_unused:UNUSED_PAD src0_sel:WORD_1
	v_mul_lo_u32 v44, v49, v249
	v_mul_lo_u32 v45, v66, v249
	v_cvt_f32_f16_e32 v230, v224
	v_cvt_f32_f16_sdwa v228, v225 dst_sel:DWORD dst_unused:UNUSED_PAD src0_sel:WORD_1
	v_cvt_f32_i32_e32 v45, v45
	v_cvt_f32_i32_e32 v44, v44
	v_mul_lo_u32 v49, v62, v252
	v_mul_lo_u32 v62, v82, v252
	v_cvt_f32_f16_e32 v226, v225
	v_cvt_f32_i32_e32 v225, v62
	v_cvt_f32_i32_e32 v224, v49
	v_pk_fma_f32 v[66:67], v[170:171], v[232:233], 0 op_sel_hi:[0,1,0]
	v_pk_fma_f32 v[44:45], v[230:231], v[44:45], 0 op_sel_hi:[1,1,0]
	;; [unrolled: 1-line block ×3, first 2 shown]
	v_pk_fma_f32 v[44:45], v[226:227], v[224:225], v[44:45]
	v_pk_mul_f32 v[66:67], v[66:67], v[130:131]
	v_pk_fma_f32 v[44:45], v[44:45], v[128:129], v[66:67] neg_lo:[0,0,1] neg_hi:[0,0,1]
	v_pk_add_f32 v[56:57], v[56:57], v[44:45]
	v_mov_b32_e32 v44, 0
	v_dot4c_i32_i8_e32 v44, v160, v12
	v_mov_b32_e32 v49, 0
	v_dot4c_i32_i8_e32 v44, v161, v13
	v_dot4c_i32_i8_e32 v49, v168, v4
	;; [unrolled: 1-line block ×15, first 2 shown]
	v_mul_lo_u32 v62, v254, v195
	v_mul_lo_u32 v44, v44, v195
	v_cvt_f32_i32_e32 v45, v44
	v_cvt_f32_i32_e32 v44, v62
	v_mul_lo_u32 v62, v70, v251
	v_mul_lo_u32 v49, v49, v251
	v_cvt_f32_i32_e32 v225, v49
	v_cvt_f32_i32_e32 v224, v62
	v_pk_fma_f32 v[66:67], v[164:165], v[232:233], 0 op_sel_hi:[0,1,0]
	v_pk_fma_f32 v[44:45], v[230:231], v[44:45], 0 op_sel_hi:[1,1,0]
	;; [unrolled: 1-line block ×3, first 2 shown]
	v_pk_fma_f32 v[44:45], v[226:227], v[224:225], v[44:45]
	v_pk_mul_f32 v[66:67], v[66:67], v[134:135]
	v_pk_fma_f32 v[44:45], v[44:45], v[132:133], v[66:67] neg_lo:[0,0,1] neg_hi:[0,0,1]
	v_pk_add_f32 v[50:51], v[50:51], v[44:45]
	v_mov_b32_e32 v44, 0
	v_dot4c_i32_i8_e32 v44, v158, v12
	v_mov_b32_e32 v49, 0
	v_dot4c_i32_i8_e32 v44, v159, v13
	v_dot4c_i32_i8_e32 v49, v166, v4
	;; [unrolled: 1-line block ×15, first 2 shown]
	v_mul_lo_u32 v62, v253, v171
	v_mul_lo_u32 v44, v44, v171
	v_cvt_f32_i32_e32 v45, v44
	v_cvt_f32_i32_e32 v44, v62
	v_mul_lo_u32 v62, v74, v250
	v_mul_lo_u32 v49, v49, v250
	v_cvt_f32_i32_e32 v225, v49
	v_cvt_f32_i32_e32 v224, v62
	v_pk_fma_f32 v[66:67], v[162:163], v[232:233], 0 op_sel_hi:[0,1,0]
	v_pk_fma_f32 v[44:45], v[230:231], v[44:45], 0 op_sel_hi:[1,1,0]
	;; [unrolled: 1-line block ×3, first 2 shown]
	v_pk_fma_f32 v[44:45], v[226:227], v[224:225], v[44:45]
	v_pk_mul_f32 v[66:67], v[66:67], v[138:139]
	v_pk_fma_f32 v[44:45], v[44:45], v[136:137], v[66:67] neg_lo:[0,0,1] neg_hi:[0,0,1]
	v_pk_add_f32 v[42:43], v[42:43], v[44:45]
	v_mov_b32_e32 v44, 0
	v_dot4c_i32_i8_e32 v44, v156, v12
	v_dot4c_i32_i8_e32 v44, v157, v13
	;; [unrolled: 1-line block ×5, first 2 shown]
	v_mov_b32_e32 v8, 0
	v_dot4c_i32_i8_e32 v8, v154, v4
	v_dot4c_i32_i8_e32 v8, v155, v5
	;; [unrolled: 1-line block ×11, first 2 shown]
	v_mul_lo_u32 v0, v47, v165
	v_mul_lo_u32 v1, v44, v165
	v_cvt_f32_i32_e32 v1, v1
	v_cvt_f32_i32_e32 v0, v0
	v_mul_lo_u32 v4, v78, v163
	v_mul_lo_u32 v5, v8, v163
	v_cvt_f32_i32_e32 v5, v5
	v_cvt_f32_i32_e32 v4, v4
	v_pk_fma_f32 v[2:3], v[146:147], v[232:233], 0 op_sel_hi:[0,1,0]
	v_pk_fma_f32 v[0:1], v[230:231], v[0:1], 0 op_sel_hi:[1,1,0]
	;; [unrolled: 1-line block ×3, first 2 shown]
	v_pk_fma_f32 v[0:1], v[226:227], v[4:5], v[0:1]
	v_pk_mul_f32 v[2:3], v[2:3], v[142:143]
	v_pk_fma_f32 v[0:1], v[0:1], v[140:141], v[2:3] neg_lo:[0,0,1] neg_hi:[0,0,1]
	v_pk_add_f32 v[40:41], v[40:41], v[0:1]
	v_or_b32_e32 v0, s5, v85
	v_lshlrev_b32_e32 v1, 2, v0
	v_lshrrev_b32_e32 v44, 1, v0
	ds_read_b128 v[12:15], v1 offset:33280
	ds_read_b128 v[8:11], v1 offset:33296
	;; [unrolled: 1-line block ×4, first 2 shown]
	ds_read_b64 v[224:225], v44 offset:43584
	v_mov_b32_e32 v47, 0
	v_mov_b32_e32 v49, 0
	;; [unrolled: 1-line block ×8, first 2 shown]
	s_waitcnt lgkmcnt(4)
	v_dot4c_i32_i8_e32 v47, v208, v12
	s_waitcnt lgkmcnt(2)
	v_dot4c_i32_i8_e32 v49, v190, v4
	v_dot4c_i32_i8_e32 v62, v160, v12
	;; [unrolled: 1-line block ×32, first 2 shown]
	s_waitcnt lgkmcnt(1)
	v_dot4c_i32_i8_e32 v49, v220, v0
	v_dot4c_i32_i8_e32 v62, v184, v8
	;; [unrolled: 1-line block ×15, first 2 shown]
	v_or_b32_e32 v0, s5, v91
	v_dot4c_i32_i8_e32 v47, v214, v10
	v_dot4c_i32_i8_e32 v49, v222, v2
	;; [unrolled: 1-line block ×8, first 2 shown]
	v_lshlrev_b32_e32 v1, 2, v0
	v_lshrrev_b32_e32 v44, 1, v0
	v_dot4c_i32_i8_e32 v47, v215, v11
	v_dot4c_i32_i8_e32 v49, v223, v3
	;; [unrolled: 1-line block ×8, first 2 shown]
	ds_read_b128 v[12:15], v1 offset:33280
	ds_read_b128 v[8:11], v1 offset:33296
	;; [unrolled: 1-line block ×4, first 2 shown]
	ds_read_b64 v[44:45], v44 offset:43584
	v_mov_b32_e32 v66, 0
	s_waitcnt lgkmcnt(4)
	v_dot4c_i32_i8_e32 v66, v208, v12
	v_mov_b32_e32 v254, 0
	v_dot4c_i32_i8_e32 v66, v209, v13
	s_waitcnt lgkmcnt(2)
	v_dot4c_i32_i8_e32 v254, v190, v4
	v_dot4c_i32_i8_e32 v66, v210, v14
	;; [unrolled: 1-line block ×8, first 2 shown]
	s_waitcnt lgkmcnt(1)
	v_dot4c_i32_i8_e32 v254, v220, v0
	v_dot4c_i32_i8_e32 v66, v214, v10
	v_dot4c_i32_i8_e32 v254, v221, v1
	v_dot4c_i32_i8_e32 v66, v215, v11
	v_dot4c_i32_i8_e32 v254, v222, v2
	v_dot4c_i32_i8_e32 v254, v223, v3
	s_waitcnt lgkmcnt(0)
	v_cvt_f32_f16_e32 v231, v44
	v_cvt_f32_f16_sdwa v233, v44 dst_sel:DWORD dst_unused:UNUSED_PAD src0_sel:WORD_1
	v_cvt_f32_f16_sdwa v232, v224 dst_sel:DWORD dst_unused:UNUSED_PAD src0_sel:WORD_1
	v_cvt_f32_f16_e32 v227, v45
	v_cvt_f32_f16_sdwa v229, v45 dst_sel:DWORD dst_unused:UNUSED_PAD src0_sel:WORD_1
	v_mul_lo_u32 v44, v47, v249
	v_mul_lo_u32 v45, v66, v249
	v_cvt_f32_f16_e32 v230, v224
	v_cvt_f32_f16_sdwa v228, v225 dst_sel:DWORD dst_unused:UNUSED_PAD src0_sel:WORD_1
	v_cvt_f32_i32_e32 v45, v45
	v_cvt_f32_i32_e32 v44, v44
	v_mul_lo_u32 v47, v49, v252
	v_mul_lo_u32 v49, v254, v252
	v_cvt_f32_f16_e32 v226, v225
	v_cvt_f32_i32_e32 v225, v49
	v_cvt_f32_i32_e32 v224, v47
	v_pk_fma_f32 v[66:67], v[170:171], v[232:233], 0 op_sel_hi:[0,1,0]
	v_pk_fma_f32 v[44:45], v[44:45], v[230:231], 0 op_sel_hi:[1,1,0]
	;; [unrolled: 1-line block ×3, first 2 shown]
	v_pk_fma_f32 v[44:45], v[224:225], v[226:227], v[44:45]
	v_pk_mul_f32 v[66:67], v[66:67], v[130:131]
	v_pk_fma_f32 v[44:45], v[44:45], v[128:129], v[66:67] neg_lo:[0,0,1] neg_hi:[0,0,1]
	v_pk_add_f32 v[38:39], v[38:39], v[44:45]
	v_mov_b32_e32 v44, 0
	v_dot4c_i32_i8_e32 v44, v160, v12
	v_mov_b32_e32 v47, 0
	v_dot4c_i32_i8_e32 v44, v161, v13
	v_dot4c_i32_i8_e32 v47, v168, v4
	;; [unrolled: 1-line block ×15, first 2 shown]
	v_mul_lo_u32 v49, v62, v195
	v_mul_lo_u32 v44, v44, v195
	v_cvt_f32_i32_e32 v45, v44
	v_cvt_f32_i32_e32 v44, v49
	v_mul_lo_u32 v49, v70, v251
	v_mul_lo_u32 v47, v47, v251
	v_cvt_f32_i32_e32 v225, v47
	v_cvt_f32_i32_e32 v224, v49
	v_pk_fma_f32 v[66:67], v[164:165], v[232:233], 0 op_sel_hi:[0,1,0]
	v_pk_fma_f32 v[44:45], v[44:45], v[230:231], 0 op_sel_hi:[1,1,0]
	;; [unrolled: 1-line block ×3, first 2 shown]
	v_pk_fma_f32 v[44:45], v[224:225], v[226:227], v[44:45]
	v_pk_mul_f32 v[66:67], v[66:67], v[134:135]
	v_pk_fma_f32 v[44:45], v[44:45], v[132:133], v[66:67] neg_lo:[0,0,1] neg_hi:[0,0,1]
	v_pk_add_f32 v[36:37], v[36:37], v[44:45]
	v_mov_b32_e32 v44, 0
	v_dot4c_i32_i8_e32 v44, v158, v12
	v_mov_b32_e32 v47, 0
	v_dot4c_i32_i8_e32 v44, v159, v13
	v_dot4c_i32_i8_e32 v47, v166, v4
	;; [unrolled: 1-line block ×15, first 2 shown]
	v_mul_lo_u32 v49, v74, v171
	v_mul_lo_u32 v44, v44, v171
	v_cvt_f32_i32_e32 v45, v44
	v_cvt_f32_i32_e32 v44, v49
	v_mul_lo_u32 v49, v78, v250
	v_mul_lo_u32 v47, v47, v250
	v_cvt_f32_i32_e32 v225, v47
	v_cvt_f32_i32_e32 v224, v49
	v_pk_fma_f32 v[66:67], v[162:163], v[232:233], 0 op_sel_hi:[0,1,0]
	v_pk_fma_f32 v[44:45], v[44:45], v[230:231], 0 op_sel_hi:[1,1,0]
	;; [unrolled: 1-line block ×3, first 2 shown]
	v_pk_fma_f32 v[44:45], v[224:225], v[226:227], v[44:45]
	v_pk_mul_f32 v[66:67], v[66:67], v[138:139]
	v_pk_fma_f32 v[44:45], v[44:45], v[136:137], v[66:67] neg_lo:[0,0,1] neg_hi:[0,0,1]
	v_pk_add_f32 v[34:35], v[34:35], v[44:45]
	v_mov_b32_e32 v44, 0
	v_dot4c_i32_i8_e32 v44, v156, v12
	v_dot4c_i32_i8_e32 v44, v157, v13
	;; [unrolled: 1-line block ×5, first 2 shown]
	v_mov_b32_e32 v8, 0
	v_dot4c_i32_i8_e32 v8, v154, v4
	v_dot4c_i32_i8_e32 v8, v155, v5
	;; [unrolled: 1-line block ×11, first 2 shown]
	v_mul_lo_u32 v0, v82, v165
	v_mul_lo_u32 v1, v44, v165
	v_cvt_f32_i32_e32 v1, v1
	v_cvt_f32_i32_e32 v0, v0
	v_mul_lo_u32 v4, v253, v163
	v_mul_lo_u32 v5, v8, v163
	v_cvt_f32_i32_e32 v5, v5
	v_cvt_f32_i32_e32 v4, v4
	v_pk_fma_f32 v[2:3], v[146:147], v[232:233], 0 op_sel_hi:[0,1,0]
	v_pk_fma_f32 v[0:1], v[0:1], v[230:231], 0 op_sel_hi:[1,1,0]
	;; [unrolled: 1-line block ×3, first 2 shown]
	v_pk_fma_f32 v[0:1], v[4:5], v[226:227], v[0:1]
	v_pk_mul_f32 v[2:3], v[2:3], v[142:143]
	v_pk_fma_f32 v[0:1], v[0:1], v[140:141], v[2:3] neg_lo:[0,0,1] neg_hi:[0,0,1]
	v_pk_add_f32 v[32:33], v[32:33], v[0:1]
	v_or_b32_e32 v0, s5, v97
	v_lshlrev_b32_e32 v1, 2, v0
	v_lshrrev_b32_e32 v44, 1, v0
	ds_read_b128 v[12:15], v1 offset:33280
	ds_read_b128 v[8:11], v1 offset:33296
	;; [unrolled: 1-line block ×4, first 2 shown]
	ds_read_b64 v[224:225], v44 offset:43584
	v_mov_b32_e32 v47, 0
	v_mov_b32_e32 v49, 0
	;; [unrolled: 1-line block ×8, first 2 shown]
	s_waitcnt lgkmcnt(4)
	v_dot4c_i32_i8_e32 v47, v208, v12
	s_waitcnt lgkmcnt(2)
	v_dot4c_i32_i8_e32 v49, v190, v4
	v_dot4c_i32_i8_e32 v62, v160, v12
	v_dot4c_i32_i8_e32 v70, v168, v4
	v_dot4c_i32_i8_e32 v74, v158, v12
	v_dot4c_i32_i8_e32 v78, v166, v4
	v_dot4c_i32_i8_e32 v82, v156, v12
	v_dot4c_i32_i8_e32 v253, v154, v4
	v_dot4c_i32_i8_e32 v47, v209, v13
	v_dot4c_i32_i8_e32 v49, v191, v5
	v_dot4c_i32_i8_e32 v62, v161, v13
	v_dot4c_i32_i8_e32 v70, v169, v5
	v_dot4c_i32_i8_e32 v74, v159, v13
	v_dot4c_i32_i8_e32 v78, v167, v5
	v_dot4c_i32_i8_e32 v82, v157, v13
	v_dot4c_i32_i8_e32 v253, v155, v5
	v_dot4c_i32_i8_e32 v47, v210, v14
	v_dot4c_i32_i8_e32 v49, v218, v6
	v_dot4c_i32_i8_e32 v62, v178, v14
	v_dot4c_i32_i8_e32 v70, v198, v6
	v_dot4c_i32_i8_e32 v74, v174, v14
	v_dot4c_i32_i8_e32 v78, v196, v6
	v_dot4c_i32_i8_e32 v82, v172, v14
	v_dot4c_i32_i8_e32 v253, v148, v6
	v_dot4c_i32_i8_e32 v47, v211, v15
	v_dot4c_i32_i8_e32 v49, v219, v7
	v_dot4c_i32_i8_e32 v62, v179, v15
	v_dot4c_i32_i8_e32 v70, v199, v7
	v_dot4c_i32_i8_e32 v74, v175, v15
	v_dot4c_i32_i8_e32 v78, v197, v7
	v_dot4c_i32_i8_e32 v82, v173, v15
	v_dot4c_i32_i8_e32 v253, v149, v7
	v_dot4c_i32_i8_e32 v47, v212, v8
	s_waitcnt lgkmcnt(1)
	v_dot4c_i32_i8_e32 v49, v220, v0
	v_dot4c_i32_i8_e32 v62, v184, v8
	;; [unrolled: 1-line block ×15, first 2 shown]
	v_or_b32_e32 v0, s5, v103
	v_dot4c_i32_i8_e32 v47, v214, v10
	v_dot4c_i32_i8_e32 v49, v222, v2
	;; [unrolled: 1-line block ×8, first 2 shown]
	v_lshlrev_b32_e32 v1, 2, v0
	v_lshrrev_b32_e32 v44, 1, v0
	v_dot4c_i32_i8_e32 v47, v215, v11
	v_dot4c_i32_i8_e32 v49, v223, v3
	;; [unrolled: 1-line block ×8, first 2 shown]
	ds_read_b128 v[12:15], v1 offset:33280
	ds_read_b128 v[8:11], v1 offset:33296
	;; [unrolled: 1-line block ×4, first 2 shown]
	ds_read_b64 v[44:45], v44 offset:43584
	v_mov_b32_e32 v66, 0
	s_waitcnt lgkmcnt(4)
	v_dot4c_i32_i8_e32 v66, v208, v12
	v_mov_b32_e32 v254, 0
	v_dot4c_i32_i8_e32 v66, v209, v13
	s_waitcnt lgkmcnt(2)
	v_dot4c_i32_i8_e32 v254, v190, v4
	v_dot4c_i32_i8_e32 v66, v210, v14
	;; [unrolled: 1-line block ×8, first 2 shown]
	s_waitcnt lgkmcnt(1)
	v_dot4c_i32_i8_e32 v254, v220, v0
	v_dot4c_i32_i8_e32 v66, v214, v10
	;; [unrolled: 1-line block ×6, first 2 shown]
	s_waitcnt lgkmcnt(0)
	v_cvt_f32_f16_e32 v231, v44
	v_cvt_f32_f16_sdwa v233, v44 dst_sel:DWORD dst_unused:UNUSED_PAD src0_sel:WORD_1
	v_cvt_f32_f16_sdwa v232, v224 dst_sel:DWORD dst_unused:UNUSED_PAD src0_sel:WORD_1
	v_cvt_f32_f16_e32 v227, v45
	v_cvt_f32_f16_sdwa v229, v45 dst_sel:DWORD dst_unused:UNUSED_PAD src0_sel:WORD_1
	v_mul_lo_u32 v44, v47, v249
	v_mul_lo_u32 v45, v66, v249
	v_cvt_f32_f16_e32 v230, v224
	v_cvt_f32_f16_sdwa v228, v225 dst_sel:DWORD dst_unused:UNUSED_PAD src0_sel:WORD_1
	v_cvt_f32_i32_e32 v45, v45
	v_cvt_f32_i32_e32 v44, v44
	v_mul_lo_u32 v47, v49, v252
	v_mul_lo_u32 v49, v254, v252
	v_cvt_f32_f16_e32 v226, v225
	v_cvt_f32_i32_e32 v225, v49
	v_cvt_f32_i32_e32 v224, v47
	v_pk_fma_f32 v[66:67], v[170:171], v[232:233], 0 op_sel_hi:[0,1,0]
	v_pk_fma_f32 v[44:45], v[44:45], v[230:231], 0 op_sel_hi:[1,1,0]
	;; [unrolled: 1-line block ×3, first 2 shown]
	v_pk_fma_f32 v[44:45], v[224:225], v[226:227], v[44:45]
	v_pk_mul_f32 v[66:67], v[66:67], v[130:131]
	v_pk_fma_f32 v[44:45], v[44:45], v[128:129], v[66:67] neg_lo:[0,0,1] neg_hi:[0,0,1]
	v_pk_add_f32 v[30:31], v[30:31], v[44:45]
	v_mov_b32_e32 v44, 0
	v_dot4c_i32_i8_e32 v44, v160, v12
	v_mov_b32_e32 v47, 0
	v_dot4c_i32_i8_e32 v44, v161, v13
	v_dot4c_i32_i8_e32 v47, v168, v4
	;; [unrolled: 1-line block ×15, first 2 shown]
	v_mul_lo_u32 v49, v62, v195
	v_mul_lo_u32 v44, v44, v195
	v_cvt_f32_i32_e32 v45, v44
	v_cvt_f32_i32_e32 v44, v49
	v_mul_lo_u32 v49, v70, v251
	v_mul_lo_u32 v47, v47, v251
	v_cvt_f32_i32_e32 v225, v47
	v_cvt_f32_i32_e32 v224, v49
	v_pk_fma_f32 v[66:67], v[164:165], v[232:233], 0 op_sel_hi:[0,1,0]
	v_pk_fma_f32 v[44:45], v[44:45], v[230:231], 0 op_sel_hi:[1,1,0]
	;; [unrolled: 1-line block ×3, first 2 shown]
	v_pk_fma_f32 v[44:45], v[224:225], v[226:227], v[44:45]
	v_pk_mul_f32 v[66:67], v[66:67], v[134:135]
	v_pk_fma_f32 v[44:45], v[44:45], v[132:133], v[66:67] neg_lo:[0,0,1] neg_hi:[0,0,1]
	v_pk_add_f32 v[28:29], v[28:29], v[44:45]
	v_mov_b32_e32 v44, 0
	v_dot4c_i32_i8_e32 v44, v158, v12
	v_mov_b32_e32 v47, 0
	v_dot4c_i32_i8_e32 v44, v159, v13
	v_dot4c_i32_i8_e32 v47, v166, v4
	;; [unrolled: 1-line block ×15, first 2 shown]
	v_mul_lo_u32 v49, v74, v171
	v_mul_lo_u32 v44, v44, v171
	v_cvt_f32_i32_e32 v45, v44
	v_cvt_f32_i32_e32 v44, v49
	v_mul_lo_u32 v49, v78, v250
	v_mul_lo_u32 v47, v47, v250
	v_cvt_f32_i32_e32 v225, v47
	v_cvt_f32_i32_e32 v224, v49
	v_pk_fma_f32 v[66:67], v[162:163], v[232:233], 0 op_sel_hi:[0,1,0]
	v_pk_fma_f32 v[44:45], v[44:45], v[230:231], 0 op_sel_hi:[1,1,0]
	v_pk_fma_f32 v[66:67], v[192:193], v[228:229], v[66:67] op_sel_hi:[0,1,1]
	v_pk_fma_f32 v[44:45], v[224:225], v[226:227], v[44:45]
	v_pk_mul_f32 v[66:67], v[66:67], v[138:139]
	v_pk_fma_f32 v[44:45], v[44:45], v[136:137], v[66:67] neg_lo:[0,0,1] neg_hi:[0,0,1]
	v_pk_add_f32 v[26:27], v[26:27], v[44:45]
	v_mov_b32_e32 v44, 0
	v_dot4c_i32_i8_e32 v44, v156, v12
	v_dot4c_i32_i8_e32 v44, v157, v13
	;; [unrolled: 1-line block ×5, first 2 shown]
	v_mov_b32_e32 v8, 0
	v_dot4c_i32_i8_e32 v8, v154, v4
	v_dot4c_i32_i8_e32 v8, v155, v5
	;; [unrolled: 1-line block ×11, first 2 shown]
	v_mul_lo_u32 v0, v82, v165
	v_mul_lo_u32 v1, v44, v165
	v_cvt_f32_i32_e32 v1, v1
	v_cvt_f32_i32_e32 v0, v0
	v_mul_lo_u32 v4, v253, v163
	v_mul_lo_u32 v5, v8, v163
	v_cvt_f32_i32_e32 v5, v5
	v_cvt_f32_i32_e32 v4, v4
	v_pk_fma_f32 v[2:3], v[146:147], v[232:233], 0 op_sel_hi:[0,1,0]
	v_pk_fma_f32 v[0:1], v[0:1], v[230:231], 0 op_sel_hi:[1,1,0]
	;; [unrolled: 1-line block ×3, first 2 shown]
	v_pk_fma_f32 v[0:1], v[4:5], v[226:227], v[0:1]
	v_pk_mul_f32 v[2:3], v[2:3], v[142:143]
	v_pk_fma_f32 v[0:1], v[0:1], v[140:141], v[2:3] neg_lo:[0,0,1] neg_hi:[0,0,1]
	v_pk_add_f32 v[24:25], v[24:25], v[0:1]
	v_or_b32_e32 v0, s5, v109
	v_lshlrev_b32_e32 v1, 2, v0
	v_lshrrev_b32_e32 v44, 1, v0
	ds_read_b128 v[12:15], v1 offset:33280
	ds_read_b128 v[8:11], v1 offset:33296
	;; [unrolled: 1-line block ×4, first 2 shown]
	ds_read_b64 v[224:225], v44 offset:43584
	v_mov_b32_e32 v47, 0
	v_mov_b32_e32 v49, 0
	;; [unrolled: 1-line block ×8, first 2 shown]
	s_waitcnt lgkmcnt(4)
	v_dot4c_i32_i8_e32 v47, v208, v12
	s_waitcnt lgkmcnt(2)
	v_dot4c_i32_i8_e32 v49, v190, v4
	v_dot4c_i32_i8_e32 v62, v160, v12
	v_dot4c_i32_i8_e32 v70, v168, v4
	v_dot4c_i32_i8_e32 v74, v158, v12
	v_dot4c_i32_i8_e32 v78, v166, v4
	v_dot4c_i32_i8_e32 v227, v156, v12
	v_dot4c_i32_i8_e32 v226, v154, v4
	v_dot4c_i32_i8_e32 v47, v209, v13
	v_dot4c_i32_i8_e32 v49, v191, v5
	v_dot4c_i32_i8_e32 v62, v161, v13
	v_dot4c_i32_i8_e32 v70, v169, v5
	v_dot4c_i32_i8_e32 v74, v159, v13
	v_dot4c_i32_i8_e32 v78, v167, v5
	v_dot4c_i32_i8_e32 v227, v157, v13
	v_dot4c_i32_i8_e32 v226, v155, v5
	v_dot4c_i32_i8_e32 v47, v210, v14
	v_dot4c_i32_i8_e32 v49, v218, v6
	v_dot4c_i32_i8_e32 v62, v178, v14
	v_dot4c_i32_i8_e32 v70, v198, v6
	v_dot4c_i32_i8_e32 v74, v174, v14
	v_dot4c_i32_i8_e32 v78, v196, v6
	v_dot4c_i32_i8_e32 v227, v172, v14
	v_dot4c_i32_i8_e32 v226, v148, v6
	v_dot4c_i32_i8_e32 v47, v211, v15
	v_dot4c_i32_i8_e32 v49, v219, v7
	v_dot4c_i32_i8_e32 v62, v179, v15
	v_dot4c_i32_i8_e32 v70, v199, v7
	v_dot4c_i32_i8_e32 v74, v175, v15
	v_dot4c_i32_i8_e32 v78, v197, v7
	v_dot4c_i32_i8_e32 v227, v173, v15
	v_dot4c_i32_i8_e32 v226, v149, v7
	v_dot4c_i32_i8_e32 v47, v212, v8
	s_waitcnt lgkmcnt(1)
	v_dot4c_i32_i8_e32 v49, v220, v0
	v_dot4c_i32_i8_e32 v62, v184, v8
	;; [unrolled: 1-line block ×15, first 2 shown]
	v_or_b32_e32 v0, s5, v115
	v_dot4c_i32_i8_e32 v47, v214, v10
	v_dot4c_i32_i8_e32 v49, v222, v2
	;; [unrolled: 1-line block ×8, first 2 shown]
	v_lshlrev_b32_e32 v1, 2, v0
	v_lshrrev_b32_e32 v44, 1, v0
	v_dot4c_i32_i8_e32 v47, v215, v11
	v_dot4c_i32_i8_e32 v49, v223, v3
	;; [unrolled: 1-line block ×8, first 2 shown]
	ds_read_b128 v[12:15], v1 offset:33280
	ds_read_b128 v[8:11], v1 offset:33296
	;; [unrolled: 1-line block ×4, first 2 shown]
	ds_read_b64 v[44:45], v44 offset:43584
	v_mov_b32_e32 v66, 0
	s_waitcnt lgkmcnt(4)
	v_dot4c_i32_i8_e32 v66, v208, v12
	v_mov_b32_e32 v82, 0
	v_dot4c_i32_i8_e32 v66, v209, v13
	s_waitcnt lgkmcnt(2)
	v_dot4c_i32_i8_e32 v82, v190, v4
	v_dot4c_i32_i8_e32 v66, v210, v14
	;; [unrolled: 1-line block ×8, first 2 shown]
	s_waitcnt lgkmcnt(1)
	v_dot4c_i32_i8_e32 v82, v220, v0
	v_dot4c_i32_i8_e32 v66, v214, v10
	;; [unrolled: 1-line block ×6, first 2 shown]
	s_waitcnt lgkmcnt(0)
	v_cvt_f32_f16_e32 v213, v44
	v_cvt_f32_f16_sdwa v211, v44 dst_sel:DWORD dst_unused:UNUSED_PAD src0_sel:WORD_1
	v_cvt_f32_f16_sdwa v210, v224 dst_sel:DWORD dst_unused:UNUSED_PAD src0_sel:WORD_1
	v_cvt_f32_f16_e32 v209, v45
	v_cvt_f32_f16_sdwa v191, v45 dst_sel:DWORD dst_unused:UNUSED_PAD src0_sel:WORD_1
	v_mul_lo_u32 v44, v47, v249
	v_mul_lo_u32 v45, v66, v249
	v_cvt_f32_f16_e32 v212, v224
	v_cvt_f32_f16_sdwa v190, v225 dst_sel:DWORD dst_unused:UNUSED_PAD src0_sel:WORD_1
	v_cvt_f32_i32_e32 v45, v45
	v_cvt_f32_i32_e32 v44, v44
	v_mul_lo_u32 v47, v49, v252
	v_mul_lo_u32 v49, v82, v252
	v_cvt_f32_f16_e32 v208, v225
	v_cvt_f32_i32_e32 v215, v49
	v_cvt_f32_i32_e32 v214, v47
	v_pk_fma_f32 v[66:67], v[170:171], v[210:211], 0 op_sel_hi:[0,1,0]
	v_pk_fma_f32 v[44:45], v[44:45], v[212:213], 0 op_sel_hi:[1,1,0]
	;; [unrolled: 1-line block ×3, first 2 shown]
	v_pk_fma_f32 v[44:45], v[214:215], v[208:209], v[44:45]
	v_pk_mul_f32 v[66:67], v[66:67], v[130:131]
	v_pk_fma_f32 v[44:45], v[44:45], v[128:129], v[66:67] neg_lo:[0,0,1] neg_hi:[0,0,1]
	v_pk_add_f32 v[22:23], v[22:23], v[44:45]
	v_mov_b32_e32 v44, 0
	v_dot4c_i32_i8_e32 v44, v160, v12
	v_mov_b32_e32 v47, 0
	v_dot4c_i32_i8_e32 v44, v161, v13
	v_dot4c_i32_i8_e32 v47, v168, v4
	;; [unrolled: 1-line block ×15, first 2 shown]
	v_mul_lo_u32 v49, v62, v195
	v_mul_lo_u32 v44, v44, v195
	v_cvt_f32_i32_e32 v45, v44
	v_cvt_f32_i32_e32 v44, v49
	v_mul_lo_u32 v49, v70, v251
	v_mul_lo_u32 v47, v47, v251
	v_cvt_f32_i32_e32 v161, v47
	v_cvt_f32_i32_e32 v160, v49
	v_pk_fma_f32 v[66:67], v[164:165], v[210:211], 0 op_sel_hi:[0,1,0]
	v_pk_fma_f32 v[44:45], v[44:45], v[212:213], 0 op_sel_hi:[1,1,0]
	;; [unrolled: 1-line block ×3, first 2 shown]
	v_pk_fma_f32 v[44:45], v[160:161], v[208:209], v[44:45]
	v_pk_mul_f32 v[66:67], v[66:67], v[134:135]
	v_pk_fma_f32 v[44:45], v[44:45], v[132:133], v[66:67] neg_lo:[0,0,1] neg_hi:[0,0,1]
	v_pk_add_f32 v[20:21], v[20:21], v[44:45]
	v_mov_b32_e32 v44, 0
	v_dot4c_i32_i8_e32 v44, v158, v12
	v_mov_b32_e32 v47, 0
	v_dot4c_i32_i8_e32 v44, v159, v13
	v_dot4c_i32_i8_e32 v47, v166, v4
	;; [unrolled: 1-line block ×15, first 2 shown]
	v_mul_lo_u32 v49, v74, v171
	v_mul_lo_u32 v44, v44, v171
	v_cvt_f32_i32_e32 v45, v44
	v_cvt_f32_i32_e32 v44, v49
	v_mul_lo_u32 v49, v78, v250
	v_mul_lo_u32 v47, v47, v250
	v_cvt_f32_i32_e32 v159, v47
	v_cvt_f32_i32_e32 v158, v49
	v_pk_fma_f32 v[44:45], v[44:45], v[212:213], 0 op_sel_hi:[1,1,0]
	v_pk_fma_f32 v[66:67], v[162:163], v[210:211], 0 op_sel_hi:[0,1,0]
	;; [unrolled: 1-line block ×3, first 2 shown]
	v_pk_fma_f32 v[44:45], v[158:159], v[208:209], v[44:45]
	v_mov_b32_e32 v158, 0
	v_dot4c_i32_i8_e32 v158, v156, v12
	v_dot4c_i32_i8_e32 v158, v157, v13
	;; [unrolled: 1-line block ×5, first 2 shown]
	v_mov_b32_e32 v8, 0
	v_dot4c_i32_i8_e32 v8, v154, v4
	v_dot4c_i32_i8_e32 v8, v155, v5
	;; [unrolled: 1-line block ×11, first 2 shown]
	v_mul_lo_u32 v0, v227, v165
	v_mul_lo_u32 v1, v158, v165
	v_cvt_f32_i32_e32 v1, v1
	v_cvt_f32_i32_e32 v0, v0
	v_mul_lo_u32 v4, v226, v163
	v_mul_lo_u32 v5, v8, v163
	v_cvt_f32_i32_e32 v5, v5
	v_cvt_f32_i32_e32 v4, v4
	v_pk_fma_f32 v[2:3], v[146:147], v[210:211], 0 op_sel_hi:[0,1,0]
	v_pk_fma_f32 v[0:1], v[0:1], v[212:213], 0 op_sel_hi:[1,1,0]
	;; [unrolled: 1-line block ×3, first 2 shown]
	v_pk_mul_f32 v[66:67], v[66:67], v[138:139]
	v_pk_fma_f32 v[0:1], v[4:5], v[208:209], v[0:1]
	v_pk_mul_f32 v[2:3], v[2:3], v[142:143]
	v_pk_fma_f32 v[44:45], v[44:45], v[136:137], v[66:67] neg_lo:[0,0,1] neg_hi:[0,0,1]
	v_pk_fma_f32 v[0:1], v[0:1], v[140:141], v[2:3] neg_lo:[0,0,1] neg_hi:[0,0,1]
	s_add_i32 s5, s4, 8
	v_pk_add_f32 v[18:19], v[18:19], v[44:45]
	v_pk_add_f32 v[16:17], v[16:17], v[0:1]
	s_cmp_lt_u32 s4, 24
	s_mov_b32 s4, s5
	s_cbranch_scc1 .LBB134_8
; %bb.9:                                ;   in Loop: Header=BB134_5 Depth=1
	s_add_i32 s0, s0, 1
	s_cmp_eq_u32 s0, s7
	s_barrier
	s_cbranch_scc0 .LBB134_5
; %bb.10:
	buffer_load_dword v1, off, s[24:27], 0 offset:72 ; 4-byte Folded Reload
	buffer_load_dword v2, off, s[24:27], 0 offset:76 ; 4-byte Folded Reload
.LBB134_11:
	s_waitcnt vmcnt(0)
	v_cmp_gt_u32_e32 vcc, s10, v2
	s_and_saveexec_b64 s[0:1], vcc
	s_cbranch_execz .LBB134_62
; %bb.12:
	v_add_u32_e32 v0, s6, v52
	v_mul_lo_u32 v5, v2, s14
	v_cmp_gt_u32_e32 vcc, s14, v0
	s_and_saveexec_b64 s[2:3], vcc
	s_cbranch_execz .LBB134_14
; %bb.13:
	v_add_u32_e32 v2, v0, v5
	v_mov_b32_e32 v3, 0
	v_lshlrev_b64 v[2:3], 2, v[2:3]
	s_waitcnt lgkmcnt(0)
	v_mov_b32_e32 v4, s13
	v_add_co_u32_e64 v2, s[0:1], s12, v2
	v_addc_co_u32_e64 v3, s[0:1], v4, v3, s[0:1]
	global_store_dword v[2:3], v56, off
.LBB134_14:
	s_or_b64 exec, exec, s[2:3]
	v_add_u32_e32 v2, 32, v0
	v_cmp_gt_u32_e64 s[0:1], s14, v2
	s_and_saveexec_b64 s[4:5], s[0:1]
	s_cbranch_execz .LBB134_16
; %bb.15:
	v_add_u32_e32 v6, v2, v5
	v_mov_b32_e32 v7, 0
	v_lshlrev_b64 v[6:7], 2, v[6:7]
	s_waitcnt lgkmcnt(0)
	v_mov_b32_e32 v3, s13
	v_add_co_u32_e64 v6, s[2:3], s12, v6
	v_addc_co_u32_e64 v7, s[2:3], v3, v7, s[2:3]
	global_store_dword v[6:7], v50, off
.LBB134_16:
	s_or_b64 exec, exec, s[4:5]
	v_add_u32_e32 v3, 64, v0
	v_cmp_gt_u32_e64 s[2:3], s14, v3
	s_and_saveexec_b64 s[6:7], s[2:3]
	;; [unrolled: 15-line block ×3, first 2 shown]
	s_cbranch_execz .LBB134_20
; %bb.19:
	v_add_u32_e32 v6, v4, v5
	v_mov_b32_e32 v7, 0
	v_lshlrev_b64 v[6:7], 2, v[6:7]
	s_waitcnt lgkmcnt(0)
	v_mov_b32_e32 v5, s13
	v_add_co_u32_e64 v6, s[6:7], s12, v6
	v_addc_co_u32_e64 v7, s[6:7], v5, v7, s[6:7]
	global_store_dword v[6:7], v40, off
.LBB134_20:
	s_or_b64 exec, exec, s[8:9]
	v_add3_u32 v5, v1, s15, 8
	v_cmp_gt_u32_e64 s[6:7], s10, v5
	s_and_b64 exec, exec, s[6:7]
	s_cbranch_execz .LBB134_62
; %bb.21:
	v_mul_lo_u32 v5, v5, s14
	s_and_saveexec_b64 s[8:9], vcc
	s_cbranch_execnz .LBB134_63
; %bb.22:
	s_or_b64 exec, exec, s[8:9]
	s_and_saveexec_b64 s[8:9], s[0:1]
	s_cbranch_execnz .LBB134_64
.LBB134_23:
	s_or_b64 exec, exec, s[8:9]
	s_and_saveexec_b64 s[8:9], s[2:3]
	s_cbranch_execnz .LBB134_65
.LBB134_24:
	s_or_b64 exec, exec, s[8:9]
	s_and_saveexec_b64 s[8:9], s[4:5]
	s_cbranch_execz .LBB134_26
.LBB134_25:
	v_add_u32_e32 v6, v5, v4
	v_mov_b32_e32 v7, 0
	v_lshlrev_b64 v[6:7], 2, v[6:7]
	s_waitcnt lgkmcnt(0)
	v_mov_b32_e32 v5, s13
	v_add_co_u32_e64 v6, s[6:7], s12, v6
	v_addc_co_u32_e64 v7, s[6:7], v5, v7, s[6:7]
	global_store_dword v[6:7], v41, off
.LBB134_26:
	s_or_b64 exec, exec, s[8:9]
	v_add3_u32 v5, v1, s15, 16
	v_cmp_gt_u32_e64 s[6:7], s10, v5
	s_and_b64 exec, exec, s[6:7]
	s_cbranch_execz .LBB134_62
; %bb.27:
	v_mul_lo_u32 v5, v5, s14
	s_and_saveexec_b64 s[8:9], vcc
	s_cbranch_execnz .LBB134_66
; %bb.28:
	s_or_b64 exec, exec, s[8:9]
	s_and_saveexec_b64 s[8:9], s[0:1]
	s_cbranch_execnz .LBB134_67
.LBB134_29:
	s_or_b64 exec, exec, s[8:9]
	s_and_saveexec_b64 s[8:9], s[2:3]
	s_cbranch_execnz .LBB134_68
.LBB134_30:
	s_or_b64 exec, exec, s[8:9]
	s_and_saveexec_b64 s[8:9], s[4:5]
	s_cbranch_execz .LBB134_32
.LBB134_31:
	v_add_u32_e32 v6, v5, v4
	v_mov_b32_e32 v7, 0
	v_lshlrev_b64 v[6:7], 2, v[6:7]
	s_waitcnt lgkmcnt(0)
	v_mov_b32_e32 v5, s13
	v_add_co_u32_e64 v6, s[6:7], s12, v6
	v_addc_co_u32_e64 v7, s[6:7], v5, v7, s[6:7]
	global_store_dword v[6:7], v32, off
.LBB134_32:
	s_or_b64 exec, exec, s[8:9]
	v_add3_u32 v5, v1, s15, 24
	v_cmp_gt_u32_e64 s[6:7], s10, v5
	s_and_b64 exec, exec, s[6:7]
	s_cbranch_execz .LBB134_62
; %bb.33:
	v_mul_lo_u32 v5, v5, s14
	s_and_saveexec_b64 s[8:9], vcc
	s_cbranch_execnz .LBB134_69
; %bb.34:
	s_or_b64 exec, exec, s[8:9]
	s_and_saveexec_b64 s[8:9], s[0:1]
	s_cbranch_execnz .LBB134_70
.LBB134_35:
	s_or_b64 exec, exec, s[8:9]
	s_and_saveexec_b64 s[8:9], s[2:3]
	s_cbranch_execnz .LBB134_71
.LBB134_36:
	s_or_b64 exec, exec, s[8:9]
	s_and_saveexec_b64 s[8:9], s[4:5]
	s_cbranch_execz .LBB134_38
.LBB134_37:
	v_add_u32_e32 v6, v5, v4
	v_mov_b32_e32 v7, 0
	v_lshlrev_b64 v[6:7], 2, v[6:7]
	s_waitcnt lgkmcnt(0)
	v_mov_b32_e32 v5, s13
	v_add_co_u32_e64 v6, s[6:7], s12, v6
	v_addc_co_u32_e64 v7, s[6:7], v5, v7, s[6:7]
	global_store_dword v[6:7], v33, off
.LBB134_38:
	s_or_b64 exec, exec, s[8:9]
	v_add3_u32 v5, v1, s15, 32
	v_cmp_gt_u32_e64 s[6:7], s10, v5
	s_and_b64 exec, exec, s[6:7]
	s_cbranch_execz .LBB134_62
; %bb.39:
	v_mul_lo_u32 v5, v5, s14
	s_and_saveexec_b64 s[8:9], vcc
	s_cbranch_execnz .LBB134_72
; %bb.40:
	s_or_b64 exec, exec, s[8:9]
	s_and_saveexec_b64 s[8:9], s[0:1]
	s_cbranch_execnz .LBB134_73
.LBB134_41:
	s_or_b64 exec, exec, s[8:9]
	s_and_saveexec_b64 s[8:9], s[2:3]
	s_cbranch_execnz .LBB134_74
.LBB134_42:
	s_or_b64 exec, exec, s[8:9]
	s_and_saveexec_b64 s[8:9], s[4:5]
	s_cbranch_execz .LBB134_44
.LBB134_43:
	v_add_u32_e32 v6, v5, v4
	v_mov_b32_e32 v7, 0
	v_lshlrev_b64 v[6:7], 2, v[6:7]
	s_waitcnt lgkmcnt(0)
	v_mov_b32_e32 v5, s13
	v_add_co_u32_e64 v6, s[6:7], s12, v6
	v_addc_co_u32_e64 v7, s[6:7], v5, v7, s[6:7]
	global_store_dword v[6:7], v24, off
.LBB134_44:
	s_or_b64 exec, exec, s[8:9]
	v_add3_u32 v5, v1, s15, 40
	v_cmp_gt_u32_e64 s[6:7], s10, v5
	s_and_b64 exec, exec, s[6:7]
	s_cbranch_execz .LBB134_62
; %bb.45:
	v_mul_lo_u32 v5, v5, s14
	s_and_saveexec_b64 s[8:9], vcc
	s_cbranch_execnz .LBB134_75
; %bb.46:
	s_or_b64 exec, exec, s[8:9]
	s_and_saveexec_b64 s[8:9], s[0:1]
	s_cbranch_execnz .LBB134_76
.LBB134_47:
	s_or_b64 exec, exec, s[8:9]
	s_and_saveexec_b64 s[8:9], s[2:3]
	s_cbranch_execnz .LBB134_77
.LBB134_48:
	s_or_b64 exec, exec, s[8:9]
	s_and_saveexec_b64 s[8:9], s[4:5]
	s_cbranch_execz .LBB134_50
.LBB134_49:
	v_add_u32_e32 v6, v5, v4
	v_mov_b32_e32 v7, 0
	v_lshlrev_b64 v[6:7], 2, v[6:7]
	s_waitcnt lgkmcnt(0)
	v_mov_b32_e32 v5, s13
	v_add_co_u32_e64 v6, s[6:7], s12, v6
	v_addc_co_u32_e64 v7, s[6:7], v5, v7, s[6:7]
	global_store_dword v[6:7], v25, off
.LBB134_50:
	s_or_b64 exec, exec, s[8:9]
	v_add3_u32 v5, v1, s15, 48
	v_cmp_gt_u32_e64 s[6:7], s10, v5
	s_and_b64 exec, exec, s[6:7]
	s_cbranch_execz .LBB134_62
; %bb.51:
	v_mul_lo_u32 v5, v5, s14
	s_and_saveexec_b64 s[8:9], vcc
	s_cbranch_execnz .LBB134_78
; %bb.52:
	s_or_b64 exec, exec, s[8:9]
	s_and_saveexec_b64 s[8:9], s[0:1]
	s_cbranch_execnz .LBB134_79
.LBB134_53:
	s_or_b64 exec, exec, s[8:9]
	s_and_saveexec_b64 s[8:9], s[2:3]
	s_cbranch_execnz .LBB134_80
.LBB134_54:
	s_or_b64 exec, exec, s[8:9]
	s_and_saveexec_b64 s[8:9], s[4:5]
	s_cbranch_execz .LBB134_56
.LBB134_55:
	v_add_u32_e32 v6, v5, v4
	v_mov_b32_e32 v7, 0
	v_lshlrev_b64 v[6:7], 2, v[6:7]
	s_waitcnt lgkmcnt(0)
	v_mov_b32_e32 v5, s13
	v_add_co_u32_e64 v6, s[6:7], s12, v6
	v_addc_co_u32_e64 v7, s[6:7], v5, v7, s[6:7]
	global_store_dword v[6:7], v16, off
.LBB134_56:
	s_or_b64 exec, exec, s[8:9]
	v_add3_u32 v1, v1, s15, 56
	v_cmp_gt_u32_e64 s[6:7], s10, v1
	s_and_b64 exec, exec, s[6:7]
	s_cbranch_execz .LBB134_62
; %bb.57:
	v_mul_lo_u32 v1, v1, s14
	s_and_saveexec_b64 s[6:7], vcc
	s_cbranch_execnz .LBB134_81
; %bb.58:
	s_or_b64 exec, exec, s[6:7]
	s_and_saveexec_b64 s[6:7], s[0:1]
	s_cbranch_execnz .LBB134_82
.LBB134_59:
	s_or_b64 exec, exec, s[6:7]
	s_and_saveexec_b64 s[0:1], s[2:3]
	s_cbranch_execnz .LBB134_83
.LBB134_60:
	s_or_b64 exec, exec, s[0:1]
	s_and_b64 exec, exec, s[4:5]
	s_cbranch_execz .LBB134_62
.LBB134_61:
	v_add_u32_e32 v0, v1, v4
	v_mov_b32_e32 v1, 0
	v_lshlrev_b64 v[0:1], 2, v[0:1]
	s_waitcnt lgkmcnt(0)
	v_mov_b32_e32 v2, s13
	v_add_co_u32_e32 v0, vcc, s12, v0
	v_addc_co_u32_e32 v1, vcc, v2, v1, vcc
	global_store_dword v[0:1], v17, off
.LBB134_62:
	s_endpgm
.LBB134_63:
	v_add_u32_e32 v6, v5, v0
	v_mov_b32_e32 v7, 0
	v_lshlrev_b64 v[6:7], 2, v[6:7]
	s_waitcnt lgkmcnt(0)
	v_mov_b32_e32 v8, s13
	v_add_co_u32_e64 v6, s[6:7], s12, v6
	v_addc_co_u32_e64 v7, s[6:7], v8, v7, s[6:7]
	global_store_dword v[6:7], v57, off
	s_or_b64 exec, exec, s[8:9]
	s_and_saveexec_b64 s[8:9], s[0:1]
	s_cbranch_execz .LBB134_23
.LBB134_64:
	v_add_u32_e32 v6, v5, v2
	v_mov_b32_e32 v7, 0
	v_lshlrev_b64 v[6:7], 2, v[6:7]
	s_waitcnt lgkmcnt(0)
	v_mov_b32_e32 v8, s13
	v_add_co_u32_e64 v6, s[6:7], s12, v6
	v_addc_co_u32_e64 v7, s[6:7], v8, v7, s[6:7]
	global_store_dword v[6:7], v51, off
	s_or_b64 exec, exec, s[8:9]
	s_and_saveexec_b64 s[8:9], s[2:3]
	s_cbranch_execz .LBB134_24
.LBB134_65:
	v_add_u32_e32 v6, v5, v3
	v_mov_b32_e32 v7, 0
	v_lshlrev_b64 v[6:7], 2, v[6:7]
	s_waitcnt lgkmcnt(0)
	v_mov_b32_e32 v8, s13
	v_add_co_u32_e64 v6, s[6:7], s12, v6
	v_addc_co_u32_e64 v7, s[6:7], v8, v7, s[6:7]
	global_store_dword v[6:7], v43, off
	s_or_b64 exec, exec, s[8:9]
	s_and_saveexec_b64 s[8:9], s[4:5]
	s_cbranch_execnz .LBB134_25
	s_branch .LBB134_26
.LBB134_66:
	v_add_u32_e32 v6, v5, v0
	v_mov_b32_e32 v7, 0
	v_lshlrev_b64 v[6:7], 2, v[6:7]
	s_waitcnt lgkmcnt(0)
	v_mov_b32_e32 v8, s13
	v_add_co_u32_e64 v6, s[6:7], s12, v6
	v_addc_co_u32_e64 v7, s[6:7], v8, v7, s[6:7]
	global_store_dword v[6:7], v38, off
	s_or_b64 exec, exec, s[8:9]
	s_and_saveexec_b64 s[8:9], s[0:1]
	s_cbranch_execz .LBB134_29
.LBB134_67:
	v_add_u32_e32 v6, v5, v2
	v_mov_b32_e32 v7, 0
	v_lshlrev_b64 v[6:7], 2, v[6:7]
	s_waitcnt lgkmcnt(0)
	v_mov_b32_e32 v8, s13
	v_add_co_u32_e64 v6, s[6:7], s12, v6
	v_addc_co_u32_e64 v7, s[6:7], v8, v7, s[6:7]
	global_store_dword v[6:7], v36, off
	s_or_b64 exec, exec, s[8:9]
	s_and_saveexec_b64 s[8:9], s[2:3]
	s_cbranch_execz .LBB134_30
.LBB134_68:
	v_add_u32_e32 v6, v5, v3
	v_mov_b32_e32 v7, 0
	v_lshlrev_b64 v[6:7], 2, v[6:7]
	s_waitcnt lgkmcnt(0)
	v_mov_b32_e32 v8, s13
	v_add_co_u32_e64 v6, s[6:7], s12, v6
	v_addc_co_u32_e64 v7, s[6:7], v8, v7, s[6:7]
	global_store_dword v[6:7], v34, off
	s_or_b64 exec, exec, s[8:9]
	s_and_saveexec_b64 s[8:9], s[4:5]
	s_cbranch_execnz .LBB134_31
	s_branch .LBB134_32
.LBB134_69:
	v_add_u32_e32 v6, v5, v0
	v_mov_b32_e32 v7, 0
	v_lshlrev_b64 v[6:7], 2, v[6:7]
	s_waitcnt lgkmcnt(0)
	v_mov_b32_e32 v8, s13
	v_add_co_u32_e64 v6, s[6:7], s12, v6
	v_addc_co_u32_e64 v7, s[6:7], v8, v7, s[6:7]
	global_store_dword v[6:7], v39, off
	s_or_b64 exec, exec, s[8:9]
	s_and_saveexec_b64 s[8:9], s[0:1]
	s_cbranch_execz .LBB134_35
.LBB134_70:
	v_add_u32_e32 v6, v5, v2
	v_mov_b32_e32 v7, 0
	v_lshlrev_b64 v[6:7], 2, v[6:7]
	s_waitcnt lgkmcnt(0)
	v_mov_b32_e32 v8, s13
	v_add_co_u32_e64 v6, s[6:7], s12, v6
	v_addc_co_u32_e64 v7, s[6:7], v8, v7, s[6:7]
	global_store_dword v[6:7], v37, off
	s_or_b64 exec, exec, s[8:9]
	s_and_saveexec_b64 s[8:9], s[2:3]
	s_cbranch_execz .LBB134_36
.LBB134_71:
	v_add_u32_e32 v6, v5, v3
	v_mov_b32_e32 v7, 0
	v_lshlrev_b64 v[6:7], 2, v[6:7]
	s_waitcnt lgkmcnt(0)
	v_mov_b32_e32 v8, s13
	v_add_co_u32_e64 v6, s[6:7], s12, v6
	v_addc_co_u32_e64 v7, s[6:7], v8, v7, s[6:7]
	global_store_dword v[6:7], v35, off
	s_or_b64 exec, exec, s[8:9]
	s_and_saveexec_b64 s[8:9], s[4:5]
	s_cbranch_execnz .LBB134_37
	s_branch .LBB134_38
.LBB134_72:
	v_add_u32_e32 v6, v5, v0
	v_mov_b32_e32 v7, 0
	v_lshlrev_b64 v[6:7], 2, v[6:7]
	s_waitcnt lgkmcnt(0)
	v_mov_b32_e32 v8, s13
	v_add_co_u32_e64 v6, s[6:7], s12, v6
	v_addc_co_u32_e64 v7, s[6:7], v8, v7, s[6:7]
	global_store_dword v[6:7], v30, off
	s_or_b64 exec, exec, s[8:9]
	s_and_saveexec_b64 s[8:9], s[0:1]
	s_cbranch_execz .LBB134_41
.LBB134_73:
	v_add_u32_e32 v6, v5, v2
	v_mov_b32_e32 v7, 0
	v_lshlrev_b64 v[6:7], 2, v[6:7]
	s_waitcnt lgkmcnt(0)
	v_mov_b32_e32 v8, s13
	v_add_co_u32_e64 v6, s[6:7], s12, v6
	v_addc_co_u32_e64 v7, s[6:7], v8, v7, s[6:7]
	global_store_dword v[6:7], v28, off
	s_or_b64 exec, exec, s[8:9]
	s_and_saveexec_b64 s[8:9], s[2:3]
	s_cbranch_execz .LBB134_42
.LBB134_74:
	v_add_u32_e32 v6, v5, v3
	v_mov_b32_e32 v7, 0
	v_lshlrev_b64 v[6:7], 2, v[6:7]
	s_waitcnt lgkmcnt(0)
	v_mov_b32_e32 v8, s13
	v_add_co_u32_e64 v6, s[6:7], s12, v6
	v_addc_co_u32_e64 v7, s[6:7], v8, v7, s[6:7]
	global_store_dword v[6:7], v26, off
	s_or_b64 exec, exec, s[8:9]
	s_and_saveexec_b64 s[8:9], s[4:5]
	s_cbranch_execnz .LBB134_43
	s_branch .LBB134_44
.LBB134_75:
	v_add_u32_e32 v6, v5, v0
	v_mov_b32_e32 v7, 0
	v_lshlrev_b64 v[6:7], 2, v[6:7]
	s_waitcnt lgkmcnt(0)
	v_mov_b32_e32 v8, s13
	v_add_co_u32_e64 v6, s[6:7], s12, v6
	v_addc_co_u32_e64 v7, s[6:7], v8, v7, s[6:7]
	global_store_dword v[6:7], v31, off
	s_or_b64 exec, exec, s[8:9]
	s_and_saveexec_b64 s[8:9], s[0:1]
	s_cbranch_execz .LBB134_47
.LBB134_76:
	v_add_u32_e32 v6, v5, v2
	v_mov_b32_e32 v7, 0
	v_lshlrev_b64 v[6:7], 2, v[6:7]
	s_waitcnt lgkmcnt(0)
	v_mov_b32_e32 v8, s13
	v_add_co_u32_e64 v6, s[6:7], s12, v6
	v_addc_co_u32_e64 v7, s[6:7], v8, v7, s[6:7]
	global_store_dword v[6:7], v29, off
	s_or_b64 exec, exec, s[8:9]
	s_and_saveexec_b64 s[8:9], s[2:3]
	s_cbranch_execz .LBB134_48
.LBB134_77:
	v_add_u32_e32 v6, v5, v3
	v_mov_b32_e32 v7, 0
	v_lshlrev_b64 v[6:7], 2, v[6:7]
	s_waitcnt lgkmcnt(0)
	v_mov_b32_e32 v8, s13
	v_add_co_u32_e64 v6, s[6:7], s12, v6
	v_addc_co_u32_e64 v7, s[6:7], v8, v7, s[6:7]
	global_store_dword v[6:7], v27, off
	s_or_b64 exec, exec, s[8:9]
	s_and_saveexec_b64 s[8:9], s[4:5]
	s_cbranch_execnz .LBB134_49
	s_branch .LBB134_50
.LBB134_78:
	v_add_u32_e32 v6, v5, v0
	v_mov_b32_e32 v7, 0
	v_lshlrev_b64 v[6:7], 2, v[6:7]
	s_waitcnt lgkmcnt(0)
	v_mov_b32_e32 v8, s13
	v_add_co_u32_e64 v6, s[6:7], s12, v6
	v_addc_co_u32_e64 v7, s[6:7], v8, v7, s[6:7]
	global_store_dword v[6:7], v22, off
	s_or_b64 exec, exec, s[8:9]
	s_and_saveexec_b64 s[8:9], s[0:1]
	s_cbranch_execz .LBB134_53
.LBB134_79:
	v_add_u32_e32 v6, v5, v2
	v_mov_b32_e32 v7, 0
	v_lshlrev_b64 v[6:7], 2, v[6:7]
	s_waitcnt lgkmcnt(0)
	v_mov_b32_e32 v8, s13
	v_add_co_u32_e64 v6, s[6:7], s12, v6
	v_addc_co_u32_e64 v7, s[6:7], v8, v7, s[6:7]
	global_store_dword v[6:7], v20, off
	s_or_b64 exec, exec, s[8:9]
	s_and_saveexec_b64 s[8:9], s[2:3]
	s_cbranch_execz .LBB134_54
.LBB134_80:
	v_add_u32_e32 v6, v5, v3
	v_mov_b32_e32 v7, 0
	v_lshlrev_b64 v[6:7], 2, v[6:7]
	s_waitcnt lgkmcnt(0)
	v_mov_b32_e32 v8, s13
	v_add_co_u32_e64 v6, s[6:7], s12, v6
	v_addc_co_u32_e64 v7, s[6:7], v8, v7, s[6:7]
	global_store_dword v[6:7], v18, off
	s_or_b64 exec, exec, s[8:9]
	s_and_saveexec_b64 s[8:9], s[4:5]
	s_cbranch_execnz .LBB134_55
	s_branch .LBB134_56
.LBB134_81:
	v_add_u32_e32 v6, v1, v0
	v_mov_b32_e32 v7, 0
	v_lshlrev_b64 v[6:7], 2, v[6:7]
	s_waitcnt lgkmcnt(0)
	v_mov_b32_e32 v0, s13
	v_add_co_u32_e32 v6, vcc, s12, v6
	v_addc_co_u32_e32 v7, vcc, v0, v7, vcc
	global_store_dword v[6:7], v23, off
	s_or_b64 exec, exec, s[6:7]
	s_and_saveexec_b64 s[6:7], s[0:1]
	s_cbranch_execz .LBB134_59
.LBB134_82:
	v_add_u32_e32 v6, v1, v2
	v_mov_b32_e32 v7, 0
	v_lshlrev_b64 v[6:7], 2, v[6:7]
	s_waitcnt lgkmcnt(0)
	v_mov_b32_e32 v0, s13
	v_add_co_u32_e32 v6, vcc, s12, v6
	v_addc_co_u32_e32 v7, vcc, v0, v7, vcc
	global_store_dword v[6:7], v21, off
	s_or_b64 exec, exec, s[6:7]
	s_and_saveexec_b64 s[0:1], s[2:3]
	s_cbranch_execz .LBB134_60
.LBB134_83:
	v_add_u32_e32 v2, v1, v3
	v_mov_b32_e32 v3, 0
	v_lshlrev_b64 v[2:3], 2, v[2:3]
	s_waitcnt lgkmcnt(0)
	v_mov_b32_e32 v0, s13
	v_add_co_u32_e32 v2, vcc, s12, v2
	v_addc_co_u32_e32 v3, vcc, v0, v3, vcc
	global_store_dword v[2:3], v19, off
	s_or_b64 exec, exec, s[0:1]
	s_and_b64 exec, exec, s[4:5]
	s_cbranch_execnz .LBB134_61
	s_branch .LBB134_62
	.section	.rodata,"a",@progbits
	.p2align	6, 0x0
	.amdhsa_kernel _ZL12mul_mat_q5_KIfLb1EEvPKvS1_PT_iiiii
		.amdhsa_group_segment_fixed_size 45136
		.amdhsa_private_segment_fixed_size 84
		.amdhsa_kernarg_size 44
		.amdhsa_user_sgpr_count 6
		.amdhsa_user_sgpr_private_segment_buffer 1
		.amdhsa_user_sgpr_dispatch_ptr 0
		.amdhsa_user_sgpr_queue_ptr 0
		.amdhsa_user_sgpr_kernarg_segment_ptr 1
		.amdhsa_user_sgpr_dispatch_id 0
		.amdhsa_user_sgpr_flat_scratch_init 0
		.amdhsa_user_sgpr_kernarg_preload_length 0
		.amdhsa_user_sgpr_kernarg_preload_offset 0
		.amdhsa_user_sgpr_private_segment_size 0
		.amdhsa_uses_dynamic_stack 0
		.amdhsa_system_sgpr_private_segment_wavefront_offset 1
		.amdhsa_system_sgpr_workgroup_id_x 1
		.amdhsa_system_sgpr_workgroup_id_y 1
		.amdhsa_system_sgpr_workgroup_id_z 0
		.amdhsa_system_sgpr_workgroup_info 0
		.amdhsa_system_vgpr_workitem_id 1
		.amdhsa_next_free_vgpr 256
		.amdhsa_next_free_sgpr 28
		.amdhsa_accum_offset 256
		.amdhsa_reserve_vcc 1
		.amdhsa_reserve_flat_scratch 0
		.amdhsa_float_round_mode_32 0
		.amdhsa_float_round_mode_16_64 0
		.amdhsa_float_denorm_mode_32 3
		.amdhsa_float_denorm_mode_16_64 3
		.amdhsa_dx10_clamp 1
		.amdhsa_ieee_mode 1
		.amdhsa_fp16_overflow 0
		.amdhsa_tg_split 0
		.amdhsa_exception_fp_ieee_invalid_op 0
		.amdhsa_exception_fp_denorm_src 0
		.amdhsa_exception_fp_ieee_div_zero 0
		.amdhsa_exception_fp_ieee_overflow 0
		.amdhsa_exception_fp_ieee_underflow 0
		.amdhsa_exception_fp_ieee_inexact 0
		.amdhsa_exception_int_div_zero 0
	.end_amdhsa_kernel
	.section	.text._ZL12mul_mat_q5_KIfLb1EEvPKvS1_PT_iiiii,"axG",@progbits,_ZL12mul_mat_q5_KIfLb1EEvPKvS1_PT_iiiii,comdat
.Lfunc_end134:
	.size	_ZL12mul_mat_q5_KIfLb1EEvPKvS1_PT_iiiii, .Lfunc_end134-_ZL12mul_mat_q5_KIfLb1EEvPKvS1_PT_iiiii
                                        ; -- End function
	.section	.AMDGPU.csdata,"",@progbits
; Kernel info:
; codeLenInByte = 17976
; NumSgprs: 32
; NumVgprs: 256
; NumAgprs: 0
; TotalNumVgprs: 256
; ScratchSize: 84
; MemoryBound: 0
; FloatMode: 240
; IeeeMode: 1
; LDSByteSize: 45136 bytes/workgroup (compile time only)
; SGPRBlocks: 3
; VGPRBlocks: 31
; NumSGPRsForWavesPerEU: 32
; NumVGPRsForWavesPerEU: 256
; AccumOffset: 256
; Occupancy: 1
; WaveLimiterHint : 0
; COMPUTE_PGM_RSRC2:SCRATCH_EN: 1
; COMPUTE_PGM_RSRC2:USER_SGPR: 6
; COMPUTE_PGM_RSRC2:TRAP_HANDLER: 0
; COMPUTE_PGM_RSRC2:TGID_X_EN: 1
; COMPUTE_PGM_RSRC2:TGID_Y_EN: 1
; COMPUTE_PGM_RSRC2:TGID_Z_EN: 0
; COMPUTE_PGM_RSRC2:TIDIG_COMP_CNT: 1
; COMPUTE_PGM_RSRC3_GFX90A:ACCUM_OFFSET: 63
; COMPUTE_PGM_RSRC3_GFX90A:TG_SPLIT: 0
	.section	.text._ZL12mul_mat_q6_KIfLb0EEvPKvS1_PT_iiiii,"axG",@progbits,_ZL12mul_mat_q6_KIfLb0EEvPKvS1_PT_iiiii,comdat
	.globl	_ZL12mul_mat_q6_KIfLb0EEvPKvS1_PT_iiiii ; -- Begin function _ZL12mul_mat_q6_KIfLb0EEvPKvS1_PT_iiiii
	.p2align	8
	.type	_ZL12mul_mat_q6_KIfLb0EEvPKvS1_PT_iiiii,@function
_ZL12mul_mat_q6_KIfLb0EEvPKvS1_PT_iiiii: ; @_ZL12mul_mat_q6_KIfLb0EEvPKvS1_PT_iiiii
; %bb.0:
	s_load_dword s14, s[4:5], 0x18
	s_load_dwordx4 s[8:11], s[4:5], 0x20
	s_waitcnt lgkmcnt(0)
	s_lshl_b32 s11, s7, 6
	v_bfe_u32 v61, v0, 10, 10
	s_cmpk_gt_i32 s14, 0xff
	s_cbranch_scc1 .LBB135_2
; %bb.1:
	v_bfe_u32 v1, v0, 10, 10
	v_and_b32_e32 v57, 0x3ff, v0
	v_add_u32_e32 v134, s11, v1
	s_mov_b64 s[0:1], 0
	s_mov_b32 s2, 0
	s_branch .LBB135_3
.LBB135_2:
	s_mov_b64 s[0:1], -1
                                        ; implicit-def: $sgpr2
                                        ; implicit-def: $vgpr1
                                        ; implicit-def: $vgpr57
                                        ; implicit-def: $vgpr134
.LBB135_3:
	s_load_dwordx2 s[12:13], s[4:5], 0x10
	s_lshl_b32 s6, s6, 7
	s_andn2_b64 vcc, exec, s[0:1]
	v_mov_b32_e32 v17, s2
	v_mov_b32_e32 v25, s2
	v_mov_b32_e32 v33, s2
	v_mov_b32_e32 v41, s2
	v_mov_b32_e32 v49, s2
	v_mov_b32_e32 v59, s2
	v_mov_b32_e32 v135, s2
	v_mov_b32_e32 v149, s2
	v_mov_b32_e32 v19, s2
	v_mov_b32_e32 v27, s2
	v_mov_b32_e32 v35, s2
	v_mov_b32_e32 v43, s2
	v_mov_b32_e32 v51, s2
	v_mov_b32_e32 v65, s2
	v_mov_b32_e32 v136, s2
	v_mov_b32_e32 v158, s2
	v_mov_b32_e32 v21, s2
	v_mov_b32_e32 v29, s2
	v_mov_b32_e32 v37, s2
	v_mov_b32_e32 v45, s2
	v_mov_b32_e32 v53, s2
	v_mov_b32_e32 v132, s2
	v_mov_b32_e32 v137, s2
	v_mov_b32_e32 v161, s2
	v_mov_b32_e32 v23, s2
	v_mov_b32_e32 v31, s2
	v_mov_b32_e32 v39, s2
	v_mov_b32_e32 v47, s2
	v_mov_b32_e32 v55, s2
	v_mov_b32_e32 v133, s2
	v_mov_b32_e32 v139, s2
	v_mov_b32_e32 v163, s2
	s_cbranch_vccnz .LBB135_11
; %bb.4:
	v_and_b32_e32 v57, 0x3ff, v0
	v_and_b32_e32 v4, 31, v57
	s_load_dwordx4 s[0:3], s[4:5], 0x0
	s_ashr_i32 s4, s14, 31
	v_cmp_lt_u32_e32 vcc, 15, v4
	s_lshr_b32 s4, s4, 24
	v_cndmask_b32_e64 v1, 0, 1, vcc
	s_add_i32 s14, s14, s4
	s_ashr_i32 s5, s9, 31
	v_and_b32_e32 v0, 7, v57
	v_lshlrev_b32_e32 v1, 5, v1
	s_ashr_i32 s4, s14, 8
	s_lshr_b32 s5, s5, 27
	v_lshl_or_b32 v20, v0, 2, v1
	v_add_u16_e32 v0, -16, v4
	v_cmp_gt_u32_e32 vcc, 16, v4
	s_add_i32 s5, s9, s5
	s_mul_i32 s7, s4, s6
	v_cndmask_b32_e32 v0, v0, v4, vcc
	s_ashr_i32 s15, s5, 5
	s_mul_hi_i32 s9, s7, 0xd2
	s_mulk_i32 s7, 0xd2
	v_cmp_lt_u16_e32 vcc, 7, v0
	s_waitcnt lgkmcnt(0)
	s_add_u32 s7, s0, s7
	v_cndmask_b32_e64 v0, 0, 1, vcc
	s_addc_u32 s9, s1, s9
	v_lshlrev_b32_e32 v138, 1, v0
	v_and_or_b32 v0, v57, 15, v1
	v_mul_u32_u24_e32 v1, 0x41, v61
	s_lshl_b32 s0, s4, 3
	v_add_lshl_u32 v140, v0, v1, 2
	v_mov_b32_e32 v0, s0
	v_mad_i32_i24 v24, s4, v61, v0
	v_add_u32_e32 v26, s0, v24
	v_lshlrev_b32_e32 v157, 5, v61
	v_add_u32_e32 v28, s0, v26
	v_add_u32_e32 v0, v157, v57
	;; [unrolled: 1-line block ×3, first 2 shown]
	v_and_b32_e32 v1, 0x7f, v0
	v_lshrrev_b32_e32 v0, 3, v0
	v_add_u32_e32 v32, s0, v30
	v_mul_i32_i24_e32 v54, s4, v1
	v_and_b32_e32 v0, 12, v0
	v_lshlrev_b32_e32 v1, 2, v1
	s_mov_b32 s16, 0xae40
	v_add_u32_e32 v34, s0, v32
	v_add3_u32 v159, v1, v0, s16
	v_lshlrev_b32_e32 v1, 3, v61
	v_lshrrev_b32_e32 v2, 2, v57
	v_add_u32_e32 v36, s0, v34
	v_add_u32_e32 v5, v2, v1
	v_and_b32_e32 v0, 3, v57
	v_add_u16_e32 v1, v2, v1
	v_add_u32_e32 v38, s0, v36
	v_lshlrev_b32_e32 v56, 2, v0
	v_and_b32_e32 v3, 0x7f, v5
	v_lshrrev_b16_e32 v1, 1, v1
	v_add_u32_e32 v40, s0, v38
	v_lshl_or_b32 v6, v3, 4, v56
	v_and_b32_e32 v1, 60, v1
	s_mov_b32 s17, 0xa200
	v_add_u32_e32 v42, s0, v40
	v_add3_u32 v160, v6, v1, s17
	v_xor_b32_e32 v1, 64, v3
	v_add_u32_e32 v44, s0, v42
	v_mul_i32_i24_e32 v60, s4, v1
	v_lshl_or_b32 v2, v1, 4, v56
	v_lshrrev_b32_e32 v1, 1, v1
	v_add_u32_e32 v46, s0, v44
	v_and_b32_e32 v1, 60, v1
	v_lshlrev_b32_e32 v6, 2, v57
	v_add_u32_e32 v48, s0, v46
	v_add3_u32 v162, v2, v1, s17
	v_and_b32_e32 v1, 28, v6
	v_add_u32_e32 v50, s0, v48
	v_add_co_u32_e32 v62, vcc, s2, v1
	v_and_b32_e32 v1, 63, v5
	v_add_u32_e32 v52, s0, v50
	s_add_i32 s0, s8, -1
	v_or_b32_e32 v5, s11, v1
	v_min_i32_e32 v5, s0, v5
	v_mul_i32_i24_e32 v58, s4, v3
	v_add_u32_e32 v134, s11, v61
	v_cvt_f64_i32_e32 v[2:3], s0
	v_mad_u64_u32 v[64:65], s[0:1], v5, s15, v[0:1]
	v_lshl_or_b32 v0, v1, 4, v56
	v_add_u32_e32 v164, 0xaa40, v0
	v_cvt_f64_u32_e32 v[0:1], v134
	v_min_f64 v[0:1], v[0:1], v[2:3]
	v_cvt_i32_f64_e32 v0, v[0:1]
	v_mul_lo_u32 v166, s15, v0
	v_or_b32_e32 v0, v157, v4
	v_mov_b32_e32 v5, 0x8200
	v_lshl_add_u32 v167, v0, 2, v5
	v_add_u32_e32 v0, 8, v134
	v_cvt_f64_u32_e32 v[0:1], v0
	v_min_f64 v[0:1], v[0:1], v[2:3]
	v_cvt_i32_f64_e32 v0, v[0:1]
	v_add_u32_e32 v169, 0x100, v157
	v_mul_lo_u32 v168, s15, v0
	v_or_b32_e32 v0, v169, v4
	v_lshl_add_u32 v170, v0, 2, v5
	v_add_u32_e32 v0, 16, v134
	v_cvt_f64_u32_e32 v[0:1], v0
	v_min_f64 v[0:1], v[0:1], v[2:3]
	v_cvt_i32_f64_e32 v0, v[0:1]
	v_add_u32_e32 v172, 0x200, v157
	v_mul_lo_u32 v171, s15, v0
	v_or_b32_e32 v0, v172, v4
	;; [unrolled: 8-line block ×6, first 2 shown]
	v_lshl_add_u32 v185, v0, 2, v5
	v_add_u32_e32 v0, 56, v134
	v_cvt_f64_u32_e32 v[0:1], v0
	v_min_f64 v[0:1], v[0:1], v[2:3]
	v_cvt_i32_f64_e32 v0, v[0:1]
	v_add_u32_e32 v187, 0x700, v157
	v_lshrrev_b32_e32 v16, 5, v57
	v_mul_lo_u32 v186, s15, v0
	v_or_b32_e32 v0, v187, v4
	v_lshl_add_u32 v188, v0, 2, v5
	v_lshlrev_b32_e32 v0, 2, v16
	v_add3_u32 v189, v0, v6, s16
	v_add_u32_e32 v0, 32, v57
	v_lshrrev_b32_e32 v190, 3, v0
	v_and_b32_e32 v1, 60, v190
	v_add3_u32 v191, v6, v1, s16
	v_add_u32_e32 v1, 64, v57
	v_lshrrev_b32_e32 v2, 3, v1
	v_and_b32_e32 v2, 60, v2
	v_add3_u32 v192, v6, v2, s16
	v_add_u32_e32 v2, 0x60, v57
	v_lshrrev_b32_e32 v3, 3, v2
	v_lshrrev_b32_e32 v165, 3, v57
	v_and_b32_e32 v3, 60, v3
	v_lshlrev_b32_e32 v18, 2, v4
	v_add3_u32 v193, v6, v3, s16
	v_lshlrev_b32_e32 v3, 2, v165
	v_lshlrev_b32_e32 v4, 4, v57
	v_add3_u32 v194, v4, v3, s17
	v_lshlrev_b32_e32 v3, 2, v190
	v_lshlrev_b32_e32 v0, 4, v0
	s_movk_i32 s0, 0x104
	v_add3_u32 v196, v3, v0, s17
	v_mov_b32_e32 v0, 0x2080
	v_mad_u32_u24 v197, v57, s0, v0
	v_lshrrev_b32_e32 v0, 1, v1
	v_and_b32_e32 v0, 0xfc, v0
	v_lshlrev_b32_e32 v1, 4, v1
	v_add3_u32 v198, v1, v0, s17
	v_mov_b32_e32 v0, 0x4100
	v_mad_u32_u24 v199, v57, s0, v0
	v_lshrrev_b32_e32 v0, 1, v2
	v_and_b32_e32 v0, 0xfc, v0
	v_lshlrev_b32_e32 v1, 4, v2
	v_mov_b32_e32 v7, s3
	v_add3_u32 v200, v1, v0, s17
	v_mov_b32_e32 v0, 0x6180
	s_movk_i32 s5, 0xd2
	s_mov_b32 s14, 0
	v_mul_i32_i24_e32 v22, s4, v61
	v_add_u32_e32 v141, 0x820, v140
	v_add_u32_e32 v142, 0x1040, v140
	;; [unrolled: 1-line block ×15, first 2 shown]
	v_addc_co_u32_e32 v63, vcc, 0, v7, vcc
	v_mul_u32_u24_e32 v195, 0x104, v57
	v_mad_u32_u24 v201, v57, s0, v0
	s_mov_b32 s15, 0xf0f0f0f
	s_mov_b32 s16, 0x30303030
	s_movk_i32 s17, 0x3f00
	s_movk_i32 s18, 0xe000
	v_mov_b32_e32 v202, 8
	v_mov_b32_e32 v163, 0
	;; [unrolled: 1-line block ×33, first 2 shown]
.LBB135_5:                              ; =>This Loop Header: Depth=1
                                        ;     Child Loop BB135_6 Depth 2
                                        ;     Child Loop BB135_8 Depth 2
	s_mul_i32 s0, s14, 0xd2
	s_mul_hi_u32 s1, s14, 0xd2
	s_add_u32 s0, s7, s0
	s_addc_u32 s1, s9, s1
	v_pk_mov_b32 v[0:1], s[0:1], s[0:1] op_sel:[0,1]
	v_mad_u64_u32 v[2:3], s[20:21], v16, s5, v[0:1]
	v_mad_u64_u32 v[4:5], s[20:21], v22, s5, v[2:3]
	v_add_co_u32_e32 v6, vcc, v4, v18
	v_addc_co_u32_e32 v7, vcc, 0, v5, vcc
	v_add_co_u32_e32 v4, vcc, v4, v20
	v_addc_co_u32_e32 v5, vcc, 0, v5, vcc
	v_mad_u64_u32 v[8:9], s[20:21], v24, s5, v[2:3]
	v_add_co_u32_e32 v10, vcc, v8, v18
	v_addc_co_u32_e32 v11, vcc, 0, v9, vcc
	global_load_dword v12, v[6:7], off
	global_load_dword v13, v[4:5], off offset:128
	s_nop 0
	global_load_dword v10, v[10:11], off
	v_add_co_u32_e32 v4, vcc, v8, v20
	v_addc_co_u32_e32 v5, vcc, 0, v9, vcc
	global_load_dword v8, v[4:5], off offset:128
	v_mad_u64_u32 v[4:5], s[20:21], v26, s5, v[2:3]
	v_add_co_u32_e32 v6, vcc, v4, v18
	v_addc_co_u32_e32 v7, vcc, 0, v5, vcc
	v_add_co_u32_e32 v4, vcc, v4, v20
	v_addc_co_u32_e32 v5, vcc, 0, v5, vcc
	global_load_dword v9, v[6:7], off
	global_load_dword v11, v[4:5], off offset:128
	v_mad_u64_u32 v[4:5], s[20:21], v28, s5, v[2:3]
	v_add_co_u32_e32 v6, vcc, v4, v18
	v_addc_co_u32_e32 v7, vcc, 0, v5, vcc
	v_add_co_u32_e32 v4, vcc, v4, v20
	v_addc_co_u32_e32 v5, vcc, 0, v5, vcc
	global_load_dword v14, v[6:7], off
	global_load_dword v15, v[4:5], off offset:128
	s_lshl_b32 s19, s14, 3
	v_mad_u64_u32 v[0:1], s[20:21], v54, s5, v[0:1]
	v_add_u32_e32 v203, s19, v64
	s_waitcnt vmcnt(7)
	v_and_b32_e32 v4, 0xf0f0f0f, v12
	s_waitcnt vmcnt(6)
	v_ashrrev_i32_e32 v6, v138, v13
	v_lshrrev_b32_e32 v5, 4, v12
	v_lshlrev_b32_e32 v12, 4, v6
	v_and_b32_e32 v6, 0x30303030, v6
	s_waitcnt vmcnt(5)
	v_and_b32_e32 v7, 0xf0f0f0f, v10
	v_and_or_b32 v4, v12, s16, v4
	s_waitcnt vmcnt(4)
	v_ashrrev_i32_e32 v8, v138, v8
	v_lshlrev_b32_e32 v13, 4, v8
	v_and_or_b32 v5, v5, s15, v6
	v_and_or_b32 v6, v13, s16, v7
	v_and_b32_e32 v7, 0x3f00, v4
	v_lshlrev_b16_e32 v12, 8, v4
	v_and_b32_sdwa v13, v4, s17 dst_sel:DWORD dst_unused:UNUSED_PAD src0_sel:WORD_1 src1_sel:DWORD
	v_lshlrev_b16_sdwa v4, v202, v4 dst_sel:DWORD dst_unused:UNUSED_PAD src0_sel:DWORD src1_sel:WORD_1
	v_and_b32_e32 v66, 0x3f00, v5
	v_lshlrev_b16_e32 v67, 8, v5
	v_and_b32_sdwa v68, v5, s17 dst_sel:DWORD dst_unused:UNUSED_PAD src0_sel:WORD_1 src1_sel:DWORD
	v_lshlrev_b16_sdwa v5, v202, v5 dst_sel:DWORD dst_unused:UNUSED_PAD src0_sel:DWORD src1_sel:WORD_1
	v_add_u16_e32 v12, 0xe000, v12
	v_add_u16_e32 v4, 0xe000, v4
	;; [unrolled: 1-line block ×4, first 2 shown]
	v_or_b32_sdwa v7, v7, v12 dst_sel:DWORD dst_unused:UNUSED_PAD src0_sel:DWORD src1_sel:BYTE_1
	v_or_b32_sdwa v4, v13, v4 dst_sel:DWORD dst_unused:UNUSED_PAD src0_sel:DWORD src1_sel:BYTE_1
	;; [unrolled: 1-line block ×4, first 2 shown]
	v_add_u16_e32 v7, 0xe000, v7
	v_add_u16_sdwa v4, v4, s18 dst_sel:WORD_1 dst_unused:UNUSED_PAD src0_sel:DWORD src1_sel:DWORD
	v_add_u16_e32 v12, 0xe000, v12
	v_add_u16_sdwa v5, v5, s18 dst_sel:WORD_1 dst_unused:UNUSED_PAD src0_sel:DWORD src1_sel:DWORD
	v_or_b32_e32 v4, v7, v4
	v_or_b32_e32 v5, v12, v5
	ds_write2_b32 v140, v4, v5 offset1:16
	v_lshlrev_b16_sdwa v5, v202, v6 dst_sel:DWORD dst_unused:UNUSED_PAD src0_sel:DWORD src1_sel:WORD_1
	v_lshrrev_b32_e32 v10, 4, v10
	v_and_b32_e32 v8, 0x30303030, v8
	v_and_b32_sdwa v4, v6, s17 dst_sel:DWORD dst_unused:UNUSED_PAD src0_sel:WORD_1 src1_sel:DWORD
	v_add_u16_e32 v5, 0xe000, v5
	v_or_b32_sdwa v4, v4, v5 dst_sel:DWORD dst_unused:UNUSED_PAD src0_sel:DWORD src1_sel:BYTE_1
	v_and_or_b32 v5, v10, s15, v8
	v_lshlrev_b16_e32 v7, 8, v5
	v_and_b32_e32 v69, 0x3f00, v6
	v_lshlrev_b16_e32 v70, 8, v6
	v_and_b32_e32 v6, 0x3f00, v5
	v_add_u16_e32 v7, 0xe000, v7
	v_or_b32_sdwa v6, v6, v7 dst_sel:DWORD dst_unused:UNUSED_PAD src0_sel:DWORD src1_sel:BYTE_1
	v_and_b32_sdwa v7, v5, s17 dst_sel:DWORD dst_unused:UNUSED_PAD src0_sel:WORD_1 src1_sel:DWORD
	v_lshlrev_b16_sdwa v5, v202, v5 dst_sel:DWORD dst_unused:UNUSED_PAD src0_sel:DWORD src1_sel:WORD_1
	v_add_u16_e32 v70, 0xe000, v70
	v_add_u16_e32 v5, 0xe000, v5
	v_or_b32_sdwa v13, v69, v70 dst_sel:DWORD dst_unused:UNUSED_PAD src0_sel:DWORD src1_sel:BYTE_1
	v_or_b32_sdwa v5, v7, v5 dst_sel:DWORD dst_unused:UNUSED_PAD src0_sel:DWORD src1_sel:BYTE_1
	v_add_u16_e32 v13, 0xe000, v13
	v_add_u16_sdwa v4, v4, s18 dst_sel:WORD_1 dst_unused:UNUSED_PAD src0_sel:DWORD src1_sel:DWORD
	v_add_u16_e32 v6, 0xe000, v6
	v_add_u16_sdwa v5, v5, s18 dst_sel:WORD_1 dst_unused:UNUSED_PAD src0_sel:DWORD src1_sel:DWORD
	v_or_b32_e32 v4, v13, v4
	v_or_b32_e32 v5, v6, v5
	s_waitcnt vmcnt(2)
	v_ashrrev_i32_e32 v6, v138, v11
	ds_write2_b32 v141, v4, v5 offset1:16
	v_and_b32_e32 v4, 0xf0f0f0f, v9
	v_lshlrev_b32_e32 v7, 4, v6
	v_and_or_b32 v4, v7, s16, v4
	v_lshlrev_b16_e32 v8, 8, v4
	v_and_b32_e32 v7, 0x3f00, v4
	v_add_u16_e32 v8, 0xe000, v8
	v_or_b32_sdwa v7, v7, v8 dst_sel:DWORD dst_unused:UNUSED_PAD src0_sel:DWORD src1_sel:BYTE_1
	v_and_b32_sdwa v8, v4, s17 dst_sel:DWORD dst_unused:UNUSED_PAD src0_sel:WORD_1 src1_sel:DWORD
	v_lshlrev_b16_sdwa v4, v202, v4 dst_sel:DWORD dst_unused:UNUSED_PAD src0_sel:DWORD src1_sel:WORD_1
	v_add_u16_e32 v4, 0xe000, v4
	v_or_b32_sdwa v4, v8, v4 dst_sel:DWORD dst_unused:UNUSED_PAD src0_sel:DWORD src1_sel:BYTE_1
	v_lshrrev_b32_e32 v5, 4, v9
	v_and_b32_e32 v6, 0x30303030, v6
	v_add_u16_e32 v7, 0xe000, v7
	v_add_u16_sdwa v4, v4, s18 dst_sel:WORD_1 dst_unused:UNUSED_PAD src0_sel:DWORD src1_sel:DWORD
	v_or_b32_e32 v8, v7, v4
	v_and_or_b32 v9, v5, s15, v6
	v_mad_u64_u32 v[4:5], s[20:21], v30, s5, v[2:3]
	v_add_co_u32_e32 v6, vcc, v4, v18
	v_addc_co_u32_e32 v7, vcc, 0, v5, vcc
	v_add_co_u32_e32 v4, vcc, v4, v20
	v_addc_co_u32_e32 v5, vcc, 0, v5, vcc
	global_load_dword v11, v[6:7], off
	global_load_dword v12, v[4:5], off offset:128
	v_lshlrev_b16_e32 v4, 8, v9
	v_lshlrev_b16_sdwa v6, v202, v9 dst_sel:DWORD dst_unused:UNUSED_PAD src0_sel:DWORD src1_sel:WORD_1
	v_and_b32_e32 v10, 0x3f00, v9
	v_add_u16_e32 v4, 0xe000, v4
	v_and_b32_sdwa v5, v9, s17 dst_sel:DWORD dst_unused:UNUSED_PAD src0_sel:WORD_1 src1_sel:DWORD
	v_add_u16_e32 v6, 0xe000, v6
	v_or_b32_sdwa v4, v10, v4 dst_sel:DWORD dst_unused:UNUSED_PAD src0_sel:DWORD src1_sel:BYTE_1
	v_or_b32_sdwa v5, v5, v6 dst_sel:DWORD dst_unused:UNUSED_PAD src0_sel:DWORD src1_sel:BYTE_1
	v_add_u16_e32 v4, 0xe000, v4
	v_add_u16_sdwa v5, v5, s18 dst_sel:WORD_1 dst_unused:UNUSED_PAD src0_sel:DWORD src1_sel:DWORD
	v_or_b32_e32 v4, v4, v5
	s_waitcnt vmcnt(2)
	v_ashrrev_i32_e32 v5, v138, v15
	ds_write2_b32 v142, v8, v4 offset1:16
	v_and_b32_e32 v4, 0xf0f0f0f, v14
	v_lshlrev_b32_e32 v6, 4, v5
	v_and_b32_e32 v9, 0x30303030, v5
	v_and_or_b32 v10, v6, s16, v4
	v_mad_u64_u32 v[4:5], s[20:21], v32, s5, v[2:3]
	v_add_co_u32_e32 v6, vcc, v4, v18
	v_addc_co_u32_e32 v7, vcc, 0, v5, vcc
	v_add_co_u32_e32 v4, vcc, v4, v20
	v_addc_co_u32_e32 v5, vcc, 0, v5, vcc
	v_lshrrev_b32_e32 v8, 4, v14
	global_load_dword v14, v[6:7], off
	global_load_dword v15, v[4:5], off offset:128
	v_lshlrev_b16_e32 v4, 8, v10
	v_lshlrev_b16_sdwa v6, v202, v10 dst_sel:DWORD dst_unused:UNUSED_PAD src0_sel:DWORD src1_sel:WORD_1
	v_and_b32_e32 v13, 0x3f00, v10
	v_add_u16_e32 v4, 0xe000, v4
	v_and_b32_sdwa v5, v10, s17 dst_sel:DWORD dst_unused:UNUSED_PAD src0_sel:WORD_1 src1_sel:DWORD
	v_add_u16_e32 v6, 0xe000, v6
	v_or_b32_sdwa v4, v13, v4 dst_sel:DWORD dst_unused:UNUSED_PAD src0_sel:DWORD src1_sel:BYTE_1
	v_or_b32_sdwa v5, v5, v6 dst_sel:DWORD dst_unused:UNUSED_PAD src0_sel:DWORD src1_sel:BYTE_1
	v_add_u16_e32 v4, 0xe000, v4
	v_add_u16_sdwa v5, v5, s18 dst_sel:WORD_1 dst_unused:UNUSED_PAD src0_sel:DWORD src1_sel:DWORD
	v_or_b32_e32 v10, v4, v5
	v_and_or_b32 v4, v8, s15, v9
	v_lshlrev_b16_e32 v6, 8, v4
	v_and_b32_e32 v5, 0x3f00, v4
	v_add_u16_e32 v6, 0xe000, v6
	v_or_b32_sdwa v5, v5, v6 dst_sel:DWORD dst_unused:UNUSED_PAD src0_sel:DWORD src1_sel:BYTE_1
	v_add_u16_e32 v8, 0xe000, v5
	v_and_b32_sdwa v9, v4, s17 dst_sel:DWORD dst_unused:UNUSED_PAD src0_sel:WORD_1 src1_sel:DWORD
	v_lshlrev_b16_sdwa v13, v202, v4 dst_sel:DWORD dst_unused:UNUSED_PAD src0_sel:DWORD src1_sel:WORD_1
	v_mad_u64_u32 v[4:5], s[20:21], v34, s5, v[2:3]
	v_add_co_u32_e32 v6, vcc, v4, v18
	v_addc_co_u32_e32 v7, vcc, 0, v5, vcc
	v_add_co_u32_e32 v4, vcc, v4, v20
	v_addc_co_u32_e32 v5, vcc, 0, v5, vcc
	global_load_dword v66, v[6:7], off
	global_load_dword v67, v[4:5], off offset:128
	v_add_u16_e32 v4, 0xe000, v13
	v_or_b32_sdwa v4, v9, v4 dst_sel:DWORD dst_unused:UNUSED_PAD src0_sel:DWORD src1_sel:BYTE_1
	v_add_u16_sdwa v4, v4, s18 dst_sel:WORD_1 dst_unused:UNUSED_PAD src0_sel:DWORD src1_sel:DWORD
	v_or_b32_e32 v4, v8, v4
	ds_write2_b32 v143, v10, v4 offset1:16
	v_mad_u64_u32 v[4:5], s[20:21], v36, s5, v[2:3]
	v_add_co_u32_e32 v6, vcc, v4, v18
	v_addc_co_u32_e32 v7, vcc, 0, v5, vcc
	v_add_co_u32_e32 v4, vcc, v4, v20
	v_addc_co_u32_e32 v5, vcc, 0, v5, vcc
	global_load_dword v8, v[6:7], off
	global_load_dword v9, v[4:5], off offset:128
	s_waitcnt vmcnt(7)
	v_and_b32_e32 v4, 0xf0f0f0f, v11
	s_waitcnt vmcnt(6)
	v_ashrrev_i32_e32 v6, v138, v12
	v_lshlrev_b32_e32 v7, 4, v6
	v_and_or_b32 v4, v7, s16, v4
	v_lshlrev_b16_e32 v10, 8, v4
	v_and_b32_e32 v7, 0x3f00, v4
	v_add_u16_e32 v10, 0xe000, v10
	v_or_b32_sdwa v7, v7, v10 dst_sel:DWORD dst_unused:UNUSED_PAD src0_sel:DWORD src1_sel:BYTE_1
	v_and_b32_sdwa v10, v4, s17 dst_sel:DWORD dst_unused:UNUSED_PAD src0_sel:WORD_1 src1_sel:DWORD
	v_lshlrev_b16_sdwa v4, v202, v4 dst_sel:DWORD dst_unused:UNUSED_PAD src0_sel:DWORD src1_sel:WORD_1
	v_add_u16_e32 v4, 0xe000, v4
	v_lshrrev_b32_e32 v5, 4, v11
	v_and_b32_e32 v6, 0x30303030, v6
	v_or_b32_sdwa v4, v10, v4 dst_sel:DWORD dst_unused:UNUSED_PAD src0_sel:DWORD src1_sel:BYTE_1
	v_add_u16_e32 v7, 0xe000, v7
	v_add_u16_sdwa v4, v4, s18 dst_sel:WORD_1 dst_unused:UNUSED_PAD src0_sel:DWORD src1_sel:DWORD
	v_and_or_b32 v5, v5, s15, v6
	v_or_b32_e32 v4, v7, v4
	v_lshlrev_b16_e32 v7, 8, v5
	v_and_b32_e32 v6, 0x3f00, v5
	v_add_u16_e32 v7, 0xe000, v7
	v_or_b32_sdwa v6, v6, v7 dst_sel:DWORD dst_unused:UNUSED_PAD src0_sel:DWORD src1_sel:BYTE_1
	v_and_b32_sdwa v7, v5, s17 dst_sel:DWORD dst_unused:UNUSED_PAD src0_sel:WORD_1 src1_sel:DWORD
	v_lshlrev_b16_sdwa v5, v202, v5 dst_sel:DWORD dst_unused:UNUSED_PAD src0_sel:DWORD src1_sel:WORD_1
	v_add_u16_e32 v5, 0xe000, v5
	v_or_b32_sdwa v5, v7, v5 dst_sel:DWORD dst_unused:UNUSED_PAD src0_sel:DWORD src1_sel:BYTE_1
	v_add_u16_e32 v6, 0xe000, v6
	v_add_u16_sdwa v5, v5, s18 dst_sel:WORD_1 dst_unused:UNUSED_PAD src0_sel:DWORD src1_sel:DWORD
	v_or_b32_e32 v5, v6, v5
	ds_write2_b32 v144, v4, v5 offset1:16
	s_waitcnt vmcnt(5)
	v_and_b32_e32 v4, 0xf0f0f0f, v14
	s_waitcnt vmcnt(4)
	v_ashrrev_i32_e32 v6, v138, v15
	v_lshlrev_b32_e32 v7, 4, v6
	v_and_or_b32 v4, v7, s16, v4
	v_lshlrev_b16_e32 v10, 8, v4
	v_and_b32_e32 v7, 0x3f00, v4
	v_add_u16_e32 v10, 0xe000, v10
	v_or_b32_sdwa v7, v7, v10 dst_sel:DWORD dst_unused:UNUSED_PAD src0_sel:DWORD src1_sel:BYTE_1
	v_and_b32_sdwa v10, v4, s17 dst_sel:DWORD dst_unused:UNUSED_PAD src0_sel:WORD_1 src1_sel:DWORD
	v_lshlrev_b16_sdwa v4, v202, v4 dst_sel:DWORD dst_unused:UNUSED_PAD src0_sel:DWORD src1_sel:WORD_1
	v_add_u16_e32 v4, 0xe000, v4
	v_lshrrev_b32_e32 v5, 4, v14
	v_and_b32_e32 v6, 0x30303030, v6
	v_or_b32_sdwa v4, v10, v4 dst_sel:DWORD dst_unused:UNUSED_PAD src0_sel:DWORD src1_sel:BYTE_1
	v_add_u16_e32 v7, 0xe000, v7
	v_add_u16_sdwa v4, v4, s18 dst_sel:WORD_1 dst_unused:UNUSED_PAD src0_sel:DWORD src1_sel:DWORD
	v_and_or_b32 v5, v5, s15, v6
	v_or_b32_e32 v4, v7, v4
	v_lshlrev_b16_e32 v7, 8, v5
	v_and_b32_e32 v6, 0x3f00, v5
	v_add_u16_e32 v7, 0xe000, v7
	v_or_b32_sdwa v6, v6, v7 dst_sel:DWORD dst_unused:UNUSED_PAD src0_sel:DWORD src1_sel:BYTE_1
	v_and_b32_sdwa v7, v5, s17 dst_sel:DWORD dst_unused:UNUSED_PAD src0_sel:WORD_1 src1_sel:DWORD
	v_lshlrev_b16_sdwa v5, v202, v5 dst_sel:DWORD dst_unused:UNUSED_PAD src0_sel:DWORD src1_sel:WORD_1
	v_add_u16_e32 v5, 0xe000, v5
	v_or_b32_sdwa v5, v7, v5 dst_sel:DWORD dst_unused:UNUSED_PAD src0_sel:DWORD src1_sel:BYTE_1
	v_add_u16_e32 v6, 0xe000, v6
	v_add_u16_sdwa v5, v5, s18 dst_sel:WORD_1 dst_unused:UNUSED_PAD src0_sel:DWORD src1_sel:DWORD
	v_or_b32_e32 v5, v6, v5
	ds_write2_b32 v145, v4, v5 offset1:16
	s_waitcnt vmcnt(3)
	v_and_b32_e32 v4, 0xf0f0f0f, v66
	s_waitcnt vmcnt(2)
	v_ashrrev_i32_e32 v6, v138, v67
	v_lshlrev_b32_e32 v7, 4, v6
	v_and_or_b32 v4, v7, s16, v4
	v_lshlrev_b16_e32 v10, 8, v4
	v_and_b32_e32 v7, 0x3f00, v4
	v_add_u16_e32 v10, 0xe000, v10
	v_or_b32_sdwa v7, v7, v10 dst_sel:DWORD dst_unused:UNUSED_PAD src0_sel:DWORD src1_sel:BYTE_1
	v_and_b32_sdwa v10, v4, s17 dst_sel:DWORD dst_unused:UNUSED_PAD src0_sel:WORD_1 src1_sel:DWORD
	v_lshlrev_b16_sdwa v4, v202, v4 dst_sel:DWORD dst_unused:UNUSED_PAD src0_sel:DWORD src1_sel:WORD_1
	v_add_u16_e32 v4, 0xe000, v4
	v_or_b32_sdwa v4, v10, v4 dst_sel:DWORD dst_unused:UNUSED_PAD src0_sel:DWORD src1_sel:BYTE_1
	v_lshrrev_b32_e32 v5, 4, v66
	v_and_b32_e32 v6, 0x30303030, v6
	v_add_u16_e32 v7, 0xe000, v7
	v_add_u16_sdwa v4, v4, s18 dst_sel:WORD_1 dst_unused:UNUSED_PAD src0_sel:DWORD src1_sel:DWORD
	v_or_b32_e32 v10, v7, v4
	v_and_or_b32 v11, v5, s15, v6
	v_mad_u64_u32 v[4:5], s[20:21], v38, s5, v[2:3]
	v_add_co_u32_e32 v6, vcc, v4, v18
	v_addc_co_u32_e32 v7, vcc, 0, v5, vcc
	v_add_co_u32_e32 v4, vcc, v4, v20
	v_addc_co_u32_e32 v5, vcc, 0, v5, vcc
	global_load_dword v13, v[6:7], off
	global_load_dword v14, v[4:5], off offset:128
	v_lshlrev_b16_e32 v4, 8, v11
	v_lshlrev_b16_sdwa v6, v202, v11 dst_sel:DWORD dst_unused:UNUSED_PAD src0_sel:DWORD src1_sel:WORD_1
	v_and_b32_e32 v12, 0x3f00, v11
	v_add_u16_e32 v4, 0xe000, v4
	v_and_b32_sdwa v5, v11, s17 dst_sel:DWORD dst_unused:UNUSED_PAD src0_sel:WORD_1 src1_sel:DWORD
	v_add_u16_e32 v6, 0xe000, v6
	v_or_b32_sdwa v4, v12, v4 dst_sel:DWORD dst_unused:UNUSED_PAD src0_sel:DWORD src1_sel:BYTE_1
	v_or_b32_sdwa v5, v5, v6 dst_sel:DWORD dst_unused:UNUSED_PAD src0_sel:DWORD src1_sel:BYTE_1
	v_add_u16_e32 v4, 0xe000, v4
	v_add_u16_sdwa v5, v5, s18 dst_sel:WORD_1 dst_unused:UNUSED_PAD src0_sel:DWORD src1_sel:DWORD
	v_or_b32_e32 v4, v4, v5
	s_waitcnt vmcnt(2)
	v_ashrrev_i32_e32 v5, v138, v9
	ds_write2_b32 v146, v10, v4 offset1:16
	v_and_b32_e32 v4, 0xf0f0f0f, v8
	v_lshlrev_b32_e32 v6, 4, v5
	v_and_b32_e32 v9, 0x30303030, v5
	v_and_or_b32 v10, v6, s16, v4
	v_mad_u64_u32 v[4:5], s[20:21], v40, s5, v[2:3]
	v_add_co_u32_e32 v6, vcc, v4, v18
	v_addc_co_u32_e32 v7, vcc, 0, v5, vcc
	v_add_co_u32_e32 v4, vcc, v4, v20
	v_addc_co_u32_e32 v5, vcc, 0, v5, vcc
	global_load_dword v12, v[6:7], off
	global_load_dword v15, v[4:5], off offset:128
	v_lshlrev_b16_e32 v4, 8, v10
	v_lshlrev_b16_sdwa v6, v202, v10 dst_sel:DWORD dst_unused:UNUSED_PAD src0_sel:DWORD src1_sel:WORD_1
	v_and_b32_e32 v11, 0x3f00, v10
	v_add_u16_e32 v4, 0xe000, v4
	v_and_b32_sdwa v5, v10, s17 dst_sel:DWORD dst_unused:UNUSED_PAD src0_sel:WORD_1 src1_sel:DWORD
	v_add_u16_e32 v6, 0xe000, v6
	v_or_b32_sdwa v4, v11, v4 dst_sel:DWORD dst_unused:UNUSED_PAD src0_sel:DWORD src1_sel:BYTE_1
	v_or_b32_sdwa v5, v5, v6 dst_sel:DWORD dst_unused:UNUSED_PAD src0_sel:DWORD src1_sel:BYTE_1
	v_lshrrev_b32_e32 v8, 4, v8
	v_add_u16_e32 v4, 0xe000, v4
	v_add_u16_sdwa v5, v5, s18 dst_sel:WORD_1 dst_unused:UNUSED_PAD src0_sel:DWORD src1_sel:DWORD
	v_or_b32_e32 v10, v4, v5
	v_and_or_b32 v4, v8, s15, v9
	v_lshlrev_b16_e32 v6, 8, v4
	v_and_b32_e32 v5, 0x3f00, v4
	v_add_u16_e32 v6, 0xe000, v6
	v_or_b32_sdwa v5, v5, v6 dst_sel:DWORD dst_unused:UNUSED_PAD src0_sel:DWORD src1_sel:BYTE_1
	v_add_u16_e32 v8, 0xe000, v5
	v_and_b32_sdwa v9, v4, s17 dst_sel:DWORD dst_unused:UNUSED_PAD src0_sel:WORD_1 src1_sel:DWORD
	v_lshlrev_b16_sdwa v11, v202, v4 dst_sel:DWORD dst_unused:UNUSED_PAD src0_sel:DWORD src1_sel:WORD_1
	v_mad_u64_u32 v[4:5], s[20:21], v42, s5, v[2:3]
	v_add_co_u32_e32 v6, vcc, v4, v18
	v_addc_co_u32_e32 v7, vcc, 0, v5, vcc
	v_add_co_u32_e32 v4, vcc, v4, v20
	v_addc_co_u32_e32 v5, vcc, 0, v5, vcc
	global_load_dword v66, v[6:7], off
	global_load_dword v67, v[4:5], off offset:128
	v_add_u16_e32 v4, 0xe000, v11
	v_or_b32_sdwa v4, v9, v4 dst_sel:DWORD dst_unused:UNUSED_PAD src0_sel:DWORD src1_sel:BYTE_1
	v_add_u16_sdwa v4, v4, s18 dst_sel:WORD_1 dst_unused:UNUSED_PAD src0_sel:DWORD src1_sel:DWORD
	v_or_b32_e32 v4, v8, v4
	ds_write2_b32 v147, v10, v4 offset1:16
	v_mad_u64_u32 v[4:5], s[20:21], v44, s5, v[2:3]
	v_add_co_u32_e32 v6, vcc, v4, v18
	v_addc_co_u32_e32 v7, vcc, 0, v5, vcc
	v_add_co_u32_e32 v4, vcc, v4, v20
	v_addc_co_u32_e32 v5, vcc, 0, v5, vcc
	global_load_dword v8, v[6:7], off
	global_load_dword v9, v[4:5], off offset:128
	s_waitcnt vmcnt(7)
	v_and_b32_e32 v4, 0xf0f0f0f, v13
	s_waitcnt vmcnt(6)
	v_ashrrev_i32_e32 v6, v138, v14
	v_lshlrev_b32_e32 v7, 4, v6
	v_and_or_b32 v4, v7, s16, v4
	v_lshlrev_b16_e32 v10, 8, v4
	v_and_b32_e32 v7, 0x3f00, v4
	v_add_u16_e32 v10, 0xe000, v10
	v_or_b32_sdwa v7, v7, v10 dst_sel:DWORD dst_unused:UNUSED_PAD src0_sel:DWORD src1_sel:BYTE_1
	v_and_b32_sdwa v10, v4, s17 dst_sel:DWORD dst_unused:UNUSED_PAD src0_sel:WORD_1 src1_sel:DWORD
	v_lshlrev_b16_sdwa v4, v202, v4 dst_sel:DWORD dst_unused:UNUSED_PAD src0_sel:DWORD src1_sel:WORD_1
	v_add_u16_e32 v4, 0xe000, v4
	v_lshrrev_b32_e32 v5, 4, v13
	v_and_b32_e32 v6, 0x30303030, v6
	v_or_b32_sdwa v4, v10, v4 dst_sel:DWORD dst_unused:UNUSED_PAD src0_sel:DWORD src1_sel:BYTE_1
	v_add_u16_e32 v7, 0xe000, v7
	v_add_u16_sdwa v4, v4, s18 dst_sel:WORD_1 dst_unused:UNUSED_PAD src0_sel:DWORD src1_sel:DWORD
	v_and_or_b32 v5, v5, s15, v6
	v_or_b32_e32 v4, v7, v4
	v_lshlrev_b16_e32 v7, 8, v5
	v_and_b32_e32 v6, 0x3f00, v5
	v_add_u16_e32 v7, 0xe000, v7
	v_or_b32_sdwa v6, v6, v7 dst_sel:DWORD dst_unused:UNUSED_PAD src0_sel:DWORD src1_sel:BYTE_1
	v_and_b32_sdwa v7, v5, s17 dst_sel:DWORD dst_unused:UNUSED_PAD src0_sel:WORD_1 src1_sel:DWORD
	v_lshlrev_b16_sdwa v5, v202, v5 dst_sel:DWORD dst_unused:UNUSED_PAD src0_sel:DWORD src1_sel:WORD_1
	v_add_u16_e32 v5, 0xe000, v5
	v_or_b32_sdwa v5, v7, v5 dst_sel:DWORD dst_unused:UNUSED_PAD src0_sel:DWORD src1_sel:BYTE_1
	v_add_u16_e32 v6, 0xe000, v6
	v_add_u16_sdwa v5, v5, s18 dst_sel:WORD_1 dst_unused:UNUSED_PAD src0_sel:DWORD src1_sel:DWORD
	v_or_b32_e32 v5, v6, v5
	ds_write2_b32 v148, v4, v5 offset1:16
	s_waitcnt vmcnt(4)
	v_ashrrev_i32_e32 v6, v138, v15
	v_and_b32_e32 v4, 0xf0f0f0f, v12
	v_lshlrev_b32_e32 v7, 4, v6
	v_and_or_b32 v4, v7, s16, v4
	v_lshlrev_b16_e32 v10, 8, v4
	v_and_b32_e32 v7, 0x3f00, v4
	v_add_u16_e32 v10, 0xe000, v10
	v_or_b32_sdwa v7, v7, v10 dst_sel:DWORD dst_unused:UNUSED_PAD src0_sel:DWORD src1_sel:BYTE_1
	v_and_b32_sdwa v10, v4, s17 dst_sel:DWORD dst_unused:UNUSED_PAD src0_sel:WORD_1 src1_sel:DWORD
	v_lshlrev_b16_sdwa v4, v202, v4 dst_sel:DWORD dst_unused:UNUSED_PAD src0_sel:DWORD src1_sel:WORD_1
	v_add_u16_e32 v4, 0xe000, v4
	v_lshrrev_b32_e32 v5, 4, v12
	v_and_b32_e32 v6, 0x30303030, v6
	v_or_b32_sdwa v4, v10, v4 dst_sel:DWORD dst_unused:UNUSED_PAD src0_sel:DWORD src1_sel:BYTE_1
	v_add_u16_e32 v7, 0xe000, v7
	v_add_u16_sdwa v4, v4, s18 dst_sel:WORD_1 dst_unused:UNUSED_PAD src0_sel:DWORD src1_sel:DWORD
	v_and_or_b32 v5, v5, s15, v6
	v_or_b32_e32 v4, v7, v4
	v_lshlrev_b16_e32 v7, 8, v5
	v_and_b32_e32 v6, 0x3f00, v5
	v_add_u16_e32 v7, 0xe000, v7
	v_or_b32_sdwa v6, v6, v7 dst_sel:DWORD dst_unused:UNUSED_PAD src0_sel:DWORD src1_sel:BYTE_1
	v_and_b32_sdwa v7, v5, s17 dst_sel:DWORD dst_unused:UNUSED_PAD src0_sel:WORD_1 src1_sel:DWORD
	v_lshlrev_b16_sdwa v5, v202, v5 dst_sel:DWORD dst_unused:UNUSED_PAD src0_sel:DWORD src1_sel:WORD_1
	v_add_u16_e32 v5, 0xe000, v5
	v_or_b32_sdwa v5, v7, v5 dst_sel:DWORD dst_unused:UNUSED_PAD src0_sel:DWORD src1_sel:BYTE_1
	v_add_u16_e32 v6, 0xe000, v6
	v_add_u16_sdwa v5, v5, s18 dst_sel:WORD_1 dst_unused:UNUSED_PAD src0_sel:DWORD src1_sel:DWORD
	v_or_b32_e32 v5, v6, v5
	ds_write2_b32 v150, v4, v5 offset1:16
	s_waitcnt vmcnt(3)
	v_and_b32_e32 v4, 0xf0f0f0f, v66
	s_waitcnt vmcnt(2)
	v_ashrrev_i32_e32 v6, v138, v67
	v_lshlrev_b32_e32 v7, 4, v6
	v_and_or_b32 v4, v7, s16, v4
	v_lshlrev_b16_e32 v10, 8, v4
	v_and_b32_e32 v7, 0x3f00, v4
	v_add_u16_e32 v10, 0xe000, v10
	v_or_b32_sdwa v7, v7, v10 dst_sel:DWORD dst_unused:UNUSED_PAD src0_sel:DWORD src1_sel:BYTE_1
	v_and_b32_sdwa v10, v4, s17 dst_sel:DWORD dst_unused:UNUSED_PAD src0_sel:WORD_1 src1_sel:DWORD
	v_lshlrev_b16_sdwa v4, v202, v4 dst_sel:DWORD dst_unused:UNUSED_PAD src0_sel:DWORD src1_sel:WORD_1
	v_add_u16_e32 v4, 0xe000, v4
	v_or_b32_sdwa v4, v10, v4 dst_sel:DWORD dst_unused:UNUSED_PAD src0_sel:DWORD src1_sel:BYTE_1
	v_lshrrev_b32_e32 v5, 4, v66
	v_and_b32_e32 v6, 0x30303030, v6
	v_add_u16_e32 v7, 0xe000, v7
	v_add_u16_sdwa v4, v4, s18 dst_sel:WORD_1 dst_unused:UNUSED_PAD src0_sel:DWORD src1_sel:DWORD
	v_or_b32_e32 v10, v7, v4
	v_and_or_b32 v11, v5, s15, v6
	v_mad_u64_u32 v[4:5], s[20:21], v46, s5, v[2:3]
	v_add_co_u32_e32 v6, vcc, v4, v18
	v_addc_co_u32_e32 v7, vcc, 0, v5, vcc
	v_add_co_u32_e32 v4, vcc, v4, v20
	v_addc_co_u32_e32 v5, vcc, 0, v5, vcc
	global_load_dword v13, v[6:7], off
	global_load_dword v14, v[4:5], off offset:128
	v_lshlrev_b16_e32 v4, 8, v11
	v_lshlrev_b16_sdwa v6, v202, v11 dst_sel:DWORD dst_unused:UNUSED_PAD src0_sel:DWORD src1_sel:WORD_1
	v_and_b32_e32 v12, 0x3f00, v11
	v_add_u16_e32 v4, 0xe000, v4
	v_and_b32_sdwa v5, v11, s17 dst_sel:DWORD dst_unused:UNUSED_PAD src0_sel:WORD_1 src1_sel:DWORD
	v_add_u16_e32 v6, 0xe000, v6
	v_or_b32_sdwa v4, v12, v4 dst_sel:DWORD dst_unused:UNUSED_PAD src0_sel:DWORD src1_sel:BYTE_1
	v_or_b32_sdwa v5, v5, v6 dst_sel:DWORD dst_unused:UNUSED_PAD src0_sel:DWORD src1_sel:BYTE_1
	v_add_u16_e32 v4, 0xe000, v4
	v_add_u16_sdwa v5, v5, s18 dst_sel:WORD_1 dst_unused:UNUSED_PAD src0_sel:DWORD src1_sel:DWORD
	v_or_b32_e32 v4, v4, v5
	s_waitcnt vmcnt(2)
	v_ashrrev_i32_e32 v5, v138, v9
	ds_write2_b32 v151, v10, v4 offset1:16
	v_and_b32_e32 v4, 0xf0f0f0f, v8
	v_lshlrev_b32_e32 v6, 4, v5
	v_and_b32_e32 v9, 0x30303030, v5
	v_and_or_b32 v10, v6, s16, v4
	v_mad_u64_u32 v[4:5], s[20:21], v48, s5, v[2:3]
	v_add_co_u32_e32 v6, vcc, v4, v18
	v_addc_co_u32_e32 v7, vcc, 0, v5, vcc
	v_add_co_u32_e32 v4, vcc, v4, v20
	v_addc_co_u32_e32 v5, vcc, 0, v5, vcc
	global_load_dword v12, v[6:7], off
	global_load_dword v15, v[4:5], off offset:128
	v_lshlrev_b16_e32 v4, 8, v10
	v_lshlrev_b16_sdwa v6, v202, v10 dst_sel:DWORD dst_unused:UNUSED_PAD src0_sel:DWORD src1_sel:WORD_1
	v_and_b32_e32 v11, 0x3f00, v10
	v_add_u16_e32 v4, 0xe000, v4
	v_and_b32_sdwa v5, v10, s17 dst_sel:DWORD dst_unused:UNUSED_PAD src0_sel:WORD_1 src1_sel:DWORD
	v_add_u16_e32 v6, 0xe000, v6
	v_or_b32_sdwa v4, v11, v4 dst_sel:DWORD dst_unused:UNUSED_PAD src0_sel:DWORD src1_sel:BYTE_1
	v_or_b32_sdwa v5, v5, v6 dst_sel:DWORD dst_unused:UNUSED_PAD src0_sel:DWORD src1_sel:BYTE_1
	v_lshrrev_b32_e32 v8, 4, v8
	v_add_u16_e32 v4, 0xe000, v4
	v_add_u16_sdwa v5, v5, s18 dst_sel:WORD_1 dst_unused:UNUSED_PAD src0_sel:DWORD src1_sel:DWORD
	v_or_b32_e32 v4, v4, v5
	v_and_or_b32 v5, v8, s15, v9
	v_lshlrev_b16_e32 v7, 8, v5
	v_and_b32_e32 v6, 0x3f00, v5
	v_add_u16_e32 v7, 0xe000, v7
	v_or_b32_sdwa v6, v6, v7 dst_sel:DWORD dst_unused:UNUSED_PAD src0_sel:DWORD src1_sel:BYTE_1
	v_and_b32_sdwa v7, v5, s17 dst_sel:DWORD dst_unused:UNUSED_PAD src0_sel:WORD_1 src1_sel:DWORD
	v_lshlrev_b16_sdwa v5, v202, v5 dst_sel:DWORD dst_unused:UNUSED_PAD src0_sel:DWORD src1_sel:WORD_1
	v_add_u16_e32 v5, 0xe000, v5
	v_or_b32_sdwa v5, v7, v5 dst_sel:DWORD dst_unused:UNUSED_PAD src0_sel:DWORD src1_sel:BYTE_1
	v_add_u16_e32 v6, 0xe000, v6
	v_add_u16_sdwa v5, v5, s18 dst_sel:WORD_1 dst_unused:UNUSED_PAD src0_sel:DWORD src1_sel:DWORD
	v_or_b32_e32 v5, v6, v5
	ds_write2_b32 v152, v4, v5 offset1:16
	v_mad_u64_u32 v[4:5], s[20:21], v50, s5, v[2:3]
	v_add_co_u32_e32 v6, vcc, v4, v18
	v_addc_co_u32_e32 v7, vcc, 0, v5, vcc
	v_add_co_u32_e32 v4, vcc, v4, v20
	v_addc_co_u32_e32 v5, vcc, 0, v5, vcc
	v_mad_u64_u32 v[2:3], s[20:21], v52, s5, v[2:3]
	v_add_co_u32_e32 v8, vcc, v2, v18
	v_addc_co_u32_e32 v9, vcc, 0, v3, vcc
	v_add_co_u32_e32 v2, vcc, v2, v20
	v_addc_co_u32_e32 v3, vcc, 0, v3, vcc
	global_load_dword v68, v[6:7], off
	global_load_dword v69, v[4:5], off offset:128
	global_load_dword v70, v[8:9], off
	global_load_dword v71, v[2:3], off offset:128
	s_mov_b32 s21, 0
	s_waitcnt vmcnt(7)
	v_and_b32_e32 v2, 0xf0f0f0f, v13
	s_waitcnt vmcnt(6)
	v_ashrrev_i32_e32 v4, v138, v14
	v_lshlrev_b32_e32 v5, 4, v4
	v_and_or_b32 v2, v5, s16, v2
	v_lshlrev_b16_e32 v6, 8, v2
	v_and_b32_e32 v5, 0x3f00, v2
	v_add_u16_e32 v6, 0xe000, v6
	v_or_b32_sdwa v5, v5, v6 dst_sel:DWORD dst_unused:UNUSED_PAD src0_sel:DWORD src1_sel:BYTE_1
	v_and_b32_sdwa v6, v2, s17 dst_sel:DWORD dst_unused:UNUSED_PAD src0_sel:WORD_1 src1_sel:DWORD
	v_lshlrev_b16_sdwa v2, v202, v2 dst_sel:DWORD dst_unused:UNUSED_PAD src0_sel:DWORD src1_sel:WORD_1
	v_add_u16_e32 v2, 0xe000, v2
	v_lshrrev_b32_e32 v3, 4, v13
	v_and_b32_e32 v4, 0x30303030, v4
	v_or_b32_sdwa v2, v6, v2 dst_sel:DWORD dst_unused:UNUSED_PAD src0_sel:DWORD src1_sel:BYTE_1
	v_add_u16_e32 v5, 0xe000, v5
	v_add_u16_sdwa v2, v2, s18 dst_sel:WORD_1 dst_unused:UNUSED_PAD src0_sel:DWORD src1_sel:DWORD
	v_and_or_b32 v3, v3, s15, v4
	v_or_b32_e32 v2, v5, v2
	v_lshlrev_b16_e32 v5, 8, v3
	v_and_b32_e32 v4, 0x3f00, v3
	v_add_u16_e32 v5, 0xe000, v5
	v_or_b32_sdwa v4, v4, v5 dst_sel:DWORD dst_unused:UNUSED_PAD src0_sel:DWORD src1_sel:BYTE_1
	v_and_b32_sdwa v5, v3, s17 dst_sel:DWORD dst_unused:UNUSED_PAD src0_sel:WORD_1 src1_sel:DWORD
	v_lshlrev_b16_sdwa v3, v202, v3 dst_sel:DWORD dst_unused:UNUSED_PAD src0_sel:DWORD src1_sel:WORD_1
	v_add_u16_e32 v3, 0xe000, v3
	v_or_b32_sdwa v3, v5, v3 dst_sel:DWORD dst_unused:UNUSED_PAD src0_sel:DWORD src1_sel:BYTE_1
	v_add_u16_e32 v4, 0xe000, v4
	v_add_u16_sdwa v3, v3, s18 dst_sel:WORD_1 dst_unused:UNUSED_PAD src0_sel:DWORD src1_sel:DWORD
	v_or_b32_e32 v3, v4, v3
	ds_write2_b32 v153, v2, v3 offset1:16
	s_waitcnt vmcnt(4)
	v_ashrrev_i32_e32 v4, v138, v15
	v_and_b32_e32 v2, 0xf0f0f0f, v12
	v_lshlrev_b32_e32 v5, 4, v4
	v_and_or_b32 v2, v5, s16, v2
	v_lshlrev_b16_e32 v6, 8, v2
	v_and_b32_e32 v5, 0x3f00, v2
	v_add_u16_e32 v6, 0xe000, v6
	v_or_b32_sdwa v5, v5, v6 dst_sel:DWORD dst_unused:UNUSED_PAD src0_sel:DWORD src1_sel:BYTE_1
	v_and_b32_sdwa v6, v2, s17 dst_sel:DWORD dst_unused:UNUSED_PAD src0_sel:WORD_1 src1_sel:DWORD
	v_lshlrev_b16_sdwa v2, v202, v2 dst_sel:DWORD dst_unused:UNUSED_PAD src0_sel:DWORD src1_sel:WORD_1
	v_lshrrev_b32_e32 v3, 4, v12
	v_and_b32_e32 v4, 0x30303030, v4
	v_add_u16_e32 v2, 0xe000, v2
	v_or_b32_sdwa v2, v6, v2 dst_sel:DWORD dst_unused:UNUSED_PAD src0_sel:DWORD src1_sel:BYTE_1
	v_and_or_b32 v73, v3, s15, v4
	v_add_u16_e32 v5, 0xe000, v5
	v_add_u16_sdwa v2, v2, s18 dst_sel:WORD_1 dst_unused:UNUSED_PAD src0_sel:DWORD src1_sel:DWORD
	v_lshlrev_b16_e32 v3, 8, v73
	v_or_b32_e32 v72, v5, v2
	v_and_b32_e32 v2, 0x3f00, v73
	v_add_u16_e32 v3, 0xe000, v3
	v_or_b32_sdwa v2, v2, v3 dst_sel:DWORD dst_unused:UNUSED_PAD src0_sel:DWORD src1_sel:BYTE_1
	v_add_u16_e32 v74, 0xe000, v2
	v_mov_b32_e32 v3, s1
	v_add_co_u32_e32 v2, vcc, s0, v56
	v_addc_co_u32_e32 v3, vcc, 0, v3, vcc
	v_mad_u64_u32 v[4:5], s[0:1], v58, s5, v[2:3]
	v_mad_u64_u32 v[2:3], s[0:1], v60, s5, v[2:3]
	v_add_u32_e32 v14, s19, v165
	global_load_ushort v75, v[0:1], off offset:208
	global_load_dword v76, v[4:5], off offset:192
	global_load_dword v77, v[2:3], off offset:192
	v_add_u32_e32 v0, v14, v166
	v_add_u32_e32 v2, v14, v168
	;; [unrolled: 1-line block ×5, first 2 shown]
	v_mad_i64_i32 v[0:1], s[0:1], v0, 36, v[62:63]
	v_mad_i64_i32 v[2:3], s[0:1], v2, 36, v[62:63]
	;; [unrolled: 1-line block ×5, first 2 shown]
	v_add_u32_e32 v10, v14, v180
	v_add_u32_e32 v12, v14, v183
	v_add_u32_e32 v14, v14, v186
	v_mad_i64_i32 v[10:11], s[0:1], v10, 36, v[62:63]
	v_mad_i64_i32 v[12:13], s[0:1], v12, 36, v[62:63]
	;; [unrolled: 1-line block ×3, first 2 shown]
	v_mad_u64_u32 v[66:67], s[0:1], v203, 36, s[2:3]
	global_load_dword v0, v[0:1], off offset:4
	s_nop 0
	global_load_dword v1, v[2:3], off offset:4
	s_nop 0
	global_load_dword v2, v[4:5], off offset:4
	global_load_dword v3, v[6:7], off offset:4
	s_nop 0
	global_load_dword v4, v[8:9], off offset:4
	global_load_dword v5, v[66:67], off
	global_load_dword v6, v[10:11], off offset:4
	global_load_dword v7, v[12:13], off offset:4
	s_nop 0
	global_load_dword v8, v[14:15], off offset:4
	v_lshlrev_b16_sdwa v10, v202, v73 dst_sel:DWORD dst_unused:UNUSED_PAD src0_sel:DWORD src1_sel:WORD_1
	v_and_b32_sdwa v9, v73, s17 dst_sel:DWORD dst_unused:UNUSED_PAD src0_sel:WORD_1 src1_sel:DWORD
	v_add_u16_e32 v10, 0xe000, v10
	v_or_b32_sdwa v9, v9, v10 dst_sel:DWORD dst_unused:UNUSED_PAD src0_sel:DWORD src1_sel:BYTE_1
	v_add_u16_sdwa v9, v9, s18 dst_sel:WORD_1 dst_unused:UNUSED_PAD src0_sel:DWORD src1_sel:DWORD
	v_or_b32_e32 v9, v74, v9
	s_waitcnt vmcnt(14)
	v_ashrrev_i32_e32 v11, v138, v69
	ds_write2_b32 v154, v72, v9 offset1:16
	v_and_b32_e32 v9, 0xf0f0f0f, v68
	v_lshlrev_b32_e32 v12, 4, v11
	v_and_or_b32 v9, v12, s16, v9
	v_lshlrev_b16_e32 v13, 8, v9
	v_and_b32_e32 v12, 0x3f00, v9
	v_add_u16_e32 v13, 0xe000, v13
	v_or_b32_sdwa v12, v12, v13 dst_sel:DWORD dst_unused:UNUSED_PAD src0_sel:DWORD src1_sel:BYTE_1
	v_and_b32_sdwa v13, v9, s17 dst_sel:DWORD dst_unused:UNUSED_PAD src0_sel:WORD_1 src1_sel:DWORD
	v_lshlrev_b16_sdwa v9, v202, v9 dst_sel:DWORD dst_unused:UNUSED_PAD src0_sel:DWORD src1_sel:WORD_1
	v_add_u16_e32 v9, 0xe000, v9
	v_lshrrev_b32_e32 v10, 4, v68
	v_and_b32_e32 v11, 0x30303030, v11
	v_or_b32_sdwa v9, v13, v9 dst_sel:DWORD dst_unused:UNUSED_PAD src0_sel:DWORD src1_sel:BYTE_1
	v_add_u16_e32 v12, 0xe000, v12
	v_add_u16_sdwa v9, v9, s18 dst_sel:WORD_1 dst_unused:UNUSED_PAD src0_sel:DWORD src1_sel:DWORD
	v_and_or_b32 v10, v10, s15, v11
	v_or_b32_e32 v9, v12, v9
	v_lshlrev_b16_e32 v12, 8, v10
	v_and_b32_e32 v11, 0x3f00, v10
	v_add_u16_e32 v12, 0xe000, v12
	v_or_b32_sdwa v11, v11, v12 dst_sel:DWORD dst_unused:UNUSED_PAD src0_sel:DWORD src1_sel:BYTE_1
	v_and_b32_sdwa v12, v10, s17 dst_sel:DWORD dst_unused:UNUSED_PAD src0_sel:WORD_1 src1_sel:DWORD
	v_lshlrev_b16_sdwa v10, v202, v10 dst_sel:DWORD dst_unused:UNUSED_PAD src0_sel:DWORD src1_sel:WORD_1
	v_add_u16_e32 v10, 0xe000, v10
	v_or_b32_sdwa v10, v12, v10 dst_sel:DWORD dst_unused:UNUSED_PAD src0_sel:DWORD src1_sel:BYTE_1
	v_add_u16_e32 v11, 0xe000, v11
	v_add_u16_sdwa v10, v10, s18 dst_sel:WORD_1 dst_unused:UNUSED_PAD src0_sel:DWORD src1_sel:DWORD
	v_or_b32_e32 v10, v11, v10
	s_waitcnt vmcnt(12)
	v_ashrrev_i32_e32 v11, v138, v71
	ds_write2_b32 v155, v9, v10 offset1:16
	v_and_b32_e32 v9, 0xf0f0f0f, v70
	v_lshlrev_b32_e32 v12, 4, v11
	v_and_or_b32 v9, v12, s16, v9
	v_lshlrev_b16_e32 v13, 8, v9
	v_and_b32_e32 v12, 0x3f00, v9
	v_add_u16_e32 v13, 0xe000, v13
	v_or_b32_sdwa v12, v12, v13 dst_sel:DWORD dst_unused:UNUSED_PAD src0_sel:DWORD src1_sel:BYTE_1
	v_and_b32_sdwa v13, v9, s17 dst_sel:DWORD dst_unused:UNUSED_PAD src0_sel:WORD_1 src1_sel:DWORD
	v_lshlrev_b16_sdwa v9, v202, v9 dst_sel:DWORD dst_unused:UNUSED_PAD src0_sel:DWORD src1_sel:WORD_1
	v_add_u16_e32 v9, 0xe000, v9
	v_lshrrev_b32_e32 v10, 4, v70
	v_and_b32_e32 v11, 0x30303030, v11
	v_or_b32_sdwa v9, v13, v9 dst_sel:DWORD dst_unused:UNUSED_PAD src0_sel:DWORD src1_sel:BYTE_1
	v_add_u16_e32 v12, 0xe000, v12
	v_add_u16_sdwa v9, v9, s18 dst_sel:WORD_1 dst_unused:UNUSED_PAD src0_sel:DWORD src1_sel:DWORD
	v_and_or_b32 v10, v10, s15, v11
	v_or_b32_e32 v9, v12, v9
	v_lshlrev_b16_e32 v12, 8, v10
	v_and_b32_e32 v11, 0x3f00, v10
	v_add_u16_e32 v12, 0xe000, v12
	v_or_b32_sdwa v11, v11, v12 dst_sel:DWORD dst_unused:UNUSED_PAD src0_sel:DWORD src1_sel:BYTE_1
	v_and_b32_sdwa v12, v10, s17 dst_sel:DWORD dst_unused:UNUSED_PAD src0_sel:WORD_1 src1_sel:DWORD
	v_lshlrev_b16_sdwa v10, v202, v10 dst_sel:DWORD dst_unused:UNUSED_PAD src0_sel:DWORD src1_sel:WORD_1
	v_add_u16_e32 v10, 0xe000, v10
	v_or_b32_sdwa v10, v12, v10 dst_sel:DWORD dst_unused:UNUSED_PAD src0_sel:DWORD src1_sel:BYTE_1
	s_waitcnt vmcnt(11)
	v_cvt_f32_f16_e32 v12, v75
	v_add_u16_e32 v11, 0xe000, v11
	v_add_u16_sdwa v10, v10, s18 dst_sel:WORD_1 dst_unused:UNUSED_PAD src0_sel:DWORD src1_sel:DWORD
	v_or_b32_e32 v10, v11, v10
	ds_write2_b32 v156, v9, v10 offset1:16
	ds_write_b32 v159, v12
	s_waitcnt vmcnt(10)
	ds_write_b32 v160, v76
	s_waitcnt vmcnt(9)
	;; [unrolled: 2-line block ×8, first 2 shown]
	v_cvt_f32_f16_e32 v0, v5
	s_waitcnt vmcnt(2)
	ds_write_b32 v182, v6
	s_waitcnt vmcnt(1)
	ds_write_b32 v185, v7
	;; [unrolled: 2-line block ×3, first 2 shown]
	ds_write_b32 v164, v0
	s_waitcnt lgkmcnt(0)
	s_barrier
	ds_read_b32 v204, v189
	ds_read_b32 v205, v191 offset:128
	ds_read_b32 v206, v192 offset:256
	;; [unrolled: 1-line block ×3, first 2 shown]
	s_mov_b64 s[0:1], -1
.LBB135_6:                              ;   Parent Loop BB135_5 Depth=1
                                        ; =>  This Inner Loop Header: Depth=2
	s_lshl_b32 s20, s21, 1
	v_or_b32_e32 v0, s20, v157
	v_lshlrev_b32_e32 v12, 2, v0
	s_lshr_b32 s22, s21, 1
	s_lshl_b32 s21, s21, 3
	v_lshrrev_b32_e32 v66, 1, v0
	ds_read_b128 v[0:3], v12 offset:33280
	ds_read_b128 v[4:7], v12 offset:33296
	;; [unrolled: 1-line block ×4, first 2 shown]
	ds_read_b64 v[130:131], v66 offset:43584
	v_add_u32_e32 v74, s22, v194
	v_add_u32_e32 v75, s21, v195
	ds_read2_b32 v[70:71], v75 offset0:6 offset1:7
	ds_read2_b32 v[72:73], v75 offset0:4 offset1:5
	ds_read2_b32 v[66:67], v75 offset0:2 offset1:3
	ds_read2_b32 v[68:69], v75 offset1:1
	ds_read_b32 v76, v74
	ds_read2_b32 v[126:127], v75 offset0:14 offset1:15
	ds_read2_b32 v[128:129], v75 offset0:12 offset1:13
	v_mov_b32_e32 v74, 0
	ds_read2_b32 v[82:83], v75 offset0:10 offset1:11
	ds_read2_b32 v[84:85], v75 offset0:8 offset1:9
	s_waitcnt lgkmcnt(7)
	v_dot4c_i32_i8_e32 v74, v72, v4
	v_mov_b32_e32 v75, 0
	v_dot4c_i32_i8_e32 v74, v73, v5
	s_waitcnt lgkmcnt(5)
	v_dot4c_i32_i8_e32 v75, v68, v0
	v_dot4c_i32_i8_e32 v74, v70, v6
	;; [unrolled: 1-line block ×4, first 2 shown]
	s_waitcnt lgkmcnt(4)
	v_bfe_i32 v208, v76, 8, 8
	v_dot4c_i32_i8_e32 v75, v66, v2
	v_dot4c_i32_i8_e32 v75, v67, v3
	v_mul_lo_u32 v74, v74, v208
	v_bfe_i32 v209, v76, 0, 8
	v_mov_b32_e32 v77, 0
	v_mad_u64_u32 v[74:75], s[24:25], v75, v209, v[74:75]
	s_waitcnt lgkmcnt(2)
	v_dot4c_i32_i8_e32 v77, v128, v12
	v_mov_b32_e32 v78, 0
	v_cvt_f32_i32_e32 v74, v74
	v_dot4c_i32_i8_e32 v77, v129, v13
	s_waitcnt lgkmcnt(0)
	v_dot4c_i32_i8_e32 v78, v84, v8
	v_dot4c_i32_i8_e32 v77, v126, v14
	;; [unrolled: 1-line block ×5, first 2 shown]
	v_ashrrev_i32_e32 v211, 24, v76
	v_dot4c_i32_i8_e32 v78, v83, v11
	v_fma_f32 v79, v130, v74, 0
	v_bfe_i32 v210, v76, 16, 8
	v_mul_lo_u32 v74, v77, v211
	v_mad_u64_u32 v[74:75], s[24:25], v78, v210, v[74:75]
	v_cvt_f32_i32_e32 v74, v74
	v_add_u32_e32 v86, s22, v196
	v_add_u32_e32 v90, s21, v197
	v_mov_b32_e32 v91, 0
	v_fmac_f32_e32 v79, v131, v74
	v_fmac_f32_e32 v163, v204, v79
	ds_read2_b32 v[78:79], v90 offset0:6 offset1:7
	ds_read2_b32 v[80:81], v90 offset0:4 offset1:5
	;; [unrolled: 1-line block ×3, first 2 shown]
	ds_read2_b32 v[76:77], v90 offset1:1
	ds_read_b32 v92, v86
	ds_read2_b32 v[86:87], v90 offset0:14 offset1:15
	ds_read2_b32 v[88:89], v90 offset0:12 offset1:13
	;; [unrolled: 1-line block ×4, first 2 shown]
	v_mov_b32_e32 v90, 0
	s_waitcnt lgkmcnt(7)
	v_dot4c_i32_i8_e32 v90, v80, v4
	v_dot4c_i32_i8_e32 v90, v81, v5
	s_waitcnt lgkmcnt(5)
	v_dot4c_i32_i8_e32 v91, v76, v0
	v_dot4c_i32_i8_e32 v90, v78, v6
	;; [unrolled: 1-line block ×4, first 2 shown]
	s_waitcnt lgkmcnt(4)
	v_bfe_i32 v212, v92, 8, 8
	v_dot4c_i32_i8_e32 v91, v74, v2
	v_dot4c_i32_i8_e32 v91, v75, v3
	v_mul_lo_u32 v90, v90, v212
	v_bfe_i32 v213, v92, 0, 8
	v_mov_b32_e32 v93, 0
	v_mad_u64_u32 v[90:91], s[24:25], v91, v213, v[90:91]
	s_waitcnt lgkmcnt(2)
	v_dot4c_i32_i8_e32 v93, v88, v12
	v_mov_b32_e32 v94, 0
	v_cvt_f32_i32_e32 v90, v90
	v_dot4c_i32_i8_e32 v93, v89, v13
	s_waitcnt lgkmcnt(0)
	v_dot4c_i32_i8_e32 v94, v104, v8
	v_dot4c_i32_i8_e32 v93, v86, v14
	;; [unrolled: 1-line block ×5, first 2 shown]
	v_ashrrev_i32_e32 v215, 24, v92
	v_dot4c_i32_i8_e32 v94, v101, v11
	v_fma_f32 v95, v130, v90, 0
	v_bfe_i32 v214, v92, 16, 8
	v_mul_lo_u32 v90, v93, v215
	v_mad_u64_u32 v[90:91], s[24:25], v94, v214, v[90:91]
	v_cvt_f32_i32_e32 v90, v90
	v_add_u32_e32 v98, s22, v198
	v_add_u32_e32 v99, s21, v199
	v_mov_b32_e32 v103, 0
	v_fmac_f32_e32 v95, v131, v90
	v_fmac_f32_e32 v161, v205, v95
	ds_read2_b32 v[94:95], v99 offset0:6 offset1:7
	ds_read2_b32 v[96:97], v99 offset0:4 offset1:5
	;; [unrolled: 1-line block ×3, first 2 shown]
	ds_read2_b32 v[92:93], v99 offset1:1
	ds_read_b32 v102, v98
	ds_read2_b32 v[106:107], v99 offset0:14 offset1:15
	ds_read2_b32 v[108:109], v99 offset0:12 offset1:13
	v_mov_b32_e32 v98, 0
	ds_read2_b32 v[116:117], v99 offset0:10 offset1:11
	ds_read2_b32 v[120:121], v99 offset0:8 offset1:9
	s_waitcnt lgkmcnt(7)
	v_dot4c_i32_i8_e32 v98, v96, v4
	v_mov_b32_e32 v99, 0
	v_dot4c_i32_i8_e32 v98, v97, v5
	s_waitcnt lgkmcnt(5)
	v_dot4c_i32_i8_e32 v99, v92, v0
	v_dot4c_i32_i8_e32 v98, v94, v6
	;; [unrolled: 1-line block ×4, first 2 shown]
	s_waitcnt lgkmcnt(4)
	v_bfe_i32 v216, v102, 8, 8
	v_dot4c_i32_i8_e32 v99, v90, v2
	v_dot4c_i32_i8_e32 v99, v91, v3
	v_mul_lo_u32 v98, v98, v216
	v_bfe_i32 v217, v102, 0, 8
	s_waitcnt lgkmcnt(2)
	v_dot4c_i32_i8_e32 v103, v108, v12
	v_mad_u64_u32 v[98:99], s[24:25], v99, v217, v[98:99]
	v_mov_b32_e32 v110, 0
	v_cvt_f32_i32_e32 v98, v98
	v_dot4c_i32_i8_e32 v103, v109, v13
	s_waitcnt lgkmcnt(0)
	v_dot4c_i32_i8_e32 v110, v120, v8
	v_dot4c_i32_i8_e32 v103, v106, v14
	;; [unrolled: 1-line block ×5, first 2 shown]
	v_ashrrev_i32_e32 v219, 24, v102
	v_dot4c_i32_i8_e32 v110, v117, v11
	v_fma_f32 v111, v130, v98, 0
	v_bfe_i32 v218, v102, 16, 8
	v_mul_lo_u32 v98, v103, v219
	v_mad_u64_u32 v[98:99], s[24:25], v110, v218, v[98:99]
	v_cvt_f32_i32_e32 v98, v98
	v_add_u32_e32 v114, s22, v200
	v_add_u32_e32 v124, s21, v201
	v_mov_b32_e32 v224, 0
	v_fmac_f32_e32 v111, v131, v98
	v_fmac_f32_e32 v158, v206, v111
	ds_read2_b32 v[110:111], v124 offset0:6 offset1:7
	ds_read2_b32 v[112:113], v124 offset0:4 offset1:5
	ds_read2_b32 v[98:99], v124 offset0:2 offset1:3
	ds_read2_b32 v[102:103], v124 offset1:1
	ds_read_b32 v223, v114
	ds_read2_b32 v[114:115], v124 offset0:14 offset1:15
	ds_read2_b32 v[118:119], v124 offset0:12 offset1:13
	;; [unrolled: 1-line block ×4, first 2 shown]
	v_mov_b32_e32 v225, 0
	s_waitcnt lgkmcnt(4)
	v_bfe_i32 v220, v223, 8, 8
	v_bfe_i32 v221, v223, 0, 8
	s_waitcnt lgkmcnt(2)
	v_dot4c_i32_i8_e32 v224, v118, v12
	v_mov_b32_e32 v12, 0
	s_waitcnt lgkmcnt(0)
	v_dot4c_i32_i8_e32 v12, v124, v8
	v_mov_b32_e32 v8, 0
	v_dot4c_i32_i8_e32 v8, v112, v4
	v_dot4c_i32_i8_e32 v8, v113, v5
	v_mov_b32_e32 v5, 0
	v_dot4c_i32_i8_e32 v5, v102, v0
	v_dot4c_i32_i8_e32 v8, v110, v6
	;; [unrolled: 1-line block ×7, first 2 shown]
	v_mul_lo_u32 v4, v8, v220
	v_dot4c_i32_i8_e32 v224, v114, v14
	v_mad_u64_u32 v[0:1], s[22:23], v5, v221, v[4:5]
	v_cvt_f32_i32_e32 v0, v0
	v_dot4c_i32_i8_e32 v12, v125, v9
	v_dot4c_i32_i8_e32 v224, v115, v15
	;; [unrolled: 1-line block ×3, first 2 shown]
	v_bfe_i32 v222, v223, 16, 8
	v_ashrrev_i32_e32 v223, 24, v223
	v_dot4c_i32_i8_e32 v12, v123, v11
	v_fma_f32 v2, v130, v0, 0
	v_mul_lo_u32 v0, v224, v223
	v_mov_b32_e32 v224, 0
	v_mad_u64_u32 v[0:1], s[22:23], v12, v222, v[0:1]
	v_cvt_f32_i32_e32 v0, v0
	v_mov_b32_e32 v226, 0
	v_mov_b32_e32 v227, 0
	s_and_b64 vcc, exec, s[0:1]
	v_fmac_f32_e32 v2, v131, v0
	v_or_b32_e32 v0, s20, v169
	v_lshlrev_b32_e32 v12, 2, v0
	v_lshrrev_b32_e32 v130, 1, v0
	v_fmac_f32_e32 v149, v207, v2
	ds_read_b128 v[0:3], v12 offset:33280
	ds_read_b128 v[4:7], v12 offset:33296
	ds_read_b128 v[8:11], v12 offset:33312
	ds_read_b128 v[12:15], v12 offset:33328
	ds_read_b64 v[130:131], v130 offset:43584
	s_waitcnt lgkmcnt(4)
	v_dot4c_i32_i8_e32 v225, v68, v0
	s_waitcnt lgkmcnt(3)
	v_dot4c_i32_i8_e32 v224, v72, v4
	v_dot4c_i32_i8_e32 v224, v73, v5
	;; [unrolled: 1-line block ×7, first 2 shown]
	s_waitcnt lgkmcnt(1)
	v_dot4c_i32_i8_e32 v226, v128, v12
	v_mul_lo_u32 v224, v224, v208
	v_dot4c_i32_i8_e32 v226, v129, v13
	v_mad_u64_u32 v[224:225], s[22:23], v225, v209, v[224:225]
	v_cvt_f32_i32_e32 v224, v224
	v_dot4c_i32_i8_e32 v227, v84, v8
	v_dot4c_i32_i8_e32 v226, v126, v14
	;; [unrolled: 1-line block ×6, first 2 shown]
	s_waitcnt lgkmcnt(0)
	v_fma_f32 v228, v130, v224, 0
	v_mul_lo_u32 v224, v226, v211
	v_mov_b32_e32 v226, 0
	v_mad_u64_u32 v[224:225], s[22:23], v227, v210, v[224:225]
	v_cvt_f32_i32_e32 v224, v224
	v_mov_b32_e32 v225, 0
	v_dot4c_i32_i8_e32 v225, v76, v0
	v_dot4c_i32_i8_e32 v225, v77, v1
	v_fmac_f32_e32 v228, v131, v224
	v_mov_b32_e32 v224, 0
	v_dot4c_i32_i8_e32 v224, v80, v4
	v_dot4c_i32_i8_e32 v224, v81, v5
	v_dot4c_i32_i8_e32 v224, v78, v6
	v_dot4c_i32_i8_e32 v224, v79, v7
	v_dot4c_i32_i8_e32 v225, v74, v2
	v_dot4c_i32_i8_e32 v225, v75, v3
	v_dot4c_i32_i8_e32 v226, v88, v12
	v_mul_lo_u32 v224, v224, v212
	v_mov_b32_e32 v227, 0
	v_mad_u64_u32 v[224:225], s[22:23], v225, v213, v[224:225]
	v_cvt_f32_i32_e32 v224, v224
	v_dot4c_i32_i8_e32 v226, v89, v13
	v_dot4c_i32_i8_e32 v227, v104, v8
	;; [unrolled: 1-line block ×6, first 2 shown]
	v_fmac_f32_e32 v139, v204, v228
	v_dot4c_i32_i8_e32 v227, v101, v11
	v_fma_f32 v228, v130, v224, 0
	v_mul_lo_u32 v224, v226, v215
	v_mov_b32_e32 v226, 0
	v_mad_u64_u32 v[224:225], s[22:23], v227, v214, v[224:225]
	v_cvt_f32_i32_e32 v224, v224
	v_mov_b32_e32 v225, 0
	v_dot4c_i32_i8_e32 v225, v92, v0
	v_dot4c_i32_i8_e32 v225, v93, v1
	v_fmac_f32_e32 v228, v131, v224
	v_mov_b32_e32 v224, 0
	v_dot4c_i32_i8_e32 v224, v96, v4
	v_dot4c_i32_i8_e32 v224, v97, v5
	;; [unrolled: 1-line block ×7, first 2 shown]
	v_mul_lo_u32 v224, v224, v216
	v_mov_b32_e32 v227, 0
	v_mad_u64_u32 v[224:225], s[22:23], v225, v217, v[224:225]
	v_cvt_f32_i32_e32 v224, v224
	v_dot4c_i32_i8_e32 v226, v109, v13
	v_dot4c_i32_i8_e32 v227, v120, v8
	;; [unrolled: 1-line block ×6, first 2 shown]
	v_fmac_f32_e32 v137, v205, v228
	v_dot4c_i32_i8_e32 v227, v117, v11
	v_fma_f32 v228, v130, v224, 0
	v_mul_lo_u32 v224, v226, v219
	v_mov_b32_e32 v226, 0
	v_mad_u64_u32 v[224:225], s[22:23], v227, v218, v[224:225]
	v_cvt_f32_i32_e32 v224, v224
	v_mov_b32_e32 v225, 0
	v_mov_b32_e32 v227, 0
	s_mov_b64 s[0:1], 0
	v_fmac_f32_e32 v228, v131, v224
	v_mov_b32_e32 v224, 0
	v_dot4c_i32_i8_e32 v224, v118, v12
	v_mov_b32_e32 v12, 0
	v_dot4c_i32_i8_e32 v12, v124, v8
	;; [unrolled: 2-line block ×3, first 2 shown]
	v_dot4c_i32_i8_e32 v8, v113, v5
	v_mov_b32_e32 v5, 0
	v_dot4c_i32_i8_e32 v5, v102, v0
	v_dot4c_i32_i8_e32 v8, v110, v6
	;; [unrolled: 1-line block ×7, first 2 shown]
	v_mul_lo_u32 v4, v8, v220
	v_dot4c_i32_i8_e32 v224, v114, v14
	v_mad_u64_u32 v[0:1], s[22:23], v5, v221, v[4:5]
	v_cvt_f32_i32_e32 v0, v0
	v_dot4c_i32_i8_e32 v12, v125, v9
	v_dot4c_i32_i8_e32 v224, v115, v15
	;; [unrolled: 1-line block ×4, first 2 shown]
	v_fma_f32 v2, v130, v0, 0
	v_mul_lo_u32 v0, v224, v223
	v_mov_b32_e32 v224, 0
	v_mad_u64_u32 v[0:1], s[22:23], v12, v222, v[0:1]
	v_cvt_f32_i32_e32 v0, v0
	v_fmac_f32_e32 v136, v206, v228
	v_fmac_f32_e32 v2, v131, v0
	v_or_b32_e32 v0, s20, v172
	v_lshlrev_b32_e32 v12, 2, v0
	v_lshrrev_b32_e32 v130, 1, v0
	v_fmac_f32_e32 v135, v207, v2
	ds_read_b128 v[0:3], v12 offset:33280
	ds_read_b128 v[4:7], v12 offset:33296
	;; [unrolled: 1-line block ×4, first 2 shown]
	ds_read_b64 v[130:131], v130 offset:43584
	s_waitcnt lgkmcnt(4)
	v_dot4c_i32_i8_e32 v225, v68, v0
	s_waitcnt lgkmcnt(3)
	v_dot4c_i32_i8_e32 v224, v72, v4
	v_dot4c_i32_i8_e32 v224, v73, v5
	;; [unrolled: 1-line block ×7, first 2 shown]
	s_waitcnt lgkmcnt(1)
	v_dot4c_i32_i8_e32 v226, v128, v12
	v_mul_lo_u32 v224, v224, v208
	v_dot4c_i32_i8_e32 v226, v129, v13
	v_mad_u64_u32 v[224:225], s[22:23], v225, v209, v[224:225]
	v_cvt_f32_i32_e32 v224, v224
	v_dot4c_i32_i8_e32 v227, v84, v8
	v_dot4c_i32_i8_e32 v226, v126, v14
	;; [unrolled: 1-line block ×6, first 2 shown]
	s_waitcnt lgkmcnt(0)
	v_fma_f32 v228, v130, v224, 0
	v_mul_lo_u32 v224, v226, v211
	v_mov_b32_e32 v226, 0
	v_mad_u64_u32 v[224:225], s[22:23], v227, v210, v[224:225]
	v_cvt_f32_i32_e32 v224, v224
	v_mov_b32_e32 v225, 0
	v_dot4c_i32_i8_e32 v225, v76, v0
	v_dot4c_i32_i8_e32 v225, v77, v1
	v_fmac_f32_e32 v228, v131, v224
	v_mov_b32_e32 v224, 0
	v_dot4c_i32_i8_e32 v224, v80, v4
	v_dot4c_i32_i8_e32 v224, v81, v5
	v_dot4c_i32_i8_e32 v224, v78, v6
	v_dot4c_i32_i8_e32 v224, v79, v7
	v_dot4c_i32_i8_e32 v225, v74, v2
	v_dot4c_i32_i8_e32 v225, v75, v3
	v_dot4c_i32_i8_e32 v226, v88, v12
	v_mul_lo_u32 v224, v224, v212
	v_mov_b32_e32 v227, 0
	v_mad_u64_u32 v[224:225], s[22:23], v225, v213, v[224:225]
	v_cvt_f32_i32_e32 v224, v224
	v_dot4c_i32_i8_e32 v226, v89, v13
	v_dot4c_i32_i8_e32 v227, v104, v8
	;; [unrolled: 1-line block ×6, first 2 shown]
	v_fmac_f32_e32 v133, v204, v228
	v_dot4c_i32_i8_e32 v227, v101, v11
	v_fma_f32 v228, v130, v224, 0
	v_mul_lo_u32 v224, v226, v215
	v_mov_b32_e32 v226, 0
	v_mad_u64_u32 v[224:225], s[22:23], v227, v214, v[224:225]
	v_cvt_f32_i32_e32 v224, v224
	v_mov_b32_e32 v225, 0
	v_dot4c_i32_i8_e32 v225, v92, v0
	v_dot4c_i32_i8_e32 v225, v93, v1
	v_fmac_f32_e32 v228, v131, v224
	v_mov_b32_e32 v224, 0
	v_dot4c_i32_i8_e32 v224, v96, v4
	v_dot4c_i32_i8_e32 v224, v97, v5
	;; [unrolled: 1-line block ×7, first 2 shown]
	v_mul_lo_u32 v224, v224, v216
	v_mov_b32_e32 v227, 0
	v_mad_u64_u32 v[224:225], s[22:23], v225, v217, v[224:225]
	v_cvt_f32_i32_e32 v224, v224
	v_dot4c_i32_i8_e32 v226, v109, v13
	v_dot4c_i32_i8_e32 v227, v120, v8
	;; [unrolled: 1-line block ×6, first 2 shown]
	v_fmac_f32_e32 v132, v205, v228
	v_dot4c_i32_i8_e32 v227, v117, v11
	v_fma_f32 v228, v130, v224, 0
	v_mul_lo_u32 v224, v226, v219
	v_mov_b32_e32 v226, 0
	v_mad_u64_u32 v[224:225], s[22:23], v227, v218, v[224:225]
	v_cvt_f32_i32_e32 v224, v224
	v_mov_b32_e32 v225, 0
	v_mov_b32_e32 v227, 0
	v_fmac_f32_e32 v228, v131, v224
	v_mov_b32_e32 v224, 0
	v_dot4c_i32_i8_e32 v224, v118, v12
	v_mov_b32_e32 v12, 0
	v_dot4c_i32_i8_e32 v12, v124, v8
	;; [unrolled: 2-line block ×3, first 2 shown]
	v_dot4c_i32_i8_e32 v8, v113, v5
	v_mov_b32_e32 v5, 0
	v_dot4c_i32_i8_e32 v5, v102, v0
	v_dot4c_i32_i8_e32 v8, v110, v6
	;; [unrolled: 1-line block ×7, first 2 shown]
	v_mul_lo_u32 v4, v8, v220
	v_dot4c_i32_i8_e32 v224, v114, v14
	v_mad_u64_u32 v[0:1], s[22:23], v5, v221, v[4:5]
	v_cvt_f32_i32_e32 v0, v0
	v_dot4c_i32_i8_e32 v12, v125, v9
	v_dot4c_i32_i8_e32 v224, v115, v15
	;; [unrolled: 1-line block ×4, first 2 shown]
	v_fma_f32 v2, v130, v0, 0
	v_mul_lo_u32 v0, v224, v223
	v_mov_b32_e32 v224, 0
	v_mad_u64_u32 v[0:1], s[22:23], v12, v222, v[0:1]
	v_cvt_f32_i32_e32 v0, v0
	v_fmac_f32_e32 v65, v206, v228
	v_fmac_f32_e32 v2, v131, v0
	v_or_b32_e32 v0, s20, v175
	v_lshlrev_b32_e32 v12, 2, v0
	v_lshrrev_b32_e32 v130, 1, v0
	v_fmac_f32_e32 v59, v207, v2
	ds_read_b128 v[0:3], v12 offset:33280
	ds_read_b128 v[4:7], v12 offset:33296
	;; [unrolled: 1-line block ×4, first 2 shown]
	ds_read_b64 v[130:131], v130 offset:43584
	s_waitcnt lgkmcnt(4)
	v_dot4c_i32_i8_e32 v225, v68, v0
	s_waitcnt lgkmcnt(3)
	v_dot4c_i32_i8_e32 v224, v72, v4
	v_dot4c_i32_i8_e32 v224, v73, v5
	;; [unrolled: 1-line block ×7, first 2 shown]
	s_waitcnt lgkmcnt(1)
	v_dot4c_i32_i8_e32 v226, v128, v12
	v_mul_lo_u32 v224, v224, v208
	v_dot4c_i32_i8_e32 v226, v129, v13
	v_mad_u64_u32 v[224:225], s[22:23], v225, v209, v[224:225]
	v_cvt_f32_i32_e32 v224, v224
	v_dot4c_i32_i8_e32 v227, v84, v8
	v_dot4c_i32_i8_e32 v226, v126, v14
	;; [unrolled: 1-line block ×6, first 2 shown]
	s_waitcnt lgkmcnt(0)
	v_fma_f32 v228, v130, v224, 0
	v_mul_lo_u32 v224, v226, v211
	v_mov_b32_e32 v226, 0
	v_mad_u64_u32 v[224:225], s[22:23], v227, v210, v[224:225]
	v_cvt_f32_i32_e32 v224, v224
	v_mov_b32_e32 v225, 0
	v_dot4c_i32_i8_e32 v225, v76, v0
	v_dot4c_i32_i8_e32 v225, v77, v1
	v_fmac_f32_e32 v228, v131, v224
	v_mov_b32_e32 v224, 0
	v_dot4c_i32_i8_e32 v224, v80, v4
	v_dot4c_i32_i8_e32 v224, v81, v5
	;; [unrolled: 1-line block ×7, first 2 shown]
	v_mul_lo_u32 v224, v224, v212
	v_mov_b32_e32 v227, 0
	v_mad_u64_u32 v[224:225], s[22:23], v225, v213, v[224:225]
	v_cvt_f32_i32_e32 v224, v224
	v_dot4c_i32_i8_e32 v226, v89, v13
	v_dot4c_i32_i8_e32 v227, v104, v8
	;; [unrolled: 1-line block ×6, first 2 shown]
	v_fmac_f32_e32 v55, v204, v228
	v_dot4c_i32_i8_e32 v227, v101, v11
	v_fma_f32 v228, v130, v224, 0
	v_mul_lo_u32 v224, v226, v215
	v_mov_b32_e32 v226, 0
	v_mad_u64_u32 v[224:225], s[22:23], v227, v214, v[224:225]
	v_cvt_f32_i32_e32 v224, v224
	v_mov_b32_e32 v225, 0
	v_dot4c_i32_i8_e32 v225, v92, v0
	v_dot4c_i32_i8_e32 v225, v93, v1
	v_fmac_f32_e32 v228, v131, v224
	v_mov_b32_e32 v224, 0
	v_dot4c_i32_i8_e32 v224, v96, v4
	v_dot4c_i32_i8_e32 v224, v97, v5
	;; [unrolled: 1-line block ×7, first 2 shown]
	v_mul_lo_u32 v224, v224, v216
	v_mov_b32_e32 v227, 0
	v_mad_u64_u32 v[224:225], s[22:23], v225, v217, v[224:225]
	v_cvt_f32_i32_e32 v224, v224
	v_dot4c_i32_i8_e32 v226, v109, v13
	v_dot4c_i32_i8_e32 v227, v120, v8
	v_dot4c_i32_i8_e32 v226, v106, v14
	v_dot4c_i32_i8_e32 v227, v121, v9
	v_dot4c_i32_i8_e32 v226, v107, v15
	v_dot4c_i32_i8_e32 v227, v116, v10
	v_fmac_f32_e32 v53, v205, v228
	v_dot4c_i32_i8_e32 v227, v117, v11
	v_fma_f32 v228, v130, v224, 0
	v_mul_lo_u32 v224, v226, v219
	v_mov_b32_e32 v226, 0
	v_mad_u64_u32 v[224:225], s[22:23], v227, v218, v[224:225]
	v_cvt_f32_i32_e32 v224, v224
	v_mov_b32_e32 v225, 0
	v_mov_b32_e32 v227, 0
	v_fmac_f32_e32 v228, v131, v224
	v_mov_b32_e32 v224, 0
	v_dot4c_i32_i8_e32 v224, v118, v12
	v_mov_b32_e32 v12, 0
	v_dot4c_i32_i8_e32 v12, v124, v8
	;; [unrolled: 2-line block ×3, first 2 shown]
	v_dot4c_i32_i8_e32 v8, v113, v5
	v_mov_b32_e32 v5, 0
	v_dot4c_i32_i8_e32 v5, v102, v0
	v_dot4c_i32_i8_e32 v8, v110, v6
	;; [unrolled: 1-line block ×7, first 2 shown]
	v_mul_lo_u32 v4, v8, v220
	v_dot4c_i32_i8_e32 v224, v114, v14
	v_mad_u64_u32 v[0:1], s[22:23], v5, v221, v[4:5]
	v_cvt_f32_i32_e32 v0, v0
	v_dot4c_i32_i8_e32 v12, v125, v9
	v_dot4c_i32_i8_e32 v224, v115, v15
	;; [unrolled: 1-line block ×4, first 2 shown]
	v_fma_f32 v2, v130, v0, 0
	v_mul_lo_u32 v0, v224, v223
	v_mov_b32_e32 v224, 0
	v_mad_u64_u32 v[0:1], s[22:23], v12, v222, v[0:1]
	v_cvt_f32_i32_e32 v0, v0
	v_fmac_f32_e32 v51, v206, v228
	v_fmac_f32_e32 v2, v131, v0
	v_or_b32_e32 v0, s20, v178
	v_lshlrev_b32_e32 v12, 2, v0
	v_lshrrev_b32_e32 v130, 1, v0
	v_fmac_f32_e32 v49, v207, v2
	ds_read_b128 v[0:3], v12 offset:33280
	ds_read_b128 v[4:7], v12 offset:33296
	;; [unrolled: 1-line block ×4, first 2 shown]
	ds_read_b64 v[130:131], v130 offset:43584
	s_waitcnt lgkmcnt(4)
	v_dot4c_i32_i8_e32 v225, v68, v0
	s_waitcnt lgkmcnt(3)
	v_dot4c_i32_i8_e32 v224, v72, v4
	v_dot4c_i32_i8_e32 v224, v73, v5
	v_dot4c_i32_i8_e32 v224, v70, v6
	v_dot4c_i32_i8_e32 v225, v69, v1
	v_dot4c_i32_i8_e32 v224, v71, v7
	v_dot4c_i32_i8_e32 v225, v66, v2
	v_dot4c_i32_i8_e32 v225, v67, v3
	s_waitcnt lgkmcnt(1)
	v_dot4c_i32_i8_e32 v226, v128, v12
	v_mul_lo_u32 v224, v224, v208
	v_dot4c_i32_i8_e32 v226, v129, v13
	v_mad_u64_u32 v[224:225], s[22:23], v225, v209, v[224:225]
	v_cvt_f32_i32_e32 v224, v224
	v_dot4c_i32_i8_e32 v227, v84, v8
	v_dot4c_i32_i8_e32 v226, v126, v14
	;; [unrolled: 1-line block ×6, first 2 shown]
	s_waitcnt lgkmcnt(0)
	v_fma_f32 v228, v130, v224, 0
	v_mul_lo_u32 v224, v226, v211
	v_mov_b32_e32 v226, 0
	v_mad_u64_u32 v[224:225], s[22:23], v227, v210, v[224:225]
	v_cvt_f32_i32_e32 v224, v224
	v_mov_b32_e32 v225, 0
	v_dot4c_i32_i8_e32 v225, v76, v0
	v_dot4c_i32_i8_e32 v225, v77, v1
	v_fmac_f32_e32 v228, v131, v224
	v_mov_b32_e32 v224, 0
	v_dot4c_i32_i8_e32 v224, v80, v4
	v_dot4c_i32_i8_e32 v224, v81, v5
	;; [unrolled: 1-line block ×7, first 2 shown]
	v_mul_lo_u32 v224, v224, v212
	v_mov_b32_e32 v227, 0
	v_mad_u64_u32 v[224:225], s[22:23], v225, v213, v[224:225]
	v_cvt_f32_i32_e32 v224, v224
	v_dot4c_i32_i8_e32 v226, v89, v13
	v_dot4c_i32_i8_e32 v227, v104, v8
	;; [unrolled: 1-line block ×6, first 2 shown]
	v_fmac_f32_e32 v47, v204, v228
	v_dot4c_i32_i8_e32 v227, v101, v11
	v_fma_f32 v228, v130, v224, 0
	v_mul_lo_u32 v224, v226, v215
	v_mov_b32_e32 v226, 0
	v_mad_u64_u32 v[224:225], s[22:23], v227, v214, v[224:225]
	v_cvt_f32_i32_e32 v224, v224
	v_mov_b32_e32 v225, 0
	v_dot4c_i32_i8_e32 v225, v92, v0
	v_dot4c_i32_i8_e32 v225, v93, v1
	v_fmac_f32_e32 v228, v131, v224
	v_mov_b32_e32 v224, 0
	v_dot4c_i32_i8_e32 v224, v96, v4
	v_dot4c_i32_i8_e32 v224, v97, v5
	;; [unrolled: 1-line block ×7, first 2 shown]
	v_mul_lo_u32 v224, v224, v216
	v_mov_b32_e32 v227, 0
	v_mad_u64_u32 v[224:225], s[22:23], v225, v217, v[224:225]
	v_cvt_f32_i32_e32 v224, v224
	v_dot4c_i32_i8_e32 v226, v109, v13
	v_dot4c_i32_i8_e32 v227, v120, v8
	;; [unrolled: 1-line block ×6, first 2 shown]
	v_fmac_f32_e32 v45, v205, v228
	v_dot4c_i32_i8_e32 v227, v117, v11
	v_fma_f32 v228, v130, v224, 0
	v_mul_lo_u32 v224, v226, v219
	v_mov_b32_e32 v226, 0
	v_mad_u64_u32 v[224:225], s[22:23], v227, v218, v[224:225]
	v_cvt_f32_i32_e32 v224, v224
	v_mov_b32_e32 v225, 0
	v_mov_b32_e32 v227, 0
	v_fmac_f32_e32 v228, v131, v224
	v_mov_b32_e32 v224, 0
	v_dot4c_i32_i8_e32 v224, v118, v12
	v_mov_b32_e32 v12, 0
	v_dot4c_i32_i8_e32 v12, v124, v8
	;; [unrolled: 2-line block ×3, first 2 shown]
	v_dot4c_i32_i8_e32 v8, v113, v5
	v_mov_b32_e32 v5, 0
	v_dot4c_i32_i8_e32 v5, v102, v0
	v_dot4c_i32_i8_e32 v8, v110, v6
	;; [unrolled: 1-line block ×7, first 2 shown]
	v_mul_lo_u32 v4, v8, v220
	v_dot4c_i32_i8_e32 v224, v114, v14
	v_mad_u64_u32 v[0:1], s[22:23], v5, v221, v[4:5]
	v_cvt_f32_i32_e32 v0, v0
	v_dot4c_i32_i8_e32 v12, v125, v9
	v_dot4c_i32_i8_e32 v224, v115, v15
	;; [unrolled: 1-line block ×4, first 2 shown]
	v_fma_f32 v2, v130, v0, 0
	v_mul_lo_u32 v0, v224, v223
	v_mov_b32_e32 v224, 0
	v_mad_u64_u32 v[0:1], s[22:23], v12, v222, v[0:1]
	v_cvt_f32_i32_e32 v0, v0
	v_fmac_f32_e32 v43, v206, v228
	v_fmac_f32_e32 v2, v131, v0
	v_or_b32_e32 v0, s20, v181
	v_lshlrev_b32_e32 v12, 2, v0
	v_lshrrev_b32_e32 v130, 1, v0
	v_fmac_f32_e32 v41, v207, v2
	ds_read_b128 v[0:3], v12 offset:33280
	ds_read_b128 v[4:7], v12 offset:33296
	;; [unrolled: 1-line block ×4, first 2 shown]
	ds_read_b64 v[130:131], v130 offset:43584
	s_waitcnt lgkmcnt(4)
	v_dot4c_i32_i8_e32 v225, v68, v0
	s_waitcnt lgkmcnt(3)
	v_dot4c_i32_i8_e32 v224, v72, v4
	v_dot4c_i32_i8_e32 v224, v73, v5
	;; [unrolled: 1-line block ×7, first 2 shown]
	s_waitcnt lgkmcnt(1)
	v_dot4c_i32_i8_e32 v226, v128, v12
	v_mul_lo_u32 v224, v224, v208
	v_dot4c_i32_i8_e32 v226, v129, v13
	v_mad_u64_u32 v[224:225], s[22:23], v225, v209, v[224:225]
	v_cvt_f32_i32_e32 v224, v224
	v_dot4c_i32_i8_e32 v227, v84, v8
	v_dot4c_i32_i8_e32 v226, v126, v14
	;; [unrolled: 1-line block ×6, first 2 shown]
	s_waitcnt lgkmcnt(0)
	v_fma_f32 v228, v130, v224, 0
	v_mul_lo_u32 v224, v226, v211
	v_mov_b32_e32 v226, 0
	v_mad_u64_u32 v[224:225], s[22:23], v227, v210, v[224:225]
	v_cvt_f32_i32_e32 v224, v224
	v_mov_b32_e32 v225, 0
	v_dot4c_i32_i8_e32 v225, v76, v0
	v_dot4c_i32_i8_e32 v225, v77, v1
	v_fmac_f32_e32 v228, v131, v224
	v_mov_b32_e32 v224, 0
	v_dot4c_i32_i8_e32 v224, v80, v4
	v_dot4c_i32_i8_e32 v224, v81, v5
	;; [unrolled: 1-line block ×7, first 2 shown]
	v_mul_lo_u32 v224, v224, v212
	v_mov_b32_e32 v227, 0
	v_mad_u64_u32 v[224:225], s[22:23], v225, v213, v[224:225]
	v_cvt_f32_i32_e32 v224, v224
	v_dot4c_i32_i8_e32 v226, v89, v13
	v_dot4c_i32_i8_e32 v227, v104, v8
	;; [unrolled: 1-line block ×6, first 2 shown]
	v_fmac_f32_e32 v39, v204, v228
	v_dot4c_i32_i8_e32 v227, v101, v11
	v_fma_f32 v228, v130, v224, 0
	v_mul_lo_u32 v224, v226, v215
	v_mov_b32_e32 v226, 0
	v_mad_u64_u32 v[224:225], s[22:23], v227, v214, v[224:225]
	v_cvt_f32_i32_e32 v224, v224
	v_mov_b32_e32 v225, 0
	v_dot4c_i32_i8_e32 v225, v92, v0
	v_dot4c_i32_i8_e32 v225, v93, v1
	v_fmac_f32_e32 v228, v131, v224
	v_mov_b32_e32 v224, 0
	v_dot4c_i32_i8_e32 v224, v96, v4
	v_dot4c_i32_i8_e32 v224, v97, v5
	;; [unrolled: 1-line block ×7, first 2 shown]
	v_mul_lo_u32 v224, v224, v216
	v_mov_b32_e32 v227, 0
	v_mad_u64_u32 v[224:225], s[22:23], v225, v217, v[224:225]
	v_cvt_f32_i32_e32 v224, v224
	v_dot4c_i32_i8_e32 v226, v109, v13
	v_dot4c_i32_i8_e32 v227, v120, v8
	;; [unrolled: 1-line block ×6, first 2 shown]
	v_fmac_f32_e32 v37, v205, v228
	v_dot4c_i32_i8_e32 v227, v117, v11
	v_fma_f32 v228, v130, v224, 0
	v_mul_lo_u32 v224, v226, v219
	v_mov_b32_e32 v226, 0
	v_mad_u64_u32 v[224:225], s[22:23], v227, v218, v[224:225]
	v_cvt_f32_i32_e32 v224, v224
	v_mov_b32_e32 v225, 0
	v_mov_b32_e32 v227, 0
	v_fmac_f32_e32 v228, v131, v224
	v_mov_b32_e32 v224, 0
	v_dot4c_i32_i8_e32 v224, v118, v12
	v_mov_b32_e32 v12, 0
	v_dot4c_i32_i8_e32 v12, v124, v8
	;; [unrolled: 2-line block ×3, first 2 shown]
	v_dot4c_i32_i8_e32 v8, v113, v5
	v_mov_b32_e32 v5, 0
	v_dot4c_i32_i8_e32 v5, v102, v0
	v_dot4c_i32_i8_e32 v8, v110, v6
	;; [unrolled: 1-line block ×7, first 2 shown]
	v_mul_lo_u32 v4, v8, v220
	v_dot4c_i32_i8_e32 v224, v114, v14
	v_mad_u64_u32 v[0:1], s[22:23], v5, v221, v[4:5]
	v_cvt_f32_i32_e32 v0, v0
	v_dot4c_i32_i8_e32 v12, v125, v9
	v_dot4c_i32_i8_e32 v224, v115, v15
	;; [unrolled: 1-line block ×4, first 2 shown]
	v_fma_f32 v2, v130, v0, 0
	v_mul_lo_u32 v0, v224, v223
	v_mov_b32_e32 v224, 0
	v_mad_u64_u32 v[0:1], s[22:23], v12, v222, v[0:1]
	v_cvt_f32_i32_e32 v0, v0
	v_fmac_f32_e32 v35, v206, v228
	v_fmac_f32_e32 v2, v131, v0
	v_or_b32_e32 v0, s20, v184
	v_lshlrev_b32_e32 v12, 2, v0
	v_lshrrev_b32_e32 v130, 1, v0
	v_fmac_f32_e32 v33, v207, v2
	ds_read_b128 v[0:3], v12 offset:33280
	ds_read_b128 v[4:7], v12 offset:33296
	;; [unrolled: 1-line block ×4, first 2 shown]
	ds_read_b64 v[130:131], v130 offset:43584
	s_waitcnt lgkmcnt(4)
	v_dot4c_i32_i8_e32 v225, v68, v0
	s_waitcnt lgkmcnt(3)
	v_dot4c_i32_i8_e32 v224, v72, v4
	v_dot4c_i32_i8_e32 v224, v73, v5
	;; [unrolled: 1-line block ×7, first 2 shown]
	s_waitcnt lgkmcnt(1)
	v_dot4c_i32_i8_e32 v226, v128, v12
	v_mul_lo_u32 v224, v224, v208
	v_dot4c_i32_i8_e32 v226, v129, v13
	v_mad_u64_u32 v[224:225], s[22:23], v225, v209, v[224:225]
	v_cvt_f32_i32_e32 v224, v224
	v_dot4c_i32_i8_e32 v227, v84, v8
	v_dot4c_i32_i8_e32 v226, v126, v14
	;; [unrolled: 1-line block ×6, first 2 shown]
	s_waitcnt lgkmcnt(0)
	v_fma_f32 v228, v130, v224, 0
	v_mul_lo_u32 v224, v226, v211
	v_mov_b32_e32 v226, 0
	v_mad_u64_u32 v[224:225], s[22:23], v227, v210, v[224:225]
	v_cvt_f32_i32_e32 v224, v224
	v_mov_b32_e32 v225, 0
	v_dot4c_i32_i8_e32 v225, v76, v0
	v_dot4c_i32_i8_e32 v225, v77, v1
	v_fmac_f32_e32 v228, v131, v224
	v_mov_b32_e32 v224, 0
	v_dot4c_i32_i8_e32 v224, v80, v4
	v_dot4c_i32_i8_e32 v224, v81, v5
	;; [unrolled: 1-line block ×7, first 2 shown]
	v_mul_lo_u32 v224, v224, v212
	v_mov_b32_e32 v227, 0
	v_mad_u64_u32 v[224:225], s[22:23], v225, v213, v[224:225]
	v_cvt_f32_i32_e32 v224, v224
	v_dot4c_i32_i8_e32 v226, v89, v13
	v_dot4c_i32_i8_e32 v227, v104, v8
	;; [unrolled: 1-line block ×6, first 2 shown]
	v_fmac_f32_e32 v31, v204, v228
	v_dot4c_i32_i8_e32 v227, v101, v11
	v_fma_f32 v228, v130, v224, 0
	v_mul_lo_u32 v224, v226, v215
	v_mov_b32_e32 v226, 0
	v_mad_u64_u32 v[224:225], s[22:23], v227, v214, v[224:225]
	v_cvt_f32_i32_e32 v224, v224
	v_mov_b32_e32 v225, 0
	v_dot4c_i32_i8_e32 v225, v92, v0
	v_dot4c_i32_i8_e32 v225, v93, v1
	v_fmac_f32_e32 v228, v131, v224
	v_mov_b32_e32 v224, 0
	v_dot4c_i32_i8_e32 v224, v96, v4
	v_dot4c_i32_i8_e32 v224, v97, v5
	;; [unrolled: 1-line block ×7, first 2 shown]
	v_mul_lo_u32 v224, v224, v216
	v_mov_b32_e32 v227, 0
	v_mad_u64_u32 v[224:225], s[22:23], v225, v217, v[224:225]
	v_cvt_f32_i32_e32 v224, v224
	v_dot4c_i32_i8_e32 v226, v109, v13
	v_dot4c_i32_i8_e32 v227, v120, v8
	;; [unrolled: 1-line block ×6, first 2 shown]
	v_fmac_f32_e32 v29, v205, v228
	v_dot4c_i32_i8_e32 v227, v117, v11
	v_fma_f32 v228, v130, v224, 0
	v_mul_lo_u32 v224, v226, v219
	s_nop 0
	v_mad_u64_u32 v[224:225], s[22:23], v227, v218, v[224:225]
	v_cvt_f32_i32_e32 v224, v224
	v_fmac_f32_e32 v228, v131, v224
	v_mov_b32_e32 v224, 0
	v_dot4c_i32_i8_e32 v224, v118, v12
	v_mov_b32_e32 v12, 0
	v_dot4c_i32_i8_e32 v12, v124, v8
	;; [unrolled: 2-line block ×3, first 2 shown]
	v_dot4c_i32_i8_e32 v8, v113, v5
	v_mov_b32_e32 v5, 0
	v_dot4c_i32_i8_e32 v5, v102, v0
	v_dot4c_i32_i8_e32 v8, v110, v6
	;; [unrolled: 1-line block ×7, first 2 shown]
	v_mul_lo_u32 v4, v8, v220
	v_dot4c_i32_i8_e32 v224, v114, v14
	v_mad_u64_u32 v[0:1], s[22:23], v5, v221, v[4:5]
	v_cvt_f32_i32_e32 v0, v0
	v_dot4c_i32_i8_e32 v12, v125, v9
	v_dot4c_i32_i8_e32 v224, v115, v15
	v_dot4c_i32_i8_e32 v12, v122, v10
	v_dot4c_i32_i8_e32 v12, v123, v11
	v_fma_f32 v2, v130, v0, 0
	v_mul_lo_u32 v0, v224, v223
	v_mov_b32_e32 v224, 0
	v_mad_u64_u32 v[0:1], s[22:23], v12, v222, v[0:1]
	v_cvt_f32_i32_e32 v0, v0
	v_fmac_f32_e32 v27, v206, v228
	v_fmac_f32_e32 v2, v131, v0
	v_or_b32_e32 v0, s20, v187
	v_lshlrev_b32_e32 v12, 2, v0
	v_lshrrev_b32_e32 v130, 1, v0
	v_fmac_f32_e32 v25, v207, v2
	ds_read_b128 v[0:3], v12 offset:33280
	ds_read_b128 v[4:7], v12 offset:33296
	;; [unrolled: 1-line block ×4, first 2 shown]
	ds_read_b64 v[130:131], v130 offset:43584
	s_waitcnt lgkmcnt(1)
	v_dot4c_i32_i8_e32 v224, v128, v12
	v_dot4c_i32_i8_e32 v224, v129, v13
	;; [unrolled: 1-line block ×3, first 2 shown]
	v_mov_b32_e32 v126, 0
	v_dot4c_i32_i8_e32 v126, v84, v8
	v_dot4c_i32_i8_e32 v126, v85, v9
	;; [unrolled: 1-line block ×3, first 2 shown]
	v_mov_b32_e32 v82, 0
	v_dot4c_i32_i8_e32 v82, v72, v4
	v_dot4c_i32_i8_e32 v82, v73, v5
	;; [unrolled: 1-line block ×4, first 2 shown]
	v_mov_b32_e32 v71, 0
	v_dot4c_i32_i8_e32 v71, v68, v0
	v_dot4c_i32_i8_e32 v71, v69, v1
	;; [unrolled: 1-line block ×3, first 2 shown]
	v_mul_lo_u32 v70, v82, v208
	v_dot4c_i32_i8_e32 v71, v67, v3
	v_dot4c_i32_i8_e32 v224, v127, v15
	;; [unrolled: 1-line block ×3, first 2 shown]
	v_mov_b32_e32 v69, 0
	v_mad_u64_u32 v[66:67], s[20:21], v71, v209, v[70:71]
	v_cvt_f32_i32_e32 v66, v66
	v_dot4c_i32_i8_e32 v69, v104, v8
	v_dot4c_i32_i8_e32 v69, v105, v9
	;; [unrolled: 1-line block ×3, first 2 shown]
	s_waitcnt lgkmcnt(0)
	v_fma_f32 v68, v130, v66, 0
	v_mul_lo_u32 v66, v224, v211
	v_mad_u64_u32 v[66:67], s[20:21], v126, v210, v[66:67]
	v_cvt_f32_i32_e32 v66, v66
	v_mov_b32_e32 v67, 0
	v_dot4c_i32_i8_e32 v67, v76, v0
	v_dot4c_i32_i8_e32 v67, v77, v1
	v_fmac_f32_e32 v68, v131, v66
	v_mov_b32_e32 v66, 0
	v_dot4c_i32_i8_e32 v66, v80, v4
	v_dot4c_i32_i8_e32 v66, v81, v5
	;; [unrolled: 1-line block ×6, first 2 shown]
	v_fmac_f32_e32 v23, v204, v68
	v_mul_lo_u32 v66, v66, v212
	v_mov_b32_e32 v68, 0
	v_mad_u64_u32 v[66:67], s[20:21], v67, v213, v[66:67]
	v_dot4c_i32_i8_e32 v68, v88, v12
	v_cvt_f32_i32_e32 v66, v66
	v_dot4c_i32_i8_e32 v68, v89, v13
	v_dot4c_i32_i8_e32 v68, v86, v14
	v_dot4c_i32_i8_e32 v68, v87, v15
	v_dot4c_i32_i8_e32 v69, v101, v11
	v_fma_f32 v70, v130, v66, 0
	s_nop 0
	v_mul_lo_u32 v66, v68, v215
	v_mad_u64_u32 v[66:67], s[20:21], v69, v214, v[66:67]
	v_cvt_f32_i32_e32 v66, v66
	v_mov_b32_e32 v67, 0
	v_dot4c_i32_i8_e32 v67, v92, v0
	v_dot4c_i32_i8_e32 v67, v93, v1
	v_fmac_f32_e32 v70, v131, v66
	v_mov_b32_e32 v66, 0
	v_dot4c_i32_i8_e32 v66, v96, v4
	v_dot4c_i32_i8_e32 v66, v97, v5
	;; [unrolled: 1-line block ×6, first 2 shown]
	v_mov_b32_e32 v68, 0
	v_mul_lo_u32 v66, v66, v216
	v_dot4c_i32_i8_e32 v68, v108, v12
	v_mad_u64_u32 v[66:67], s[20:21], v67, v217, v[66:67]
	v_mov_b32_e32 v69, 0
	v_cvt_f32_i32_e32 v66, v66
	v_dot4c_i32_i8_e32 v68, v109, v13
	v_dot4c_i32_i8_e32 v69, v120, v8
	;; [unrolled: 1-line block ×6, first 2 shown]
	v_fmac_f32_e32 v21, v205, v70
	v_dot4c_i32_i8_e32 v69, v117, v11
	v_fma_f32 v70, v130, v66, 0
	v_mul_lo_u32 v66, v68, v219
	s_nop 0
	v_mad_u64_u32 v[66:67], s[20:21], v69, v218, v[66:67]
	v_cvt_f32_i32_e32 v66, v66
	v_fmac_f32_e32 v70, v131, v66
	v_mov_b32_e32 v66, 0
	v_dot4c_i32_i8_e32 v66, v118, v12
	v_mov_b32_e32 v12, 0
	v_dot4c_i32_i8_e32 v12, v124, v8
	;; [unrolled: 2-line block ×3, first 2 shown]
	v_dot4c_i32_i8_e32 v8, v113, v5
	v_mov_b32_e32 v5, 0
	v_dot4c_i32_i8_e32 v5, v102, v0
	v_dot4c_i32_i8_e32 v8, v110, v6
	;; [unrolled: 1-line block ×7, first 2 shown]
	v_mul_lo_u32 v4, v8, v220
	v_dot4c_i32_i8_e32 v66, v114, v14
	v_mad_u64_u32 v[0:1], s[20:21], v5, v221, v[4:5]
	v_cvt_f32_i32_e32 v0, v0
	v_dot4c_i32_i8_e32 v12, v125, v9
	v_dot4c_i32_i8_e32 v66, v115, v15
	;; [unrolled: 1-line block ×4, first 2 shown]
	v_fma_f32 v2, v130, v0, 0
	v_mul_lo_u32 v0, v66, v223
	v_fmac_f32_e32 v19, v206, v70
	v_mad_u64_u32 v[0:1], s[20:21], v12, v222, v[0:1]
	v_cvt_f32_i32_e32 v0, v0
	s_mov_b32 s21, 8
	v_fmac_f32_e32 v2, v131, v0
	v_fmac_f32_e32 v17, v207, v2
	s_cbranch_vccnz .LBB135_6
; %bb.7:                                ;   in Loop: Header=BB135_5 Depth=1
	v_add_u32_e32 v14, s19, v190
	v_add_u32_e32 v0, v14, v166
	;; [unrolled: 1-line block ×6, first 2 shown]
	v_mad_i64_i32 v[0:1], s[0:1], v0, 36, v[62:63]
	v_mad_i64_i32 v[2:3], s[0:1], v2, 36, v[62:63]
	v_mad_i64_i32 v[4:5], s[0:1], v4, 36, v[62:63]
	v_mad_i64_i32 v[6:7], s[0:1], v6, 36, v[62:63]
	v_add_u32_e32 v8, v14, v177
	v_add_u32_e32 v10, v14, v180
	;; [unrolled: 1-line block ×4, first 2 shown]
	v_mad_u64_u32 v[66:67], s[0:1], v66, 36, s[2:3]
	s_barrier
	v_mad_i64_i32 v[8:9], s[0:1], v8, 36, v[62:63]
	v_mad_i64_i32 v[10:11], s[0:1], v10, 36, v[62:63]
	v_mad_i64_i32 v[12:13], s[0:1], v12, 36, v[62:63]
	v_mad_i64_i32 v[14:15], s[0:1], v14, 36, v[62:63]
	global_load_dword v66, v[66:67], off
	s_nop 0
	global_load_dword v0, v[0:1], off offset:4
	s_nop 0
	global_load_dword v1, v[2:3], off offset:4
	;; [unrolled: 2-line block ×3, first 2 shown]
	global_load_dword v3, v[6:7], off offset:4
	s_nop 0
	global_load_dword v4, v[8:9], off offset:4
	global_load_dword v5, v[10:11], off offset:4
	;; [unrolled: 1-line block ×4, first 2 shown]
	s_mov_b32 s0, 16
	s_waitcnt vmcnt(8)
	v_cvt_f32_f16_e32 v8, v66
	s_waitcnt vmcnt(7)
	ds_write_b32 v167, v0
	s_waitcnt vmcnt(6)
	ds_write_b32 v170, v1
	;; [unrolled: 2-line block ×8, first 2 shown]
	ds_write_b32 v164, v8
	s_waitcnt lgkmcnt(0)
	s_barrier
	ds_read_b32 v203, v189
	ds_read_b32 v204, v191 offset:128
	ds_read_b32 v205, v192 offset:256
	;; [unrolled: 1-line block ×3, first 2 shown]
.LBB135_8:                              ;   Parent Loop BB135_5 Depth=1
                                        ; =>  This Inner Loop Header: Depth=2
	s_lshl_b32 s1, s0, 1
	s_and_b32 s1, s1, 16
	v_or_b32_e32 v0, s1, v157
	v_lshlrev_b32_e32 v12, 2, v0
	s_lshr_b32 s19, s0, 1
	s_lshl_b32 s20, s0, 3
	v_lshrrev_b32_e32 v66, 1, v0
	ds_read_b128 v[0:3], v12 offset:33280
	ds_read_b128 v[4:7], v12 offset:33296
	;; [unrolled: 1-line block ×4, first 2 shown]
	ds_read_b64 v[130:131], v66 offset:43584
	v_add_u32_e32 v74, s19, v194
	v_add_u32_e32 v75, s20, v195
	ds_read2_b32 v[70:71], v75 offset0:6 offset1:7
	ds_read2_b32 v[72:73], v75 offset0:4 offset1:5
	;; [unrolled: 1-line block ×3, first 2 shown]
	ds_read2_b32 v[68:69], v75 offset1:1
	ds_read_b32 v76, v74
	ds_read2_b32 v[126:127], v75 offset0:14 offset1:15
	ds_read2_b32 v[128:129], v75 offset0:12 offset1:13
	v_mov_b32_e32 v74, 0
	ds_read2_b32 v[82:83], v75 offset0:10 offset1:11
	ds_read2_b32 v[84:85], v75 offset0:8 offset1:9
	s_waitcnt lgkmcnt(7)
	v_dot4c_i32_i8_e32 v74, v72, v4
	v_mov_b32_e32 v75, 0
	v_dot4c_i32_i8_e32 v74, v73, v5
	s_waitcnt lgkmcnt(5)
	v_dot4c_i32_i8_e32 v75, v68, v0
	v_dot4c_i32_i8_e32 v74, v70, v6
	;; [unrolled: 1-line block ×4, first 2 shown]
	s_waitcnt lgkmcnt(4)
	v_bfe_i32 v207, v76, 8, 8
	v_dot4c_i32_i8_e32 v75, v66, v2
	v_dot4c_i32_i8_e32 v75, v67, v3
	v_mul_lo_u32 v74, v74, v207
	v_bfe_i32 v208, v76, 0, 8
	v_mov_b32_e32 v77, 0
	v_mad_u64_u32 v[74:75], s[22:23], v75, v208, v[74:75]
	s_waitcnt lgkmcnt(2)
	v_dot4c_i32_i8_e32 v77, v128, v12
	v_mov_b32_e32 v78, 0
	v_cvt_f32_i32_e32 v74, v74
	v_dot4c_i32_i8_e32 v77, v129, v13
	s_waitcnt lgkmcnt(0)
	v_dot4c_i32_i8_e32 v78, v84, v8
	v_dot4c_i32_i8_e32 v77, v126, v14
	;; [unrolled: 1-line block ×5, first 2 shown]
	v_ashrrev_i32_e32 v210, 24, v76
	v_dot4c_i32_i8_e32 v78, v83, v11
	v_fma_f32 v79, v130, v74, 0
	v_bfe_i32 v209, v76, 16, 8
	v_mul_lo_u32 v74, v77, v210
	v_mad_u64_u32 v[74:75], s[22:23], v78, v209, v[74:75]
	v_cvt_f32_i32_e32 v74, v74
	v_add_u32_e32 v86, s19, v196
	v_add_u32_e32 v90, s20, v197
	v_mov_b32_e32 v91, 0
	v_fmac_f32_e32 v79, v131, v74
	v_fmac_f32_e32 v163, v203, v79
	ds_read2_b32 v[78:79], v90 offset0:6 offset1:7
	ds_read2_b32 v[80:81], v90 offset0:4 offset1:5
	;; [unrolled: 1-line block ×3, first 2 shown]
	ds_read2_b32 v[76:77], v90 offset1:1
	ds_read_b32 v92, v86
	ds_read2_b32 v[86:87], v90 offset0:14 offset1:15
	ds_read2_b32 v[88:89], v90 offset0:12 offset1:13
	;; [unrolled: 1-line block ×4, first 2 shown]
	v_mov_b32_e32 v90, 0
	s_waitcnt lgkmcnt(7)
	v_dot4c_i32_i8_e32 v90, v80, v4
	v_dot4c_i32_i8_e32 v90, v81, v5
	s_waitcnt lgkmcnt(5)
	v_dot4c_i32_i8_e32 v91, v76, v0
	v_dot4c_i32_i8_e32 v90, v78, v6
	;; [unrolled: 1-line block ×4, first 2 shown]
	s_waitcnt lgkmcnt(4)
	v_bfe_i32 v211, v92, 8, 8
	v_dot4c_i32_i8_e32 v91, v74, v2
	v_dot4c_i32_i8_e32 v91, v75, v3
	v_mul_lo_u32 v90, v90, v211
	v_bfe_i32 v212, v92, 0, 8
	v_mov_b32_e32 v93, 0
	v_mad_u64_u32 v[90:91], s[22:23], v91, v212, v[90:91]
	s_waitcnt lgkmcnt(2)
	v_dot4c_i32_i8_e32 v93, v88, v12
	v_mov_b32_e32 v94, 0
	v_cvt_f32_i32_e32 v90, v90
	v_dot4c_i32_i8_e32 v93, v89, v13
	s_waitcnt lgkmcnt(0)
	v_dot4c_i32_i8_e32 v94, v104, v8
	v_dot4c_i32_i8_e32 v93, v86, v14
	;; [unrolled: 1-line block ×5, first 2 shown]
	v_ashrrev_i32_e32 v214, 24, v92
	v_dot4c_i32_i8_e32 v94, v101, v11
	v_fma_f32 v95, v130, v90, 0
	v_bfe_i32 v213, v92, 16, 8
	v_mul_lo_u32 v90, v93, v214
	v_mad_u64_u32 v[90:91], s[22:23], v94, v213, v[90:91]
	v_cvt_f32_i32_e32 v90, v90
	v_add_u32_e32 v98, s19, v198
	v_add_u32_e32 v99, s20, v199
	v_mov_b32_e32 v103, 0
	v_fmac_f32_e32 v95, v131, v90
	v_fmac_f32_e32 v161, v204, v95
	ds_read2_b32 v[94:95], v99 offset0:6 offset1:7
	ds_read2_b32 v[96:97], v99 offset0:4 offset1:5
	;; [unrolled: 1-line block ×3, first 2 shown]
	ds_read2_b32 v[92:93], v99 offset1:1
	ds_read_b32 v102, v98
	ds_read2_b32 v[106:107], v99 offset0:14 offset1:15
	ds_read2_b32 v[108:109], v99 offset0:12 offset1:13
	v_mov_b32_e32 v98, 0
	ds_read2_b32 v[116:117], v99 offset0:10 offset1:11
	ds_read2_b32 v[120:121], v99 offset0:8 offset1:9
	s_waitcnt lgkmcnt(7)
	v_dot4c_i32_i8_e32 v98, v96, v4
	v_mov_b32_e32 v99, 0
	v_dot4c_i32_i8_e32 v98, v97, v5
	s_waitcnt lgkmcnt(5)
	v_dot4c_i32_i8_e32 v99, v92, v0
	v_dot4c_i32_i8_e32 v98, v94, v6
	;; [unrolled: 1-line block ×4, first 2 shown]
	s_waitcnt lgkmcnt(4)
	v_bfe_i32 v215, v102, 8, 8
	v_dot4c_i32_i8_e32 v99, v90, v2
	v_dot4c_i32_i8_e32 v99, v91, v3
	v_mul_lo_u32 v98, v98, v215
	v_bfe_i32 v216, v102, 0, 8
	s_waitcnt lgkmcnt(2)
	v_dot4c_i32_i8_e32 v103, v108, v12
	v_mad_u64_u32 v[98:99], s[22:23], v99, v216, v[98:99]
	v_mov_b32_e32 v110, 0
	v_cvt_f32_i32_e32 v98, v98
	v_dot4c_i32_i8_e32 v103, v109, v13
	s_waitcnt lgkmcnt(0)
	v_dot4c_i32_i8_e32 v110, v120, v8
	v_dot4c_i32_i8_e32 v103, v106, v14
	v_dot4c_i32_i8_e32 v110, v121, v9
	v_dot4c_i32_i8_e32 v103, v107, v15
	v_dot4c_i32_i8_e32 v110, v116, v10
	v_ashrrev_i32_e32 v218, 24, v102
	v_dot4c_i32_i8_e32 v110, v117, v11
	v_fma_f32 v111, v130, v98, 0
	v_bfe_i32 v217, v102, 16, 8
	v_mul_lo_u32 v98, v103, v218
	v_mad_u64_u32 v[98:99], s[22:23], v110, v217, v[98:99]
	v_cvt_f32_i32_e32 v98, v98
	v_add_u32_e32 v114, s19, v200
	v_add_u32_e32 v124, s20, v201
	v_mov_b32_e32 v223, 0
	v_fmac_f32_e32 v111, v131, v98
	v_fmac_f32_e32 v158, v205, v111
	ds_read2_b32 v[110:111], v124 offset0:6 offset1:7
	ds_read2_b32 v[112:113], v124 offset0:4 offset1:5
	;; [unrolled: 1-line block ×3, first 2 shown]
	ds_read2_b32 v[102:103], v124 offset1:1
	ds_read_b32 v222, v114
	ds_read2_b32 v[114:115], v124 offset0:14 offset1:15
	ds_read2_b32 v[118:119], v124 offset0:12 offset1:13
	;; [unrolled: 1-line block ×4, first 2 shown]
	v_mov_b32_e32 v224, 0
	s_waitcnt lgkmcnt(4)
	v_bfe_i32 v219, v222, 8, 8
	v_bfe_i32 v220, v222, 0, 8
	s_waitcnt lgkmcnt(2)
	v_dot4c_i32_i8_e32 v223, v118, v12
	v_mov_b32_e32 v12, 0
	s_waitcnt lgkmcnt(0)
	v_dot4c_i32_i8_e32 v12, v124, v8
	v_mov_b32_e32 v8, 0
	v_dot4c_i32_i8_e32 v8, v112, v4
	v_dot4c_i32_i8_e32 v8, v113, v5
	v_mov_b32_e32 v5, 0
	v_dot4c_i32_i8_e32 v5, v102, v0
	v_dot4c_i32_i8_e32 v8, v110, v6
	;; [unrolled: 1-line block ×7, first 2 shown]
	v_mul_lo_u32 v4, v8, v219
	v_dot4c_i32_i8_e32 v223, v114, v14
	v_mad_u64_u32 v[0:1], s[20:21], v5, v220, v[4:5]
	v_cvt_f32_i32_e32 v0, v0
	v_dot4c_i32_i8_e32 v12, v125, v9
	v_dot4c_i32_i8_e32 v223, v115, v15
	;; [unrolled: 1-line block ×3, first 2 shown]
	v_bfe_i32 v221, v222, 16, 8
	v_ashrrev_i32_e32 v222, 24, v222
	v_dot4c_i32_i8_e32 v12, v123, v11
	v_fma_f32 v2, v130, v0, 0
	v_mul_lo_u32 v0, v223, v222
	v_mov_b32_e32 v225, 0
	v_mad_u64_u32 v[0:1], s[20:21], v12, v221, v[0:1]
	v_cvt_f32_i32_e32 v0, v0
	v_mov_b32_e32 v223, 0
	v_mov_b32_e32 v226, 0
	v_fmac_f32_e32 v2, v131, v0
	v_or_b32_e32 v0, s1, v169
	v_lshlrev_b32_e32 v12, 2, v0
	v_lshrrev_b32_e32 v130, 1, v0
	v_fmac_f32_e32 v149, v206, v2
	ds_read_b128 v[0:3], v12 offset:33280
	ds_read_b128 v[4:7], v12 offset:33296
	;; [unrolled: 1-line block ×4, first 2 shown]
	ds_read_b64 v[130:131], v130 offset:43584
	s_waitcnt lgkmcnt(4)
	v_dot4c_i32_i8_e32 v225, v68, v0
	s_waitcnt lgkmcnt(3)
	v_dot4c_i32_i8_e32 v224, v72, v4
	v_dot4c_i32_i8_e32 v224, v73, v5
	;; [unrolled: 1-line block ×7, first 2 shown]
	s_waitcnt lgkmcnt(1)
	v_dot4c_i32_i8_e32 v223, v128, v12
	v_mul_lo_u32 v224, v224, v207
	v_dot4c_i32_i8_e32 v223, v129, v13
	v_mad_u64_u32 v[224:225], s[20:21], v225, v208, v[224:225]
	v_cvt_f32_i32_e32 v224, v224
	v_dot4c_i32_i8_e32 v226, v84, v8
	v_dot4c_i32_i8_e32 v223, v126, v14
	;; [unrolled: 1-line block ×6, first 2 shown]
	s_waitcnt lgkmcnt(0)
	v_fma_f32 v227, v130, v224, 0
	v_mul_lo_u32 v224, v223, v210
	v_mad_u64_u32 v[224:225], s[20:21], v226, v209, v[224:225]
	v_cvt_f32_i32_e32 v223, v224
	v_mov_b32_e32 v224, 0
	v_dot4c_i32_i8_e32 v224, v80, v4
	v_mov_b32_e32 v225, 0
	v_dot4c_i32_i8_e32 v224, v81, v5
	v_dot4c_i32_i8_e32 v225, v76, v0
	;; [unrolled: 1-line block ×7, first 2 shown]
	v_fmac_f32_e32 v227, v131, v223
	v_mul_lo_u32 v224, v224, v211
	v_mov_b32_e32 v223, 0
	v_mad_u64_u32 v[224:225], s[20:21], v225, v212, v[224:225]
	v_dot4c_i32_i8_e32 v223, v88, v12
	v_mov_b32_e32 v226, 0
	v_cvt_f32_i32_e32 v224, v224
	v_dot4c_i32_i8_e32 v223, v89, v13
	v_dot4c_i32_i8_e32 v226, v104, v8
	;; [unrolled: 1-line block ×6, first 2 shown]
	v_fmac_f32_e32 v139, v203, v227
	v_dot4c_i32_i8_e32 v226, v101, v11
	v_fma_f32 v227, v130, v224, 0
	v_mul_lo_u32 v224, v223, v214
	s_nop 0
	v_mad_u64_u32 v[224:225], s[20:21], v226, v213, v[224:225]
	v_cvt_f32_i32_e32 v223, v224
	v_mov_b32_e32 v224, 0
	v_dot4c_i32_i8_e32 v224, v96, v4
	v_mov_b32_e32 v225, 0
	v_dot4c_i32_i8_e32 v224, v97, v5
	v_dot4c_i32_i8_e32 v225, v92, v0
	;; [unrolled: 1-line block ×7, first 2 shown]
	v_fmac_f32_e32 v227, v131, v223
	v_mul_lo_u32 v224, v224, v215
	v_mov_b32_e32 v223, 0
	v_mad_u64_u32 v[224:225], s[20:21], v225, v216, v[224:225]
	v_dot4c_i32_i8_e32 v223, v108, v12
	v_mov_b32_e32 v226, 0
	v_cvt_f32_i32_e32 v224, v224
	v_dot4c_i32_i8_e32 v223, v109, v13
	v_dot4c_i32_i8_e32 v226, v120, v8
	;; [unrolled: 1-line block ×6, first 2 shown]
	v_fmac_f32_e32 v137, v204, v227
	v_dot4c_i32_i8_e32 v226, v117, v11
	v_fma_f32 v227, v130, v224, 0
	v_mul_lo_u32 v224, v223, v218
	s_nop 0
	v_mad_u64_u32 v[224:225], s[20:21], v226, v217, v[224:225]
	v_cvt_f32_i32_e32 v223, v224
	v_mov_b32_e32 v224, 0
	v_mov_b32_e32 v225, 0
	;; [unrolled: 1-line block ×3, first 2 shown]
	v_fmac_f32_e32 v227, v131, v223
	v_mov_b32_e32 v223, 0
	v_dot4c_i32_i8_e32 v223, v118, v12
	v_mov_b32_e32 v12, 0
	v_dot4c_i32_i8_e32 v12, v124, v8
	;; [unrolled: 2-line block ×3, first 2 shown]
	v_dot4c_i32_i8_e32 v8, v113, v5
	v_mov_b32_e32 v5, 0
	v_dot4c_i32_i8_e32 v5, v102, v0
	v_dot4c_i32_i8_e32 v8, v110, v6
	;; [unrolled: 1-line block ×7, first 2 shown]
	v_mul_lo_u32 v4, v8, v219
	v_dot4c_i32_i8_e32 v223, v114, v14
	v_mad_u64_u32 v[0:1], s[20:21], v5, v220, v[4:5]
	v_cvt_f32_i32_e32 v0, v0
	v_dot4c_i32_i8_e32 v12, v125, v9
	v_dot4c_i32_i8_e32 v223, v115, v15
	;; [unrolled: 1-line block ×4, first 2 shown]
	v_fma_f32 v2, v130, v0, 0
	v_mul_lo_u32 v0, v223, v222
	v_mov_b32_e32 v223, 0
	v_mad_u64_u32 v[0:1], s[20:21], v12, v221, v[0:1]
	v_cvt_f32_i32_e32 v0, v0
	v_fmac_f32_e32 v136, v205, v227
	v_fmac_f32_e32 v2, v131, v0
	v_or_b32_e32 v0, s1, v172
	v_lshlrev_b32_e32 v12, 2, v0
	v_lshrrev_b32_e32 v130, 1, v0
	v_fmac_f32_e32 v135, v206, v2
	ds_read_b128 v[0:3], v12 offset:33280
	ds_read_b128 v[4:7], v12 offset:33296
	;; [unrolled: 1-line block ×4, first 2 shown]
	ds_read_b64 v[130:131], v130 offset:43584
	s_waitcnt lgkmcnt(4)
	v_dot4c_i32_i8_e32 v225, v68, v0
	s_waitcnt lgkmcnt(3)
	v_dot4c_i32_i8_e32 v224, v72, v4
	v_dot4c_i32_i8_e32 v224, v73, v5
	v_dot4c_i32_i8_e32 v224, v70, v6
	v_dot4c_i32_i8_e32 v225, v69, v1
	v_dot4c_i32_i8_e32 v224, v71, v7
	v_dot4c_i32_i8_e32 v225, v66, v2
	v_dot4c_i32_i8_e32 v225, v67, v3
	s_waitcnt lgkmcnt(1)
	v_dot4c_i32_i8_e32 v223, v128, v12
	v_mul_lo_u32 v224, v224, v207
	v_dot4c_i32_i8_e32 v223, v129, v13
	v_mad_u64_u32 v[224:225], s[20:21], v225, v208, v[224:225]
	v_cvt_f32_i32_e32 v224, v224
	v_dot4c_i32_i8_e32 v226, v84, v8
	v_dot4c_i32_i8_e32 v223, v126, v14
	;; [unrolled: 1-line block ×6, first 2 shown]
	s_waitcnt lgkmcnt(0)
	v_fma_f32 v227, v130, v224, 0
	v_mul_lo_u32 v224, v223, v210
	v_mad_u64_u32 v[224:225], s[20:21], v226, v209, v[224:225]
	v_cvt_f32_i32_e32 v223, v224
	v_mov_b32_e32 v224, 0
	v_dot4c_i32_i8_e32 v224, v80, v4
	v_mov_b32_e32 v225, 0
	v_dot4c_i32_i8_e32 v224, v81, v5
	v_dot4c_i32_i8_e32 v225, v76, v0
	;; [unrolled: 1-line block ×7, first 2 shown]
	v_fmac_f32_e32 v227, v131, v223
	v_mul_lo_u32 v224, v224, v211
	v_mov_b32_e32 v223, 0
	v_mad_u64_u32 v[224:225], s[20:21], v225, v212, v[224:225]
	v_dot4c_i32_i8_e32 v223, v88, v12
	v_mov_b32_e32 v226, 0
	v_cvt_f32_i32_e32 v224, v224
	v_dot4c_i32_i8_e32 v223, v89, v13
	v_dot4c_i32_i8_e32 v226, v104, v8
	;; [unrolled: 1-line block ×6, first 2 shown]
	v_fmac_f32_e32 v133, v203, v227
	v_dot4c_i32_i8_e32 v226, v101, v11
	v_fma_f32 v227, v130, v224, 0
	v_mul_lo_u32 v224, v223, v214
	s_nop 0
	v_mad_u64_u32 v[224:225], s[20:21], v226, v213, v[224:225]
	v_cvt_f32_i32_e32 v223, v224
	v_mov_b32_e32 v224, 0
	v_dot4c_i32_i8_e32 v224, v96, v4
	v_mov_b32_e32 v225, 0
	v_dot4c_i32_i8_e32 v224, v97, v5
	v_dot4c_i32_i8_e32 v225, v92, v0
	;; [unrolled: 1-line block ×7, first 2 shown]
	v_fmac_f32_e32 v227, v131, v223
	v_mul_lo_u32 v224, v224, v215
	v_mov_b32_e32 v223, 0
	v_mad_u64_u32 v[224:225], s[20:21], v225, v216, v[224:225]
	v_dot4c_i32_i8_e32 v223, v108, v12
	v_mov_b32_e32 v226, 0
	v_cvt_f32_i32_e32 v224, v224
	v_dot4c_i32_i8_e32 v223, v109, v13
	v_dot4c_i32_i8_e32 v226, v120, v8
	;; [unrolled: 1-line block ×6, first 2 shown]
	v_fmac_f32_e32 v132, v204, v227
	v_dot4c_i32_i8_e32 v226, v117, v11
	v_fma_f32 v227, v130, v224, 0
	v_mul_lo_u32 v224, v223, v218
	s_nop 0
	v_mad_u64_u32 v[224:225], s[20:21], v226, v217, v[224:225]
	v_cvt_f32_i32_e32 v223, v224
	v_mov_b32_e32 v224, 0
	v_mov_b32_e32 v225, 0
	v_mov_b32_e32 v226, 0
	v_fmac_f32_e32 v227, v131, v223
	v_mov_b32_e32 v223, 0
	v_dot4c_i32_i8_e32 v223, v118, v12
	v_mov_b32_e32 v12, 0
	v_dot4c_i32_i8_e32 v12, v124, v8
	;; [unrolled: 2-line block ×3, first 2 shown]
	v_dot4c_i32_i8_e32 v8, v113, v5
	v_mov_b32_e32 v5, 0
	v_dot4c_i32_i8_e32 v5, v102, v0
	v_dot4c_i32_i8_e32 v8, v110, v6
	;; [unrolled: 1-line block ×7, first 2 shown]
	v_mul_lo_u32 v4, v8, v219
	v_dot4c_i32_i8_e32 v223, v114, v14
	v_mad_u64_u32 v[0:1], s[20:21], v5, v220, v[4:5]
	v_cvt_f32_i32_e32 v0, v0
	v_dot4c_i32_i8_e32 v12, v125, v9
	v_dot4c_i32_i8_e32 v223, v115, v15
	;; [unrolled: 1-line block ×4, first 2 shown]
	v_fma_f32 v2, v130, v0, 0
	v_mul_lo_u32 v0, v223, v222
	v_mov_b32_e32 v223, 0
	v_mad_u64_u32 v[0:1], s[20:21], v12, v221, v[0:1]
	v_cvt_f32_i32_e32 v0, v0
	v_fmac_f32_e32 v65, v205, v227
	v_fmac_f32_e32 v2, v131, v0
	v_or_b32_e32 v0, s1, v175
	v_lshlrev_b32_e32 v12, 2, v0
	v_lshrrev_b32_e32 v130, 1, v0
	v_fmac_f32_e32 v59, v206, v2
	ds_read_b128 v[0:3], v12 offset:33280
	ds_read_b128 v[4:7], v12 offset:33296
	;; [unrolled: 1-line block ×4, first 2 shown]
	ds_read_b64 v[130:131], v130 offset:43584
	s_waitcnt lgkmcnt(4)
	v_dot4c_i32_i8_e32 v225, v68, v0
	s_waitcnt lgkmcnt(3)
	v_dot4c_i32_i8_e32 v224, v72, v4
	v_dot4c_i32_i8_e32 v224, v73, v5
	;; [unrolled: 1-line block ×7, first 2 shown]
	s_waitcnt lgkmcnt(1)
	v_dot4c_i32_i8_e32 v223, v128, v12
	v_mul_lo_u32 v224, v224, v207
	v_dot4c_i32_i8_e32 v223, v129, v13
	v_mad_u64_u32 v[224:225], s[20:21], v225, v208, v[224:225]
	v_cvt_f32_i32_e32 v224, v224
	v_dot4c_i32_i8_e32 v226, v84, v8
	v_dot4c_i32_i8_e32 v223, v126, v14
	;; [unrolled: 1-line block ×6, first 2 shown]
	s_waitcnt lgkmcnt(0)
	v_fma_f32 v227, v130, v224, 0
	v_mul_lo_u32 v224, v223, v210
	v_mad_u64_u32 v[224:225], s[20:21], v226, v209, v[224:225]
	v_cvt_f32_i32_e32 v223, v224
	v_mov_b32_e32 v224, 0
	v_dot4c_i32_i8_e32 v224, v80, v4
	v_mov_b32_e32 v225, 0
	v_dot4c_i32_i8_e32 v224, v81, v5
	v_dot4c_i32_i8_e32 v225, v76, v0
	;; [unrolled: 1-line block ×7, first 2 shown]
	v_fmac_f32_e32 v227, v131, v223
	v_mul_lo_u32 v224, v224, v211
	v_mov_b32_e32 v223, 0
	v_mad_u64_u32 v[224:225], s[20:21], v225, v212, v[224:225]
	v_dot4c_i32_i8_e32 v223, v88, v12
	v_mov_b32_e32 v226, 0
	v_cvt_f32_i32_e32 v224, v224
	v_dot4c_i32_i8_e32 v223, v89, v13
	v_dot4c_i32_i8_e32 v226, v104, v8
	;; [unrolled: 1-line block ×6, first 2 shown]
	v_fmac_f32_e32 v55, v203, v227
	v_dot4c_i32_i8_e32 v226, v101, v11
	v_fma_f32 v227, v130, v224, 0
	v_mul_lo_u32 v224, v223, v214
	s_nop 0
	v_mad_u64_u32 v[224:225], s[20:21], v226, v213, v[224:225]
	v_cvt_f32_i32_e32 v223, v224
	v_mov_b32_e32 v224, 0
	v_dot4c_i32_i8_e32 v224, v96, v4
	v_mov_b32_e32 v225, 0
	v_dot4c_i32_i8_e32 v224, v97, v5
	v_dot4c_i32_i8_e32 v225, v92, v0
	;; [unrolled: 1-line block ×7, first 2 shown]
	v_fmac_f32_e32 v227, v131, v223
	v_mul_lo_u32 v224, v224, v215
	v_mov_b32_e32 v223, 0
	v_mad_u64_u32 v[224:225], s[20:21], v225, v216, v[224:225]
	v_dot4c_i32_i8_e32 v223, v108, v12
	v_mov_b32_e32 v226, 0
	v_cvt_f32_i32_e32 v224, v224
	v_dot4c_i32_i8_e32 v223, v109, v13
	v_dot4c_i32_i8_e32 v226, v120, v8
	;; [unrolled: 1-line block ×6, first 2 shown]
	v_fmac_f32_e32 v53, v204, v227
	v_dot4c_i32_i8_e32 v226, v117, v11
	v_fma_f32 v227, v130, v224, 0
	v_mul_lo_u32 v224, v223, v218
	s_nop 0
	v_mad_u64_u32 v[224:225], s[20:21], v226, v217, v[224:225]
	v_cvt_f32_i32_e32 v223, v224
	v_mov_b32_e32 v224, 0
	v_mov_b32_e32 v225, 0
	;; [unrolled: 1-line block ×3, first 2 shown]
	v_fmac_f32_e32 v227, v131, v223
	v_mov_b32_e32 v223, 0
	v_dot4c_i32_i8_e32 v223, v118, v12
	v_mov_b32_e32 v12, 0
	v_dot4c_i32_i8_e32 v12, v124, v8
	;; [unrolled: 2-line block ×3, first 2 shown]
	v_dot4c_i32_i8_e32 v8, v113, v5
	v_mov_b32_e32 v5, 0
	v_dot4c_i32_i8_e32 v5, v102, v0
	v_dot4c_i32_i8_e32 v8, v110, v6
	;; [unrolled: 1-line block ×7, first 2 shown]
	v_mul_lo_u32 v4, v8, v219
	v_dot4c_i32_i8_e32 v223, v114, v14
	v_mad_u64_u32 v[0:1], s[20:21], v5, v220, v[4:5]
	v_cvt_f32_i32_e32 v0, v0
	v_dot4c_i32_i8_e32 v12, v125, v9
	v_dot4c_i32_i8_e32 v223, v115, v15
	;; [unrolled: 1-line block ×4, first 2 shown]
	v_fma_f32 v2, v130, v0, 0
	v_mul_lo_u32 v0, v223, v222
	v_mov_b32_e32 v223, 0
	v_mad_u64_u32 v[0:1], s[20:21], v12, v221, v[0:1]
	v_cvt_f32_i32_e32 v0, v0
	v_fmac_f32_e32 v51, v205, v227
	v_fmac_f32_e32 v2, v131, v0
	v_or_b32_e32 v0, s1, v178
	v_lshlrev_b32_e32 v12, 2, v0
	v_lshrrev_b32_e32 v130, 1, v0
	v_fmac_f32_e32 v49, v206, v2
	ds_read_b128 v[0:3], v12 offset:33280
	ds_read_b128 v[4:7], v12 offset:33296
	;; [unrolled: 1-line block ×4, first 2 shown]
	ds_read_b64 v[130:131], v130 offset:43584
	s_waitcnt lgkmcnt(4)
	v_dot4c_i32_i8_e32 v225, v68, v0
	s_waitcnt lgkmcnt(3)
	v_dot4c_i32_i8_e32 v224, v72, v4
	v_dot4c_i32_i8_e32 v224, v73, v5
	v_dot4c_i32_i8_e32 v224, v70, v6
	v_dot4c_i32_i8_e32 v225, v69, v1
	v_dot4c_i32_i8_e32 v224, v71, v7
	v_dot4c_i32_i8_e32 v225, v66, v2
	v_dot4c_i32_i8_e32 v225, v67, v3
	s_waitcnt lgkmcnt(1)
	v_dot4c_i32_i8_e32 v223, v128, v12
	v_mul_lo_u32 v224, v224, v207
	v_dot4c_i32_i8_e32 v223, v129, v13
	v_mad_u64_u32 v[224:225], s[20:21], v225, v208, v[224:225]
	v_cvt_f32_i32_e32 v224, v224
	v_dot4c_i32_i8_e32 v226, v84, v8
	v_dot4c_i32_i8_e32 v223, v126, v14
	;; [unrolled: 1-line block ×6, first 2 shown]
	s_waitcnt lgkmcnt(0)
	v_fma_f32 v227, v130, v224, 0
	v_mul_lo_u32 v224, v223, v210
	v_mad_u64_u32 v[224:225], s[20:21], v226, v209, v[224:225]
	v_cvt_f32_i32_e32 v223, v224
	v_mov_b32_e32 v224, 0
	v_dot4c_i32_i8_e32 v224, v80, v4
	v_mov_b32_e32 v225, 0
	v_dot4c_i32_i8_e32 v224, v81, v5
	v_dot4c_i32_i8_e32 v225, v76, v0
	;; [unrolled: 1-line block ×7, first 2 shown]
	v_fmac_f32_e32 v227, v131, v223
	v_mul_lo_u32 v224, v224, v211
	v_mov_b32_e32 v223, 0
	v_mad_u64_u32 v[224:225], s[20:21], v225, v212, v[224:225]
	v_dot4c_i32_i8_e32 v223, v88, v12
	v_mov_b32_e32 v226, 0
	v_cvt_f32_i32_e32 v224, v224
	v_dot4c_i32_i8_e32 v223, v89, v13
	v_dot4c_i32_i8_e32 v226, v104, v8
	;; [unrolled: 1-line block ×6, first 2 shown]
	v_fmac_f32_e32 v47, v203, v227
	v_dot4c_i32_i8_e32 v226, v101, v11
	v_fma_f32 v227, v130, v224, 0
	v_mul_lo_u32 v224, v223, v214
	s_nop 0
	v_mad_u64_u32 v[224:225], s[20:21], v226, v213, v[224:225]
	v_cvt_f32_i32_e32 v223, v224
	v_mov_b32_e32 v224, 0
	v_dot4c_i32_i8_e32 v224, v96, v4
	v_mov_b32_e32 v225, 0
	v_dot4c_i32_i8_e32 v224, v97, v5
	v_dot4c_i32_i8_e32 v225, v92, v0
	;; [unrolled: 1-line block ×7, first 2 shown]
	v_fmac_f32_e32 v227, v131, v223
	v_mul_lo_u32 v224, v224, v215
	v_mov_b32_e32 v223, 0
	v_mad_u64_u32 v[224:225], s[20:21], v225, v216, v[224:225]
	v_dot4c_i32_i8_e32 v223, v108, v12
	v_mov_b32_e32 v226, 0
	v_cvt_f32_i32_e32 v224, v224
	v_dot4c_i32_i8_e32 v223, v109, v13
	v_dot4c_i32_i8_e32 v226, v120, v8
	;; [unrolled: 1-line block ×6, first 2 shown]
	v_fmac_f32_e32 v45, v204, v227
	v_dot4c_i32_i8_e32 v226, v117, v11
	v_fma_f32 v227, v130, v224, 0
	v_mul_lo_u32 v224, v223, v218
	s_nop 0
	v_mad_u64_u32 v[224:225], s[20:21], v226, v217, v[224:225]
	v_cvt_f32_i32_e32 v223, v224
	v_mov_b32_e32 v224, 0
	v_mov_b32_e32 v225, 0
	;; [unrolled: 1-line block ×3, first 2 shown]
	v_fmac_f32_e32 v227, v131, v223
	v_mov_b32_e32 v223, 0
	v_dot4c_i32_i8_e32 v223, v118, v12
	v_mov_b32_e32 v12, 0
	v_dot4c_i32_i8_e32 v12, v124, v8
	;; [unrolled: 2-line block ×3, first 2 shown]
	v_dot4c_i32_i8_e32 v8, v113, v5
	v_mov_b32_e32 v5, 0
	v_dot4c_i32_i8_e32 v5, v102, v0
	v_dot4c_i32_i8_e32 v8, v110, v6
	;; [unrolled: 1-line block ×7, first 2 shown]
	v_mul_lo_u32 v4, v8, v219
	v_dot4c_i32_i8_e32 v223, v114, v14
	v_mad_u64_u32 v[0:1], s[20:21], v5, v220, v[4:5]
	v_cvt_f32_i32_e32 v0, v0
	v_dot4c_i32_i8_e32 v12, v125, v9
	v_dot4c_i32_i8_e32 v223, v115, v15
	;; [unrolled: 1-line block ×4, first 2 shown]
	v_fma_f32 v2, v130, v0, 0
	v_mul_lo_u32 v0, v223, v222
	v_mov_b32_e32 v223, 0
	v_mad_u64_u32 v[0:1], s[20:21], v12, v221, v[0:1]
	v_cvt_f32_i32_e32 v0, v0
	v_fmac_f32_e32 v43, v205, v227
	v_fmac_f32_e32 v2, v131, v0
	v_or_b32_e32 v0, s1, v181
	v_lshlrev_b32_e32 v12, 2, v0
	v_lshrrev_b32_e32 v130, 1, v0
	v_fmac_f32_e32 v41, v206, v2
	ds_read_b128 v[0:3], v12 offset:33280
	ds_read_b128 v[4:7], v12 offset:33296
	;; [unrolled: 1-line block ×4, first 2 shown]
	ds_read_b64 v[130:131], v130 offset:43584
	s_waitcnt lgkmcnt(4)
	v_dot4c_i32_i8_e32 v225, v68, v0
	s_waitcnt lgkmcnt(3)
	v_dot4c_i32_i8_e32 v224, v72, v4
	v_dot4c_i32_i8_e32 v224, v73, v5
	v_dot4c_i32_i8_e32 v224, v70, v6
	v_dot4c_i32_i8_e32 v225, v69, v1
	v_dot4c_i32_i8_e32 v224, v71, v7
	v_dot4c_i32_i8_e32 v225, v66, v2
	v_dot4c_i32_i8_e32 v225, v67, v3
	s_waitcnt lgkmcnt(1)
	v_dot4c_i32_i8_e32 v223, v128, v12
	v_mul_lo_u32 v224, v224, v207
	v_dot4c_i32_i8_e32 v223, v129, v13
	v_mad_u64_u32 v[224:225], s[20:21], v225, v208, v[224:225]
	v_cvt_f32_i32_e32 v224, v224
	v_dot4c_i32_i8_e32 v226, v84, v8
	v_dot4c_i32_i8_e32 v223, v126, v14
	;; [unrolled: 1-line block ×6, first 2 shown]
	s_waitcnt lgkmcnt(0)
	v_fma_f32 v227, v130, v224, 0
	v_mul_lo_u32 v224, v223, v210
	v_mad_u64_u32 v[224:225], s[20:21], v226, v209, v[224:225]
	v_cvt_f32_i32_e32 v223, v224
	v_mov_b32_e32 v224, 0
	v_dot4c_i32_i8_e32 v224, v80, v4
	v_mov_b32_e32 v225, 0
	v_dot4c_i32_i8_e32 v224, v81, v5
	v_dot4c_i32_i8_e32 v225, v76, v0
	;; [unrolled: 1-line block ×7, first 2 shown]
	v_fmac_f32_e32 v227, v131, v223
	v_mul_lo_u32 v224, v224, v211
	v_mov_b32_e32 v223, 0
	v_mad_u64_u32 v[224:225], s[20:21], v225, v212, v[224:225]
	v_dot4c_i32_i8_e32 v223, v88, v12
	v_mov_b32_e32 v226, 0
	v_cvt_f32_i32_e32 v224, v224
	v_dot4c_i32_i8_e32 v223, v89, v13
	v_dot4c_i32_i8_e32 v226, v104, v8
	;; [unrolled: 1-line block ×6, first 2 shown]
	v_fmac_f32_e32 v39, v203, v227
	v_dot4c_i32_i8_e32 v226, v101, v11
	v_fma_f32 v227, v130, v224, 0
	v_mul_lo_u32 v224, v223, v214
	s_nop 0
	v_mad_u64_u32 v[224:225], s[20:21], v226, v213, v[224:225]
	v_cvt_f32_i32_e32 v223, v224
	v_mov_b32_e32 v224, 0
	v_dot4c_i32_i8_e32 v224, v96, v4
	v_mov_b32_e32 v225, 0
	v_dot4c_i32_i8_e32 v224, v97, v5
	v_dot4c_i32_i8_e32 v225, v92, v0
	;; [unrolled: 1-line block ×7, first 2 shown]
	v_fmac_f32_e32 v227, v131, v223
	v_mul_lo_u32 v224, v224, v215
	v_mov_b32_e32 v223, 0
	v_mad_u64_u32 v[224:225], s[20:21], v225, v216, v[224:225]
	v_dot4c_i32_i8_e32 v223, v108, v12
	v_mov_b32_e32 v226, 0
	v_cvt_f32_i32_e32 v224, v224
	v_dot4c_i32_i8_e32 v223, v109, v13
	v_dot4c_i32_i8_e32 v226, v120, v8
	;; [unrolled: 1-line block ×6, first 2 shown]
	v_fmac_f32_e32 v37, v204, v227
	v_dot4c_i32_i8_e32 v226, v117, v11
	v_fma_f32 v227, v130, v224, 0
	v_mul_lo_u32 v224, v223, v218
	s_nop 0
	v_mad_u64_u32 v[224:225], s[20:21], v226, v217, v[224:225]
	v_cvt_f32_i32_e32 v223, v224
	v_mov_b32_e32 v224, 0
	v_mov_b32_e32 v225, 0
	;; [unrolled: 1-line block ×3, first 2 shown]
	v_fmac_f32_e32 v227, v131, v223
	v_mov_b32_e32 v223, 0
	v_dot4c_i32_i8_e32 v223, v118, v12
	v_mov_b32_e32 v12, 0
	v_dot4c_i32_i8_e32 v12, v124, v8
	;; [unrolled: 2-line block ×3, first 2 shown]
	v_dot4c_i32_i8_e32 v8, v113, v5
	v_mov_b32_e32 v5, 0
	v_dot4c_i32_i8_e32 v5, v102, v0
	v_dot4c_i32_i8_e32 v8, v110, v6
	;; [unrolled: 1-line block ×7, first 2 shown]
	v_mul_lo_u32 v4, v8, v219
	v_dot4c_i32_i8_e32 v223, v114, v14
	v_mad_u64_u32 v[0:1], s[20:21], v5, v220, v[4:5]
	v_cvt_f32_i32_e32 v0, v0
	v_dot4c_i32_i8_e32 v12, v125, v9
	v_dot4c_i32_i8_e32 v223, v115, v15
	v_dot4c_i32_i8_e32 v12, v122, v10
	v_dot4c_i32_i8_e32 v12, v123, v11
	v_fma_f32 v2, v130, v0, 0
	v_mul_lo_u32 v0, v223, v222
	v_mov_b32_e32 v223, 0
	v_mad_u64_u32 v[0:1], s[20:21], v12, v221, v[0:1]
	v_cvt_f32_i32_e32 v0, v0
	v_fmac_f32_e32 v35, v205, v227
	v_fmac_f32_e32 v2, v131, v0
	v_or_b32_e32 v0, s1, v184
	v_lshlrev_b32_e32 v12, 2, v0
	v_lshrrev_b32_e32 v130, 1, v0
	v_fmac_f32_e32 v33, v206, v2
	ds_read_b128 v[0:3], v12 offset:33280
	ds_read_b128 v[4:7], v12 offset:33296
	ds_read_b128 v[8:11], v12 offset:33312
	ds_read_b128 v[12:15], v12 offset:33328
	ds_read_b64 v[130:131], v130 offset:43584
	s_waitcnt lgkmcnt(4)
	v_dot4c_i32_i8_e32 v225, v68, v0
	s_waitcnt lgkmcnt(3)
	v_dot4c_i32_i8_e32 v224, v72, v4
	v_dot4c_i32_i8_e32 v224, v73, v5
	;; [unrolled: 1-line block ×7, first 2 shown]
	s_waitcnt lgkmcnt(1)
	v_dot4c_i32_i8_e32 v223, v128, v12
	v_mul_lo_u32 v224, v224, v207
	v_dot4c_i32_i8_e32 v223, v129, v13
	v_mad_u64_u32 v[224:225], s[20:21], v225, v208, v[224:225]
	v_cvt_f32_i32_e32 v224, v224
	v_dot4c_i32_i8_e32 v226, v84, v8
	v_dot4c_i32_i8_e32 v223, v126, v14
	;; [unrolled: 1-line block ×6, first 2 shown]
	s_waitcnt lgkmcnt(0)
	v_fma_f32 v227, v130, v224, 0
	v_mul_lo_u32 v224, v223, v210
	v_mad_u64_u32 v[224:225], s[20:21], v226, v209, v[224:225]
	v_cvt_f32_i32_e32 v223, v224
	v_mov_b32_e32 v224, 0
	v_dot4c_i32_i8_e32 v224, v80, v4
	v_mov_b32_e32 v225, 0
	v_dot4c_i32_i8_e32 v224, v81, v5
	v_dot4c_i32_i8_e32 v225, v76, v0
	;; [unrolled: 1-line block ×7, first 2 shown]
	v_fmac_f32_e32 v227, v131, v223
	v_mul_lo_u32 v224, v224, v211
	v_mov_b32_e32 v223, 0
	v_mad_u64_u32 v[224:225], s[20:21], v225, v212, v[224:225]
	v_dot4c_i32_i8_e32 v223, v88, v12
	v_mov_b32_e32 v226, 0
	v_cvt_f32_i32_e32 v224, v224
	v_dot4c_i32_i8_e32 v223, v89, v13
	v_dot4c_i32_i8_e32 v226, v104, v8
	;; [unrolled: 1-line block ×6, first 2 shown]
	v_fmac_f32_e32 v31, v203, v227
	v_dot4c_i32_i8_e32 v226, v101, v11
	v_fma_f32 v227, v130, v224, 0
	v_mul_lo_u32 v224, v223, v214
	s_nop 0
	v_mad_u64_u32 v[224:225], s[20:21], v226, v213, v[224:225]
	v_cvt_f32_i32_e32 v223, v224
	v_mov_b32_e32 v224, 0
	v_dot4c_i32_i8_e32 v224, v96, v4
	v_mov_b32_e32 v225, 0
	v_dot4c_i32_i8_e32 v224, v97, v5
	v_dot4c_i32_i8_e32 v225, v92, v0
	v_dot4c_i32_i8_e32 v224, v94, v6
	v_dot4c_i32_i8_e32 v225, v93, v1
	v_dot4c_i32_i8_e32 v224, v95, v7
	v_dot4c_i32_i8_e32 v225, v90, v2
	v_dot4c_i32_i8_e32 v225, v91, v3
	v_fmac_f32_e32 v227, v131, v223
	v_mul_lo_u32 v224, v224, v215
	v_mov_b32_e32 v223, 0
	v_mad_u64_u32 v[224:225], s[20:21], v225, v216, v[224:225]
	v_dot4c_i32_i8_e32 v223, v108, v12
	v_mov_b32_e32 v226, 0
	v_cvt_f32_i32_e32 v224, v224
	v_dot4c_i32_i8_e32 v223, v109, v13
	v_dot4c_i32_i8_e32 v226, v120, v8
	;; [unrolled: 1-line block ×6, first 2 shown]
	v_fmac_f32_e32 v29, v204, v227
	v_dot4c_i32_i8_e32 v226, v117, v11
	v_fma_f32 v227, v130, v224, 0
	v_mul_lo_u32 v224, v223, v218
	s_nop 0
	v_mad_u64_u32 v[224:225], s[20:21], v226, v217, v[224:225]
	v_cvt_f32_i32_e32 v223, v224
	v_fmac_f32_e32 v227, v131, v223
	v_mov_b32_e32 v223, 0
	v_dot4c_i32_i8_e32 v223, v118, v12
	v_mov_b32_e32 v12, 0
	v_dot4c_i32_i8_e32 v12, v124, v8
	;; [unrolled: 2-line block ×3, first 2 shown]
	v_dot4c_i32_i8_e32 v8, v113, v5
	v_mov_b32_e32 v5, 0
	v_dot4c_i32_i8_e32 v5, v102, v0
	v_dot4c_i32_i8_e32 v8, v110, v6
	;; [unrolled: 1-line block ×7, first 2 shown]
	v_mul_lo_u32 v4, v8, v219
	v_dot4c_i32_i8_e32 v223, v114, v14
	v_mad_u64_u32 v[0:1], s[20:21], v5, v220, v[4:5]
	v_cvt_f32_i32_e32 v0, v0
	v_dot4c_i32_i8_e32 v12, v125, v9
	v_dot4c_i32_i8_e32 v223, v115, v15
	;; [unrolled: 1-line block ×4, first 2 shown]
	v_fma_f32 v2, v130, v0, 0
	v_mul_lo_u32 v0, v223, v222
	v_mov_b32_e32 v223, 0
	v_mad_u64_u32 v[0:1], s[20:21], v12, v221, v[0:1]
	v_cvt_f32_i32_e32 v0, v0
	v_fmac_f32_e32 v27, v205, v227
	v_fmac_f32_e32 v2, v131, v0
	v_or_b32_e32 v0, s1, v187
	v_lshlrev_b32_e32 v12, 2, v0
	v_lshrrev_b32_e32 v130, 1, v0
	v_fmac_f32_e32 v25, v206, v2
	ds_read_b128 v[0:3], v12 offset:33280
	ds_read_b128 v[4:7], v12 offset:33296
	ds_read_b128 v[8:11], v12 offset:33312
	ds_read_b128 v[12:15], v12 offset:33328
	ds_read_b64 v[130:131], v130 offset:43584
	s_add_i32 s1, s0, 8
	s_cmp_lt_u32 s0, 24
	s_mov_b32 s0, s1
	s_waitcnt lgkmcnt(1)
	v_dot4c_i32_i8_e32 v223, v128, v12
	v_dot4c_i32_i8_e32 v223, v129, v13
	;; [unrolled: 1-line block ×3, first 2 shown]
	v_mov_b32_e32 v126, 0
	v_dot4c_i32_i8_e32 v126, v84, v8
	v_dot4c_i32_i8_e32 v126, v85, v9
	;; [unrolled: 1-line block ×3, first 2 shown]
	v_mov_b32_e32 v82, 0
	v_dot4c_i32_i8_e32 v82, v72, v4
	v_dot4c_i32_i8_e32 v82, v73, v5
	;; [unrolled: 1-line block ×4, first 2 shown]
	v_mov_b32_e32 v71, 0
	v_dot4c_i32_i8_e32 v71, v68, v0
	v_dot4c_i32_i8_e32 v71, v69, v1
	;; [unrolled: 1-line block ×3, first 2 shown]
	v_mul_lo_u32 v70, v82, v207
	v_dot4c_i32_i8_e32 v71, v67, v3
	v_dot4c_i32_i8_e32 v223, v127, v15
	;; [unrolled: 1-line block ×3, first 2 shown]
	v_mov_b32_e32 v69, 0
	v_mad_u64_u32 v[66:67], s[20:21], v71, v208, v[70:71]
	v_cvt_f32_i32_e32 v66, v66
	v_dot4c_i32_i8_e32 v69, v104, v8
	v_dot4c_i32_i8_e32 v69, v105, v9
	;; [unrolled: 1-line block ×3, first 2 shown]
	s_waitcnt lgkmcnt(0)
	v_fma_f32 v68, v130, v66, 0
	v_mul_lo_u32 v66, v223, v210
	v_mad_u64_u32 v[66:67], s[20:21], v126, v209, v[66:67]
	v_cvt_f32_i32_e32 v66, v66
	v_mov_b32_e32 v67, 0
	v_dot4c_i32_i8_e32 v67, v76, v0
	v_dot4c_i32_i8_e32 v67, v77, v1
	v_fmac_f32_e32 v68, v131, v66
	v_mov_b32_e32 v66, 0
	v_dot4c_i32_i8_e32 v66, v80, v4
	v_dot4c_i32_i8_e32 v66, v81, v5
	;; [unrolled: 1-line block ×6, first 2 shown]
	v_fmac_f32_e32 v23, v203, v68
	v_mul_lo_u32 v66, v66, v211
	v_mov_b32_e32 v68, 0
	v_mad_u64_u32 v[66:67], s[20:21], v67, v212, v[66:67]
	v_dot4c_i32_i8_e32 v68, v88, v12
	v_cvt_f32_i32_e32 v66, v66
	v_dot4c_i32_i8_e32 v68, v89, v13
	v_dot4c_i32_i8_e32 v68, v86, v14
	;; [unrolled: 1-line block ×4, first 2 shown]
	v_fma_f32 v70, v130, v66, 0
	s_nop 0
	v_mul_lo_u32 v66, v68, v214
	v_mad_u64_u32 v[66:67], s[20:21], v69, v213, v[66:67]
	v_cvt_f32_i32_e32 v66, v66
	v_mov_b32_e32 v67, 0
	v_dot4c_i32_i8_e32 v67, v92, v0
	v_dot4c_i32_i8_e32 v67, v93, v1
	v_fmac_f32_e32 v70, v131, v66
	v_mov_b32_e32 v66, 0
	v_dot4c_i32_i8_e32 v66, v96, v4
	v_dot4c_i32_i8_e32 v66, v97, v5
	;; [unrolled: 1-line block ×6, first 2 shown]
	v_mov_b32_e32 v68, 0
	v_mul_lo_u32 v66, v66, v215
	v_dot4c_i32_i8_e32 v68, v108, v12
	v_mad_u64_u32 v[66:67], s[20:21], v67, v216, v[66:67]
	v_mov_b32_e32 v69, 0
	v_cvt_f32_i32_e32 v66, v66
	v_dot4c_i32_i8_e32 v68, v109, v13
	v_dot4c_i32_i8_e32 v69, v120, v8
	;; [unrolled: 1-line block ×6, first 2 shown]
	v_fmac_f32_e32 v21, v204, v70
	v_dot4c_i32_i8_e32 v69, v117, v11
	v_fma_f32 v70, v130, v66, 0
	v_mul_lo_u32 v66, v68, v218
	s_nop 0
	v_mad_u64_u32 v[66:67], s[20:21], v69, v217, v[66:67]
	v_cvt_f32_i32_e32 v66, v66
	v_fmac_f32_e32 v70, v131, v66
	v_mov_b32_e32 v66, 0
	v_dot4c_i32_i8_e32 v66, v118, v12
	v_mov_b32_e32 v12, 0
	v_dot4c_i32_i8_e32 v12, v124, v8
	;; [unrolled: 2-line block ×3, first 2 shown]
	v_dot4c_i32_i8_e32 v8, v113, v5
	v_mov_b32_e32 v5, 0
	v_dot4c_i32_i8_e32 v5, v102, v0
	v_dot4c_i32_i8_e32 v8, v110, v6
	v_dot4c_i32_i8_e32 v5, v103, v1
	v_dot4c_i32_i8_e32 v8, v111, v7
	v_dot4c_i32_i8_e32 v5, v98, v2
	v_dot4c_i32_i8_e32 v5, v99, v3
	v_dot4c_i32_i8_e32 v66, v119, v13
	v_mul_lo_u32 v4, v8, v219
	v_dot4c_i32_i8_e32 v66, v114, v14
	v_mad_u64_u32 v[0:1], s[20:21], v5, v220, v[4:5]
	v_cvt_f32_i32_e32 v0, v0
	v_dot4c_i32_i8_e32 v12, v125, v9
	v_dot4c_i32_i8_e32 v66, v115, v15
	v_dot4c_i32_i8_e32 v12, v122, v10
	v_dot4c_i32_i8_e32 v12, v123, v11
	v_fma_f32 v2, v130, v0, 0
	v_mul_lo_u32 v0, v66, v222
	v_fmac_f32_e32 v19, v205, v70
	v_mad_u64_u32 v[0:1], s[20:21], v12, v221, v[0:1]
	v_cvt_f32_i32_e32 v0, v0
	v_fmac_f32_e32 v2, v131, v0
	v_fmac_f32_e32 v17, v206, v2
	s_cbranch_scc1 .LBB135_8
; %bb.9:                                ;   in Loop: Header=BB135_5 Depth=1
	s_add_i32 s14, s14, 1
	s_cmp_eq_u32 s14, s4
	s_barrier
	s_cbranch_scc0 .LBB135_5
; %bb.10:
	v_mov_b32_e32 v1, v61
.LBB135_11:
	v_cmp_gt_u32_e32 vcc, s8, v134
	s_and_saveexec_b64 s[0:1], vcc
	s_cbranch_execz .LBB135_62
; %bb.12:
	v_add_u32_e32 v0, s6, v57
	v_mul_lo_u32 v5, v134, s10
	v_cmp_gt_u32_e32 vcc, s10, v0
	s_and_saveexec_b64 s[2:3], vcc
	s_cbranch_execz .LBB135_14
; %bb.13:
	v_add_u32_e32 v2, v0, v5
	v_mov_b32_e32 v3, 0
	v_lshlrev_b64 v[2:3], 2, v[2:3]
	s_waitcnt lgkmcnt(0)
	v_mov_b32_e32 v4, s13
	v_add_co_u32_e64 v2, s[0:1], s12, v2
	v_addc_co_u32_e64 v3, s[0:1], v4, v3, s[0:1]
	global_store_dword v[2:3], v163, off
.LBB135_14:
	s_or_b64 exec, exec, s[2:3]
	v_add_u32_e32 v2, 32, v0
	v_cmp_gt_u32_e64 s[0:1], s10, v2
	s_and_saveexec_b64 s[4:5], s[0:1]
	s_cbranch_execz .LBB135_16
; %bb.15:
	v_add_u32_e32 v6, v2, v5
	v_mov_b32_e32 v7, 0
	v_lshlrev_b64 v[6:7], 2, v[6:7]
	s_waitcnt lgkmcnt(0)
	v_mov_b32_e32 v3, s13
	v_add_co_u32_e64 v6, s[2:3], s12, v6
	v_addc_co_u32_e64 v7, s[2:3], v3, v7, s[2:3]
	global_store_dword v[6:7], v161, off
.LBB135_16:
	s_or_b64 exec, exec, s[4:5]
	v_add_u32_e32 v3, 64, v0
	v_cmp_gt_u32_e64 s[2:3], s10, v3
	s_and_saveexec_b64 s[6:7], s[2:3]
	s_cbranch_execz .LBB135_18
; %bb.17:
	v_add_u32_e32 v6, v3, v5
	v_mov_b32_e32 v7, 0
	v_lshlrev_b64 v[6:7], 2, v[6:7]
	s_waitcnt lgkmcnt(0)
	v_mov_b32_e32 v4, s13
	v_add_co_u32_e64 v6, s[4:5], s12, v6
	v_addc_co_u32_e64 v7, s[4:5], v4, v7, s[4:5]
	global_store_dword v[6:7], v158, off
.LBB135_18:
	s_or_b64 exec, exec, s[6:7]
	v_add_u32_e32 v4, 0x60, v0
	v_cmp_gt_u32_e64 s[4:5], s10, v4
	s_and_saveexec_b64 s[14:15], s[4:5]
	s_cbranch_execz .LBB135_20
; %bb.19:
	v_add_u32_e32 v6, v4, v5
	v_mov_b32_e32 v7, 0
	v_lshlrev_b64 v[6:7], 2, v[6:7]
	s_waitcnt lgkmcnt(0)
	v_mov_b32_e32 v5, s13
	v_add_co_u32_e64 v6, s[6:7], s12, v6
	v_addc_co_u32_e64 v7, s[6:7], v5, v7, s[6:7]
	global_store_dword v[6:7], v149, off
.LBB135_20:
	s_or_b64 exec, exec, s[14:15]
	v_add3_u32 v5, v1, s11, 8
	v_cmp_gt_u32_e64 s[6:7], s8, v5
	s_and_b64 exec, exec, s[6:7]
	s_cbranch_execz .LBB135_62
; %bb.21:
	v_mul_lo_u32 v5, v5, s10
	s_and_saveexec_b64 s[14:15], vcc
	s_cbranch_execnz .LBB135_63
; %bb.22:
	s_or_b64 exec, exec, s[14:15]
	s_and_saveexec_b64 s[14:15], s[0:1]
	s_cbranch_execnz .LBB135_64
.LBB135_23:
	s_or_b64 exec, exec, s[14:15]
	s_and_saveexec_b64 s[14:15], s[2:3]
	s_cbranch_execnz .LBB135_65
.LBB135_24:
	s_or_b64 exec, exec, s[14:15]
	s_and_saveexec_b64 s[14:15], s[4:5]
	s_cbranch_execz .LBB135_26
.LBB135_25:
	v_add_u32_e32 v6, v5, v4
	v_mov_b32_e32 v7, 0
	v_lshlrev_b64 v[6:7], 2, v[6:7]
	s_waitcnt lgkmcnt(0)
	v_mov_b32_e32 v5, s13
	v_add_co_u32_e64 v6, s[6:7], s12, v6
	v_addc_co_u32_e64 v7, s[6:7], v5, v7, s[6:7]
	global_store_dword v[6:7], v135, off
.LBB135_26:
	s_or_b64 exec, exec, s[14:15]
	v_add3_u32 v5, v1, s11, 16
	v_cmp_gt_u32_e64 s[6:7], s8, v5
	s_and_b64 exec, exec, s[6:7]
	s_cbranch_execz .LBB135_62
; %bb.27:
	v_mul_lo_u32 v5, v5, s10
	s_and_saveexec_b64 s[14:15], vcc
	s_cbranch_execnz .LBB135_66
; %bb.28:
	s_or_b64 exec, exec, s[14:15]
	s_and_saveexec_b64 s[14:15], s[0:1]
	s_cbranch_execnz .LBB135_67
.LBB135_29:
	s_or_b64 exec, exec, s[14:15]
	s_and_saveexec_b64 s[14:15], s[2:3]
	s_cbranch_execnz .LBB135_68
.LBB135_30:
	s_or_b64 exec, exec, s[14:15]
	s_and_saveexec_b64 s[14:15], s[4:5]
	s_cbranch_execz .LBB135_32
.LBB135_31:
	v_add_u32_e32 v6, v5, v4
	v_mov_b32_e32 v7, 0
	v_lshlrev_b64 v[6:7], 2, v[6:7]
	s_waitcnt lgkmcnt(0)
	v_mov_b32_e32 v5, s13
	v_add_co_u32_e64 v6, s[6:7], s12, v6
	v_addc_co_u32_e64 v7, s[6:7], v5, v7, s[6:7]
	global_store_dword v[6:7], v59, off
.LBB135_32:
	s_or_b64 exec, exec, s[14:15]
	v_add3_u32 v5, v1, s11, 24
	v_cmp_gt_u32_e64 s[6:7], s8, v5
	s_and_b64 exec, exec, s[6:7]
	s_cbranch_execz .LBB135_62
; %bb.33:
	v_mul_lo_u32 v5, v5, s10
	s_and_saveexec_b64 s[14:15], vcc
	s_cbranch_execnz .LBB135_69
; %bb.34:
	s_or_b64 exec, exec, s[14:15]
	s_and_saveexec_b64 s[14:15], s[0:1]
	s_cbranch_execnz .LBB135_70
.LBB135_35:
	s_or_b64 exec, exec, s[14:15]
	s_and_saveexec_b64 s[14:15], s[2:3]
	s_cbranch_execnz .LBB135_71
.LBB135_36:
	s_or_b64 exec, exec, s[14:15]
	s_and_saveexec_b64 s[14:15], s[4:5]
	s_cbranch_execz .LBB135_38
.LBB135_37:
	v_add_u32_e32 v6, v5, v4
	v_mov_b32_e32 v7, 0
	v_lshlrev_b64 v[6:7], 2, v[6:7]
	s_waitcnt lgkmcnt(0)
	v_mov_b32_e32 v5, s13
	v_add_co_u32_e64 v6, s[6:7], s12, v6
	v_addc_co_u32_e64 v7, s[6:7], v5, v7, s[6:7]
	global_store_dword v[6:7], v49, off
.LBB135_38:
	s_or_b64 exec, exec, s[14:15]
	v_add3_u32 v5, v1, s11, 32
	v_cmp_gt_u32_e64 s[6:7], s8, v5
	s_and_b64 exec, exec, s[6:7]
	s_cbranch_execz .LBB135_62
; %bb.39:
	v_mul_lo_u32 v5, v5, s10
	s_and_saveexec_b64 s[14:15], vcc
	s_cbranch_execnz .LBB135_72
; %bb.40:
	s_or_b64 exec, exec, s[14:15]
	s_and_saveexec_b64 s[14:15], s[0:1]
	s_cbranch_execnz .LBB135_73
.LBB135_41:
	s_or_b64 exec, exec, s[14:15]
	s_and_saveexec_b64 s[14:15], s[2:3]
	s_cbranch_execnz .LBB135_74
.LBB135_42:
	s_or_b64 exec, exec, s[14:15]
	s_and_saveexec_b64 s[14:15], s[4:5]
	s_cbranch_execz .LBB135_44
.LBB135_43:
	v_add_u32_e32 v6, v5, v4
	v_mov_b32_e32 v7, 0
	v_lshlrev_b64 v[6:7], 2, v[6:7]
	s_waitcnt lgkmcnt(0)
	v_mov_b32_e32 v5, s13
	v_add_co_u32_e64 v6, s[6:7], s12, v6
	v_addc_co_u32_e64 v7, s[6:7], v5, v7, s[6:7]
	global_store_dword v[6:7], v41, off
.LBB135_44:
	s_or_b64 exec, exec, s[14:15]
	v_add3_u32 v5, v1, s11, 40
	v_cmp_gt_u32_e64 s[6:7], s8, v5
	s_and_b64 exec, exec, s[6:7]
	s_cbranch_execz .LBB135_62
; %bb.45:
	v_mul_lo_u32 v5, v5, s10
	s_and_saveexec_b64 s[14:15], vcc
	s_cbranch_execnz .LBB135_75
; %bb.46:
	s_or_b64 exec, exec, s[14:15]
	s_and_saveexec_b64 s[14:15], s[0:1]
	s_cbranch_execnz .LBB135_76
.LBB135_47:
	s_or_b64 exec, exec, s[14:15]
	s_and_saveexec_b64 s[14:15], s[2:3]
	s_cbranch_execnz .LBB135_77
.LBB135_48:
	s_or_b64 exec, exec, s[14:15]
	s_and_saveexec_b64 s[14:15], s[4:5]
	s_cbranch_execz .LBB135_50
.LBB135_49:
	v_add_u32_e32 v6, v5, v4
	v_mov_b32_e32 v7, 0
	v_lshlrev_b64 v[6:7], 2, v[6:7]
	s_waitcnt lgkmcnt(0)
	v_mov_b32_e32 v5, s13
	v_add_co_u32_e64 v6, s[6:7], s12, v6
	v_addc_co_u32_e64 v7, s[6:7], v5, v7, s[6:7]
	global_store_dword v[6:7], v33, off
.LBB135_50:
	s_or_b64 exec, exec, s[14:15]
	v_add3_u32 v5, v1, s11, 48
	v_cmp_gt_u32_e64 s[6:7], s8, v5
	s_and_b64 exec, exec, s[6:7]
	s_cbranch_execz .LBB135_62
; %bb.51:
	v_mul_lo_u32 v5, v5, s10
	s_and_saveexec_b64 s[14:15], vcc
	s_cbranch_execnz .LBB135_78
; %bb.52:
	s_or_b64 exec, exec, s[14:15]
	s_and_saveexec_b64 s[14:15], s[0:1]
	s_cbranch_execnz .LBB135_79
.LBB135_53:
	s_or_b64 exec, exec, s[14:15]
	s_and_saveexec_b64 s[14:15], s[2:3]
	s_cbranch_execnz .LBB135_80
.LBB135_54:
	s_or_b64 exec, exec, s[14:15]
	s_and_saveexec_b64 s[14:15], s[4:5]
	s_cbranch_execz .LBB135_56
.LBB135_55:
	v_add_u32_e32 v6, v5, v4
	v_mov_b32_e32 v7, 0
	v_lshlrev_b64 v[6:7], 2, v[6:7]
	s_waitcnt lgkmcnt(0)
	v_mov_b32_e32 v5, s13
	v_add_co_u32_e64 v6, s[6:7], s12, v6
	v_addc_co_u32_e64 v7, s[6:7], v5, v7, s[6:7]
	global_store_dword v[6:7], v25, off
.LBB135_56:
	s_or_b64 exec, exec, s[14:15]
	v_add3_u32 v1, v1, s11, 56
	v_cmp_gt_u32_e64 s[6:7], s8, v1
	s_and_b64 exec, exec, s[6:7]
	s_cbranch_execz .LBB135_62
; %bb.57:
	v_mul_lo_u32 v1, v1, s10
	s_and_saveexec_b64 s[6:7], vcc
	s_cbranch_execnz .LBB135_81
; %bb.58:
	s_or_b64 exec, exec, s[6:7]
	s_and_saveexec_b64 s[6:7], s[0:1]
	s_cbranch_execnz .LBB135_82
.LBB135_59:
	s_or_b64 exec, exec, s[6:7]
	s_and_saveexec_b64 s[0:1], s[2:3]
	s_cbranch_execnz .LBB135_83
.LBB135_60:
	s_or_b64 exec, exec, s[0:1]
	s_and_b64 exec, exec, s[4:5]
	s_cbranch_execz .LBB135_62
.LBB135_61:
	v_add_u32_e32 v0, v1, v4
	v_mov_b32_e32 v1, 0
	v_lshlrev_b64 v[0:1], 2, v[0:1]
	s_waitcnt lgkmcnt(0)
	v_mov_b32_e32 v2, s13
	v_add_co_u32_e32 v0, vcc, s12, v0
	v_addc_co_u32_e32 v1, vcc, v2, v1, vcc
	global_store_dword v[0:1], v17, off
.LBB135_62:
	s_endpgm
.LBB135_63:
	v_add_u32_e32 v6, v5, v0
	v_mov_b32_e32 v7, 0
	v_lshlrev_b64 v[6:7], 2, v[6:7]
	s_waitcnt lgkmcnt(0)
	v_mov_b32_e32 v8, s13
	v_add_co_u32_e64 v6, s[6:7], s12, v6
	v_addc_co_u32_e64 v7, s[6:7], v8, v7, s[6:7]
	global_store_dword v[6:7], v139, off
	s_or_b64 exec, exec, s[14:15]
	s_and_saveexec_b64 s[14:15], s[0:1]
	s_cbranch_execz .LBB135_23
.LBB135_64:
	v_add_u32_e32 v6, v5, v2
	v_mov_b32_e32 v7, 0
	v_lshlrev_b64 v[6:7], 2, v[6:7]
	s_waitcnt lgkmcnt(0)
	v_mov_b32_e32 v8, s13
	v_add_co_u32_e64 v6, s[6:7], s12, v6
	v_addc_co_u32_e64 v7, s[6:7], v8, v7, s[6:7]
	global_store_dword v[6:7], v137, off
	s_or_b64 exec, exec, s[14:15]
	s_and_saveexec_b64 s[14:15], s[2:3]
	s_cbranch_execz .LBB135_24
.LBB135_65:
	v_add_u32_e32 v6, v5, v3
	v_mov_b32_e32 v7, 0
	v_lshlrev_b64 v[6:7], 2, v[6:7]
	s_waitcnt lgkmcnt(0)
	v_mov_b32_e32 v8, s13
	v_add_co_u32_e64 v6, s[6:7], s12, v6
	v_addc_co_u32_e64 v7, s[6:7], v8, v7, s[6:7]
	global_store_dword v[6:7], v136, off
	s_or_b64 exec, exec, s[14:15]
	s_and_saveexec_b64 s[14:15], s[4:5]
	s_cbranch_execnz .LBB135_25
	s_branch .LBB135_26
.LBB135_66:
	v_add_u32_e32 v6, v5, v0
	v_mov_b32_e32 v7, 0
	v_lshlrev_b64 v[6:7], 2, v[6:7]
	s_waitcnt lgkmcnt(0)
	v_mov_b32_e32 v8, s13
	v_add_co_u32_e64 v6, s[6:7], s12, v6
	v_addc_co_u32_e64 v7, s[6:7], v8, v7, s[6:7]
	global_store_dword v[6:7], v133, off
	s_or_b64 exec, exec, s[14:15]
	s_and_saveexec_b64 s[14:15], s[0:1]
	s_cbranch_execz .LBB135_29
.LBB135_67:
	v_add_u32_e32 v6, v5, v2
	v_mov_b32_e32 v7, 0
	v_lshlrev_b64 v[6:7], 2, v[6:7]
	s_waitcnt lgkmcnt(0)
	v_mov_b32_e32 v8, s13
	v_add_co_u32_e64 v6, s[6:7], s12, v6
	v_addc_co_u32_e64 v7, s[6:7], v8, v7, s[6:7]
	global_store_dword v[6:7], v132, off
	s_or_b64 exec, exec, s[14:15]
	s_and_saveexec_b64 s[14:15], s[2:3]
	s_cbranch_execz .LBB135_30
.LBB135_68:
	v_add_u32_e32 v6, v5, v3
	v_mov_b32_e32 v7, 0
	v_lshlrev_b64 v[6:7], 2, v[6:7]
	s_waitcnt lgkmcnt(0)
	v_mov_b32_e32 v8, s13
	v_add_co_u32_e64 v6, s[6:7], s12, v6
	v_addc_co_u32_e64 v7, s[6:7], v8, v7, s[6:7]
	global_store_dword v[6:7], v65, off
	s_or_b64 exec, exec, s[14:15]
	s_and_saveexec_b64 s[14:15], s[4:5]
	s_cbranch_execnz .LBB135_31
	s_branch .LBB135_32
.LBB135_69:
	v_add_u32_e32 v6, v5, v0
	v_mov_b32_e32 v7, 0
	v_lshlrev_b64 v[6:7], 2, v[6:7]
	s_waitcnt lgkmcnt(0)
	v_mov_b32_e32 v8, s13
	v_add_co_u32_e64 v6, s[6:7], s12, v6
	v_addc_co_u32_e64 v7, s[6:7], v8, v7, s[6:7]
	global_store_dword v[6:7], v55, off
	s_or_b64 exec, exec, s[14:15]
	s_and_saveexec_b64 s[14:15], s[0:1]
	s_cbranch_execz .LBB135_35
.LBB135_70:
	v_add_u32_e32 v6, v5, v2
	v_mov_b32_e32 v7, 0
	v_lshlrev_b64 v[6:7], 2, v[6:7]
	s_waitcnt lgkmcnt(0)
	v_mov_b32_e32 v8, s13
	v_add_co_u32_e64 v6, s[6:7], s12, v6
	v_addc_co_u32_e64 v7, s[6:7], v8, v7, s[6:7]
	global_store_dword v[6:7], v53, off
	s_or_b64 exec, exec, s[14:15]
	s_and_saveexec_b64 s[14:15], s[2:3]
	s_cbranch_execz .LBB135_36
.LBB135_71:
	v_add_u32_e32 v6, v5, v3
	v_mov_b32_e32 v7, 0
	v_lshlrev_b64 v[6:7], 2, v[6:7]
	s_waitcnt lgkmcnt(0)
	v_mov_b32_e32 v8, s13
	v_add_co_u32_e64 v6, s[6:7], s12, v6
	v_addc_co_u32_e64 v7, s[6:7], v8, v7, s[6:7]
	global_store_dword v[6:7], v51, off
	s_or_b64 exec, exec, s[14:15]
	s_and_saveexec_b64 s[14:15], s[4:5]
	s_cbranch_execnz .LBB135_37
	s_branch .LBB135_38
.LBB135_72:
	v_add_u32_e32 v6, v5, v0
	v_mov_b32_e32 v7, 0
	v_lshlrev_b64 v[6:7], 2, v[6:7]
	s_waitcnt lgkmcnt(0)
	v_mov_b32_e32 v8, s13
	v_add_co_u32_e64 v6, s[6:7], s12, v6
	v_addc_co_u32_e64 v7, s[6:7], v8, v7, s[6:7]
	global_store_dword v[6:7], v47, off
	s_or_b64 exec, exec, s[14:15]
	s_and_saveexec_b64 s[14:15], s[0:1]
	s_cbranch_execz .LBB135_41
.LBB135_73:
	v_add_u32_e32 v6, v5, v2
	v_mov_b32_e32 v7, 0
	v_lshlrev_b64 v[6:7], 2, v[6:7]
	s_waitcnt lgkmcnt(0)
	v_mov_b32_e32 v8, s13
	v_add_co_u32_e64 v6, s[6:7], s12, v6
	v_addc_co_u32_e64 v7, s[6:7], v8, v7, s[6:7]
	global_store_dword v[6:7], v45, off
	s_or_b64 exec, exec, s[14:15]
	s_and_saveexec_b64 s[14:15], s[2:3]
	s_cbranch_execz .LBB135_42
.LBB135_74:
	v_add_u32_e32 v6, v5, v3
	v_mov_b32_e32 v7, 0
	v_lshlrev_b64 v[6:7], 2, v[6:7]
	s_waitcnt lgkmcnt(0)
	v_mov_b32_e32 v8, s13
	v_add_co_u32_e64 v6, s[6:7], s12, v6
	v_addc_co_u32_e64 v7, s[6:7], v8, v7, s[6:7]
	global_store_dword v[6:7], v43, off
	s_or_b64 exec, exec, s[14:15]
	s_and_saveexec_b64 s[14:15], s[4:5]
	s_cbranch_execnz .LBB135_43
	s_branch .LBB135_44
.LBB135_75:
	v_add_u32_e32 v6, v5, v0
	v_mov_b32_e32 v7, 0
	v_lshlrev_b64 v[6:7], 2, v[6:7]
	s_waitcnt lgkmcnt(0)
	v_mov_b32_e32 v8, s13
	v_add_co_u32_e64 v6, s[6:7], s12, v6
	v_addc_co_u32_e64 v7, s[6:7], v8, v7, s[6:7]
	global_store_dword v[6:7], v39, off
	s_or_b64 exec, exec, s[14:15]
	s_and_saveexec_b64 s[14:15], s[0:1]
	s_cbranch_execz .LBB135_47
.LBB135_76:
	v_add_u32_e32 v6, v5, v2
	v_mov_b32_e32 v7, 0
	v_lshlrev_b64 v[6:7], 2, v[6:7]
	s_waitcnt lgkmcnt(0)
	v_mov_b32_e32 v8, s13
	v_add_co_u32_e64 v6, s[6:7], s12, v6
	v_addc_co_u32_e64 v7, s[6:7], v8, v7, s[6:7]
	global_store_dword v[6:7], v37, off
	s_or_b64 exec, exec, s[14:15]
	s_and_saveexec_b64 s[14:15], s[2:3]
	s_cbranch_execz .LBB135_48
.LBB135_77:
	v_add_u32_e32 v6, v5, v3
	v_mov_b32_e32 v7, 0
	v_lshlrev_b64 v[6:7], 2, v[6:7]
	s_waitcnt lgkmcnt(0)
	v_mov_b32_e32 v8, s13
	v_add_co_u32_e64 v6, s[6:7], s12, v6
	v_addc_co_u32_e64 v7, s[6:7], v8, v7, s[6:7]
	global_store_dword v[6:7], v35, off
	s_or_b64 exec, exec, s[14:15]
	s_and_saveexec_b64 s[14:15], s[4:5]
	s_cbranch_execnz .LBB135_49
	s_branch .LBB135_50
.LBB135_78:
	v_add_u32_e32 v6, v5, v0
	v_mov_b32_e32 v7, 0
	v_lshlrev_b64 v[6:7], 2, v[6:7]
	s_waitcnt lgkmcnt(0)
	v_mov_b32_e32 v8, s13
	v_add_co_u32_e64 v6, s[6:7], s12, v6
	v_addc_co_u32_e64 v7, s[6:7], v8, v7, s[6:7]
	global_store_dword v[6:7], v31, off
	s_or_b64 exec, exec, s[14:15]
	s_and_saveexec_b64 s[14:15], s[0:1]
	s_cbranch_execz .LBB135_53
.LBB135_79:
	v_add_u32_e32 v6, v5, v2
	v_mov_b32_e32 v7, 0
	v_lshlrev_b64 v[6:7], 2, v[6:7]
	s_waitcnt lgkmcnt(0)
	v_mov_b32_e32 v8, s13
	v_add_co_u32_e64 v6, s[6:7], s12, v6
	v_addc_co_u32_e64 v7, s[6:7], v8, v7, s[6:7]
	global_store_dword v[6:7], v29, off
	s_or_b64 exec, exec, s[14:15]
	s_and_saveexec_b64 s[14:15], s[2:3]
	s_cbranch_execz .LBB135_54
.LBB135_80:
	v_add_u32_e32 v6, v5, v3
	v_mov_b32_e32 v7, 0
	v_lshlrev_b64 v[6:7], 2, v[6:7]
	s_waitcnt lgkmcnt(0)
	v_mov_b32_e32 v8, s13
	v_add_co_u32_e64 v6, s[6:7], s12, v6
	v_addc_co_u32_e64 v7, s[6:7], v8, v7, s[6:7]
	global_store_dword v[6:7], v27, off
	s_or_b64 exec, exec, s[14:15]
	s_and_saveexec_b64 s[14:15], s[4:5]
	s_cbranch_execnz .LBB135_55
	s_branch .LBB135_56
.LBB135_81:
	v_add_u32_e32 v6, v1, v0
	v_mov_b32_e32 v7, 0
	v_lshlrev_b64 v[6:7], 2, v[6:7]
	s_waitcnt lgkmcnt(0)
	v_mov_b32_e32 v0, s13
	v_add_co_u32_e32 v6, vcc, s12, v6
	v_addc_co_u32_e32 v7, vcc, v0, v7, vcc
	global_store_dword v[6:7], v23, off
	s_or_b64 exec, exec, s[6:7]
	s_and_saveexec_b64 s[6:7], s[0:1]
	s_cbranch_execz .LBB135_59
.LBB135_82:
	v_add_u32_e32 v6, v1, v2
	v_mov_b32_e32 v7, 0
	v_lshlrev_b64 v[6:7], 2, v[6:7]
	s_waitcnt lgkmcnt(0)
	v_mov_b32_e32 v0, s13
	v_add_co_u32_e32 v6, vcc, s12, v6
	v_addc_co_u32_e32 v7, vcc, v0, v7, vcc
	global_store_dword v[6:7], v21, off
	s_or_b64 exec, exec, s[6:7]
	s_and_saveexec_b64 s[0:1], s[2:3]
	s_cbranch_execz .LBB135_60
.LBB135_83:
	v_add_u32_e32 v2, v1, v3
	v_mov_b32_e32 v3, 0
	v_lshlrev_b64 v[2:3], 2, v[2:3]
	s_waitcnt lgkmcnt(0)
	v_mov_b32_e32 v0, s13
	v_add_co_u32_e32 v2, vcc, s12, v2
	v_addc_co_u32_e32 v3, vcc, v0, v3, vcc
	global_store_dword v[2:3], v19, off
	s_or_b64 exec, exec, s[0:1]
	s_and_b64 exec, exec, s[4:5]
	s_cbranch_execnz .LBB135_61
	s_branch .LBB135_62
	.section	.rodata,"a",@progbits
	.p2align	6, 0x0
	.amdhsa_kernel _ZL12mul_mat_q6_KIfLb0EEvPKvS1_PT_iiiii
		.amdhsa_group_segment_fixed_size 45136
		.amdhsa_private_segment_fixed_size 0
		.amdhsa_kernarg_size 44
		.amdhsa_user_sgpr_count 6
		.amdhsa_user_sgpr_private_segment_buffer 1
		.amdhsa_user_sgpr_dispatch_ptr 0
		.amdhsa_user_sgpr_queue_ptr 0
		.amdhsa_user_sgpr_kernarg_segment_ptr 1
		.amdhsa_user_sgpr_dispatch_id 0
		.amdhsa_user_sgpr_flat_scratch_init 0
		.amdhsa_user_sgpr_kernarg_preload_length 0
		.amdhsa_user_sgpr_kernarg_preload_offset 0
		.amdhsa_user_sgpr_private_segment_size 0
		.amdhsa_uses_dynamic_stack 0
		.amdhsa_system_sgpr_private_segment_wavefront_offset 0
		.amdhsa_system_sgpr_workgroup_id_x 1
		.amdhsa_system_sgpr_workgroup_id_y 1
		.amdhsa_system_sgpr_workgroup_id_z 0
		.amdhsa_system_sgpr_workgroup_info 0
		.amdhsa_system_vgpr_workitem_id 1
		.amdhsa_next_free_vgpr 229
		.amdhsa_next_free_sgpr 26
		.amdhsa_accum_offset 232
		.amdhsa_reserve_vcc 1
		.amdhsa_reserve_flat_scratch 0
		.amdhsa_float_round_mode_32 0
		.amdhsa_float_round_mode_16_64 0
		.amdhsa_float_denorm_mode_32 3
		.amdhsa_float_denorm_mode_16_64 3
		.amdhsa_dx10_clamp 1
		.amdhsa_ieee_mode 1
		.amdhsa_fp16_overflow 0
		.amdhsa_tg_split 0
		.amdhsa_exception_fp_ieee_invalid_op 0
		.amdhsa_exception_fp_denorm_src 0
		.amdhsa_exception_fp_ieee_div_zero 0
		.amdhsa_exception_fp_ieee_overflow 0
		.amdhsa_exception_fp_ieee_underflow 0
		.amdhsa_exception_fp_ieee_inexact 0
		.amdhsa_exception_int_div_zero 0
	.end_amdhsa_kernel
	.section	.text._ZL12mul_mat_q6_KIfLb0EEvPKvS1_PT_iiiii,"axG",@progbits,_ZL12mul_mat_q6_KIfLb0EEvPKvS1_PT_iiiii,comdat
.Lfunc_end135:
	.size	_ZL12mul_mat_q6_KIfLb0EEvPKvS1_PT_iiiii, .Lfunc_end135-_ZL12mul_mat_q6_KIfLb0EEvPKvS1_PT_iiiii
                                        ; -- End function
	.section	.AMDGPU.csdata,"",@progbits
; Kernel info:
; codeLenInByte = 19924
; NumSgprs: 30
; NumVgprs: 229
; NumAgprs: 0
; TotalNumVgprs: 229
; ScratchSize: 0
; MemoryBound: 0
; FloatMode: 240
; IeeeMode: 1
; LDSByteSize: 45136 bytes/workgroup (compile time only)
; SGPRBlocks: 3
; VGPRBlocks: 28
; NumSGPRsForWavesPerEU: 30
; NumVGPRsForWavesPerEU: 229
; AccumOffset: 232
; Occupancy: 1
; WaveLimiterHint : 0
; COMPUTE_PGM_RSRC2:SCRATCH_EN: 0
; COMPUTE_PGM_RSRC2:USER_SGPR: 6
; COMPUTE_PGM_RSRC2:TRAP_HANDLER: 0
; COMPUTE_PGM_RSRC2:TGID_X_EN: 1
; COMPUTE_PGM_RSRC2:TGID_Y_EN: 1
; COMPUTE_PGM_RSRC2:TGID_Z_EN: 0
; COMPUTE_PGM_RSRC2:TIDIG_COMP_CNT: 1
; COMPUTE_PGM_RSRC3_GFX90A:ACCUM_OFFSET: 57
; COMPUTE_PGM_RSRC3_GFX90A:TG_SPLIT: 0
	.section	.text._ZL12mul_mat_q6_KIfLb1EEvPKvS1_PT_iiiii,"axG",@progbits,_ZL12mul_mat_q6_KIfLb1EEvPKvS1_PT_iiiii,comdat
	.globl	_ZL12mul_mat_q6_KIfLb1EEvPKvS1_PT_iiiii ; -- Begin function _ZL12mul_mat_q6_KIfLb1EEvPKvS1_PT_iiiii
	.p2align	8
	.type	_ZL12mul_mat_q6_KIfLb1EEvPKvS1_PT_iiiii,@function
_ZL12mul_mat_q6_KIfLb1EEvPKvS1_PT_iiiii: ; @_ZL12mul_mat_q6_KIfLb1EEvPKvS1_PT_iiiii
; %bb.0:
	s_load_dwordx4 s[8:11], s[4:5], 0x18
	s_load_dword s14, s[4:5], 0x28
	s_lshl_b32 s15, s7, 6
	v_bfe_u32 v59, v0, 10, 10
	s_waitcnt lgkmcnt(0)
	s_cmpk_gt_i32 s8, 0xff
	s_cbranch_scc1 .LBB136_2
; %bb.1:
	v_bfe_u32 v1, v0, 10, 10
	v_and_b32_e32 v55, 0x3ff, v0
	v_add_u32_e32 v69, s15, v1
	s_mov_b64 s[0:1], 0
	s_mov_b32 s2, 0
	s_branch .LBB136_3
.LBB136_2:
	s_mov_b64 s[0:1], -1
                                        ; implicit-def: $sgpr2
                                        ; implicit-def: $vgpr1
                                        ; implicit-def: $vgpr55
                                        ; implicit-def: $vgpr69
.LBB136_3:
	s_load_dwordx2 s[12:13], s[4:5], 0x10
	s_lshl_b32 s6, s6, 7
	s_andn2_b64 vcc, exec, s[0:1]
	v_mov_b32_e32 v17, s2
	v_mov_b32_e32 v25, s2
	;; [unrolled: 1-line block ×32, first 2 shown]
	s_cbranch_vccnz .LBB136_11
; %bb.4:
	v_and_b32_e32 v55, 0x3ff, v0
	s_load_dwordx4 s[0:3], s[4:5], 0x0
	s_ashr_i32 s4, s8, 31
	v_and_b32_e32 v4, 31, v55
	s_lshr_b32 s4, s4, 24
	v_and_b32_e32 v0, 7, v55
	v_cmp_lt_u32_e32 vcc, 15, v4
	s_add_i32 s4, s8, s4
	s_ashr_i32 s5, s11, 31
	v_lshlrev_b32_e32 v0, 2, v0
	v_cndmask_b32_e64 v1, 0, 1, vcc
	s_ashr_i32 s4, s4, 8
	s_lshr_b32 s5, s5, 27
	v_lshl_or_b32 v20, v1, 5, v0
	v_add_u16_e32 v0, -16, v4
	v_cmp_gt_u32_e32 vcc, 16, v4
	s_add_i32 s5, s11, s5
	s_mul_i32 s7, s4, s6
	v_cndmask_b32_e32 v0, v0, v4, vcc
	s_ashr_i32 s11, s5, 5
	s_mul_hi_i32 s8, s7, 0xd2
	s_mulk_i32 s7, 0xd2
	v_cmp_lt_u16_e32 vcc, 7, v0
	s_waitcnt lgkmcnt(0)
	s_add_u32 s7, s0, s7
	v_cndmask_b32_e64 v0, 0, 1, vcc
	s_addc_u32 s8, s1, s8
	s_not_b32 s0, s6
	v_lshlrev_b32_e32 v75, 1, v0
	v_and_b32_e32 v0, 15, v55
	s_add_i32 s1, s0, s9
	v_lshlrev_b32_e32 v0, 2, v0
	v_min_i32_e32 v2, s1, v59
	v_lshl_or_b32 v0, v1, 7, v0
	s_movk_i32 s0, 0x104
	v_add_u32_e32 v5, 8, v59
	v_mad_u64_u32 v[24:25], s[16:17], v2, s0, v[0:1]
	v_min_i32_e32 v1, s1, v5
	v_add_u32_e32 v6, 16, v59
	v_mul_lo_u32 v26, v1, s4
	v_mad_u64_u32 v[28:29], s[16:17], v1, s0, v[0:1]
	v_min_i32_e32 v1, s1, v6
	v_add_u32_e32 v7, 24, v59
	v_mul_lo_u32 v30, v1, s4
	;; [unrolled: 4-line block ×6, first 2 shown]
	v_mad_u64_u32 v[48:49], s[16:17], v1, s0, v[0:1]
	v_min_i32_e32 v1, s1, v11
	v_mul_lo_u32 v50, v1, s4
	v_mad_u64_u32 v[52:53], s[16:17], v1, s0, v[0:1]
	v_add_u32_e32 v1, 64, v59
	v_min_i32_e32 v1, s1, v1
	v_mul_lo_u32 v54, v1, s4
	v_mad_u64_u32 v[56:57], s[16:17], v1, s0, v[0:1]
	v_add_u32_e32 v1, 0x48, v59
	;; [unrolled: 4-line block ×8, first 2 shown]
	v_min_i32_e32 v1, s1, v1
	v_lshlrev_b32_e32 v83, 5, v59
	v_mad_u64_u32 v[84:85], s[16:17], v1, s0, v[0:1]
	v_add_u32_e32 v0, v83, v55
	v_and_b32_e32 v0, 0x7f, v0
	v_min_i32_e32 v0, s1, v0
	v_mul_lo_u32 v82, v1, s4
	v_ashrrev_i32_e32 v1, 31, v0
	v_lshrrev_b32_e32 v1, 27, v1
	v_add_u32_e32 v1, v0, v1
	v_ashrrev_i32_e32 v1, 5, v1
	v_mul_lo_u32 v86, v0, s4
	v_lshlrev_b32_e32 v1, 2, v1
	v_lshlrev_b32_e32 v0, 2, v0
	s_mov_b32 s18, 0xae40
	v_add3_u32 v85, v1, v0, s18
	v_lshrrev_b32_e32 v0, 2, v55
	v_lshl_add_u32 v1, v59, 3, v0
	v_mul_lo_u32 v22, v2, s4
	v_and_b32_e32 v2, 0x7f, v1
	v_min_i32_e32 v3, s1, v2
	v_ashrrev_i32_e32 v12, 31, v3
	v_xor_b32_e32 v2, 64, v2
	v_lshrrev_b32_e32 v12, 29, v12
	v_min_i32_e32 v2, s1, v2
	v_mul_lo_u32 v90, v3, s4
	v_add_u32_e32 v12, v3, v12
	v_lshlrev_b32_e32 v13, 4, v3
	v_ashrrev_i32_e32 v3, 31, v2
	v_lshlrev_b32_e32 v17, 2, v55
	v_lshrrev_b32_e32 v3, 29, v3
	v_and_b32_e32 v19, 28, v17
	v_and_b32_e32 v1, 63, v1
	;; [unrolled: 1-line block ×3, first 2 shown]
	v_add_u32_e32 v3, v2, v3
	s_add_i32 s1, s10, -1
	v_add_co_u32_e32 v94, vcc, s2, v19
	v_or_b32_e32 v19, s15, v1
	v_lshlrev_b32_e32 v88, 2, v0
	v_ashrrev_i32_e32 v3, 3, v3
	v_min_i32_e32 v19, s1, v19
	s_mov_b32 s19, 0xa200
	v_lshlrev_b32_e32 v3, 2, v3
	v_add_u32_e32 v69, s15, v59
	v_mad_u64_u32 v[96:97], s[16:17], v19, s11, v[0:1]
	v_lshl_or_b32 v0, v1, 4, v88
	v_mul_lo_u32 v92, v2, s4
	v_add3_u32 v14, v3, v88, s19
	v_lshlrev_b32_e32 v15, 4, v2
	v_cvt_f64_i32_e32 v[2:3], s1
	v_add_u32_e32 v93, 0xaa40, v0
	v_cvt_f64_u32_e32 v[0:1], v69
	v_min_f64 v[0:1], v[0:1], v[2:3]
	v_cvt_i32_f64_e32 v0, v[0:1]
	v_mul_lo_u32 v164, s11, v0
	v_or_b32_e32 v0, v83, v4
	v_mov_b32_e32 v19, 0x8200
	v_lshl_add_u32 v165, v0, 2, v19
	v_add_u32_e32 v0, 8, v69
	v_cvt_f64_u32_e32 v[0:1], v0
	v_min_f64 v[0:1], v[0:1], v[2:3]
	v_cvt_i32_f64_e32 v0, v[0:1]
	v_lshlrev_b32_e32 v167, 5, v5
	v_mul_lo_u32 v166, s11, v0
	v_or_b32_e32 v0, v167, v4
	v_lshl_add_u32 v168, v0, 2, v19
	v_add_u32_e32 v0, 16, v69
	v_cvt_f64_u32_e32 v[0:1], v0
	v_min_f64 v[0:1], v[0:1], v[2:3]
	v_cvt_i32_f64_e32 v0, v[0:1]
	v_lshlrev_b32_e32 v170, 5, v6
	v_mul_lo_u32 v169, s11, v0
	v_or_b32_e32 v0, v170, v4
	;; [unrolled: 8-line block ×6, first 2 shown]
	v_lshl_add_u32 v183, v0, 2, v19
	v_add_u32_e32 v0, 56, v69
	v_cvt_f64_u32_e32 v[0:1], v0
	v_min_f64 v[0:1], v[0:1], v[2:3]
	v_cvt_i32_f64_e32 v0, v[0:1]
	v_lshlrev_b32_e32 v185, 5, v11
	v_lshrrev_b32_e32 v16, 5, v55
	v_mul_lo_u32 v184, s11, v0
	v_or_b32_e32 v0, v185, v4
	v_lshl_add_u32 v186, v0, 2, v19
	v_lshlrev_b32_e32 v0, 2, v16
	v_add3_u32 v187, v0, v17, s18
	v_add_u32_e32 v0, 32, v55
	v_lshrrev_b32_e32 v188, 3, v0
	v_and_b32_e32 v1, 60, v188
	v_add3_u32 v189, v17, v1, s18
	v_add_u32_e32 v1, 64, v55
	v_lshrrev_b32_e32 v2, 3, v1
	v_and_b32_e32 v2, 60, v2
	v_add3_u32 v190, v17, v2, s18
	v_add_u32_e32 v2, 0x60, v55
	v_lshrrev_b32_e32 v3, 3, v2
	v_lshrrev_b32_e32 v97, 3, v55
	v_and_b32_e32 v3, 60, v3
	v_lshlrev_b32_e32 v18, 2, v4
	v_add3_u32 v191, v17, v3, s18
	v_lshlrev_b32_e32 v3, 2, v97
	v_lshlrev_b32_e32 v4, 4, v55
	v_add3_u32 v192, v4, v3, s19
	v_lshlrev_b32_e32 v3, 2, v188
	v_lshlrev_b32_e32 v0, 4, v0
	v_add3_u32 v194, v3, v0, s19
	v_mov_b32_e32 v0, 0x2080
	v_mad_u32_u24 v195, v55, s0, v0
	v_lshrrev_b32_e32 v0, 1, v1
	v_and_b32_e32 v0, 0xfc, v0
	v_lshlrev_b32_e32 v1, 4, v1
	v_add3_u32 v196, v1, v0, s19
	v_mov_b32_e32 v0, 0x4100
	v_ashrrev_i32_e32 v12, 3, v12
	v_mad_u32_u24 v197, v55, s0, v0
	v_lshrrev_b32_e32 v0, 1, v2
	v_lshlrev_b32_e32 v12, 2, v12
	v_and_b32_e32 v0, 0xfc, v0
	v_lshlrev_b32_e32 v1, 4, v2
	v_add3_u32 v12, v12, v88, s19
	v_mov_b32_e32 v21, s3
	v_add3_u32 v198, v1, v0, s19
	v_mov_b32_e32 v0, 0x6180
	s_movk_i32 s5, 0xd2
	s_mov_b32 s9, 0
	v_addc_co_u32_e32 v95, vcc, 0, v21, vcc
	v_mul_u32_u24_e32 v193, 0x104, v55
	v_mad_u32_u24 v199, v55, s0, v0
	s_mov_b32 s11, 0xf0f0f0f
	s_mov_b32 s16, 0x30303030
	s_movk_i32 s17, 0x3f00
	s_movk_i32 s18, 0xe000
	v_add_u32_e32 v200, v12, v13
	v_add_u32_e32 v201, v14, v15
	v_mov_b32_e32 v202, 8
	v_mov_b32_e32 v91, 0
	;; [unrolled: 1-line block ×33, first 2 shown]
.LBB136_5:                              ; =>This Loop Header: Depth=1
                                        ;     Child Loop BB136_6 Depth 2
                                        ;     Child Loop BB136_8 Depth 2
	s_mul_i32 s0, s9, 0xd2
	s_mul_hi_u32 s1, s9, 0xd2
	s_add_u32 s0, s7, s0
	s_addc_u32 s1, s8, s1
	v_pk_mov_b32 v[0:1], s[0:1], s[0:1] op_sel:[0,1]
	v_mad_u64_u32 v[2:3], s[20:21], v16, s5, v[0:1]
	v_mad_i64_i32 v[4:5], s[20:21], v22, s5, v[2:3]
	v_add_co_u32_e32 v6, vcc, v4, v18
	v_addc_co_u32_e32 v7, vcc, 0, v5, vcc
	v_add_co_u32_e32 v4, vcc, v4, v20
	v_addc_co_u32_e32 v5, vcc, 0, v5, vcc
	v_mad_i64_i32 v[8:9], s[20:21], v26, s5, v[2:3]
	v_add_co_u32_e32 v10, vcc, v8, v18
	v_addc_co_u32_e32 v11, vcc, 0, v9, vcc
	global_load_dword v12, v[6:7], off
	global_load_dword v13, v[4:5], off offset:128
	s_nop 0
	global_load_dword v10, v[10:11], off
	v_add_co_u32_e32 v4, vcc, v8, v20
	v_addc_co_u32_e32 v5, vcc, 0, v9, vcc
	global_load_dword v8, v[4:5], off offset:128
	v_mad_i64_i32 v[4:5], s[20:21], v30, s5, v[2:3]
	v_add_co_u32_e32 v6, vcc, v4, v18
	v_addc_co_u32_e32 v7, vcc, 0, v5, vcc
	v_add_co_u32_e32 v4, vcc, v4, v20
	v_addc_co_u32_e32 v5, vcc, 0, v5, vcc
	global_load_dword v9, v[6:7], off
	global_load_dword v11, v[4:5], off offset:128
	v_mad_i64_i32 v[4:5], s[20:21], v34, s5, v[2:3]
	v_add_co_u32_e32 v6, vcc, v4, v18
	v_addc_co_u32_e32 v7, vcc, 0, v5, vcc
	v_add_co_u32_e32 v4, vcc, v4, v20
	v_addc_co_u32_e32 v5, vcc, 0, v5, vcc
	global_load_dword v14, v[6:7], off
	global_load_dword v15, v[4:5], off offset:128
	s_lshl_b32 s19, s9, 3
	v_mad_i64_i32 v[0:1], s[20:21], v86, s5, v[0:1]
	v_add_u32_e32 v203, s19, v96
	s_waitcnt vmcnt(7)
	v_and_b32_e32 v4, 0xf0f0f0f, v12
	s_waitcnt vmcnt(6)
	v_ashrrev_i32_e32 v6, v75, v13
	v_lshrrev_b32_e32 v5, 4, v12
	v_lshlrev_b32_e32 v12, 4, v6
	v_and_b32_e32 v6, 0x30303030, v6
	s_waitcnt vmcnt(5)
	v_and_b32_e32 v7, 0xf0f0f0f, v10
	v_and_or_b32 v4, v12, s16, v4
	s_waitcnt vmcnt(4)
	v_ashrrev_i32_e32 v8, v75, v8
	v_lshlrev_b32_e32 v13, 4, v8
	v_and_or_b32 v5, v5, s11, v6
	v_and_or_b32 v6, v13, s16, v7
	v_and_b32_e32 v7, 0x3f00, v4
	v_lshlrev_b16_e32 v12, 8, v4
	v_and_b32_sdwa v13, v4, s17 dst_sel:DWORD dst_unused:UNUSED_PAD src0_sel:WORD_1 src1_sel:DWORD
	v_lshlrev_b16_sdwa v4, v202, v4 dst_sel:DWORD dst_unused:UNUSED_PAD src0_sel:DWORD src1_sel:WORD_1
	v_and_b32_e32 v98, 0x3f00, v5
	v_lshlrev_b16_e32 v99, 8, v5
	v_and_b32_sdwa v100, v5, s17 dst_sel:DWORD dst_unused:UNUSED_PAD src0_sel:WORD_1 src1_sel:DWORD
	v_lshlrev_b16_sdwa v5, v202, v5 dst_sel:DWORD dst_unused:UNUSED_PAD src0_sel:DWORD src1_sel:WORD_1
	v_add_u16_e32 v12, 0xe000, v12
	v_add_u16_e32 v4, 0xe000, v4
	;; [unrolled: 1-line block ×4, first 2 shown]
	v_or_b32_sdwa v7, v7, v12 dst_sel:DWORD dst_unused:UNUSED_PAD src0_sel:DWORD src1_sel:BYTE_1
	v_or_b32_sdwa v4, v13, v4 dst_sel:DWORD dst_unused:UNUSED_PAD src0_sel:DWORD src1_sel:BYTE_1
	;; [unrolled: 1-line block ×4, first 2 shown]
	v_add_u16_e32 v7, 0xe000, v7
	v_add_u16_sdwa v4, v4, s18 dst_sel:WORD_1 dst_unused:UNUSED_PAD src0_sel:DWORD src1_sel:DWORD
	v_add_u16_e32 v12, 0xe000, v12
	v_add_u16_sdwa v5, v5, s18 dst_sel:WORD_1 dst_unused:UNUSED_PAD src0_sel:DWORD src1_sel:DWORD
	v_or_b32_e32 v4, v7, v4
	v_or_b32_e32 v5, v12, v5
	ds_write2_b32 v24, v4, v5 offset1:16
	v_lshlrev_b16_sdwa v5, v202, v6 dst_sel:DWORD dst_unused:UNUSED_PAD src0_sel:DWORD src1_sel:WORD_1
	v_lshrrev_b32_e32 v10, 4, v10
	v_and_b32_e32 v8, 0x30303030, v8
	v_and_b32_sdwa v4, v6, s17 dst_sel:DWORD dst_unused:UNUSED_PAD src0_sel:WORD_1 src1_sel:DWORD
	v_add_u16_e32 v5, 0xe000, v5
	v_or_b32_sdwa v4, v4, v5 dst_sel:DWORD dst_unused:UNUSED_PAD src0_sel:DWORD src1_sel:BYTE_1
	v_and_or_b32 v5, v10, s11, v8
	v_lshlrev_b16_e32 v7, 8, v5
	v_and_b32_e32 v101, 0x3f00, v6
	v_lshlrev_b16_e32 v102, 8, v6
	v_and_b32_e32 v6, 0x3f00, v5
	v_add_u16_e32 v7, 0xe000, v7
	v_or_b32_sdwa v6, v6, v7 dst_sel:DWORD dst_unused:UNUSED_PAD src0_sel:DWORD src1_sel:BYTE_1
	v_and_b32_sdwa v7, v5, s17 dst_sel:DWORD dst_unused:UNUSED_PAD src0_sel:WORD_1 src1_sel:DWORD
	v_lshlrev_b16_sdwa v5, v202, v5 dst_sel:DWORD dst_unused:UNUSED_PAD src0_sel:DWORD src1_sel:WORD_1
	v_add_u16_e32 v102, 0xe000, v102
	v_add_u16_e32 v5, 0xe000, v5
	v_or_b32_sdwa v13, v101, v102 dst_sel:DWORD dst_unused:UNUSED_PAD src0_sel:DWORD src1_sel:BYTE_1
	v_or_b32_sdwa v5, v7, v5 dst_sel:DWORD dst_unused:UNUSED_PAD src0_sel:DWORD src1_sel:BYTE_1
	v_add_u16_e32 v13, 0xe000, v13
	v_add_u16_sdwa v4, v4, s18 dst_sel:WORD_1 dst_unused:UNUSED_PAD src0_sel:DWORD src1_sel:DWORD
	v_add_u16_e32 v6, 0xe000, v6
	v_add_u16_sdwa v5, v5, s18 dst_sel:WORD_1 dst_unused:UNUSED_PAD src0_sel:DWORD src1_sel:DWORD
	v_or_b32_e32 v4, v13, v4
	v_or_b32_e32 v5, v6, v5
	s_waitcnt vmcnt(2)
	v_ashrrev_i32_e32 v6, v75, v11
	ds_write2_b32 v28, v4, v5 offset1:16
	v_and_b32_e32 v4, 0xf0f0f0f, v9
	v_lshlrev_b32_e32 v7, 4, v6
	v_and_or_b32 v4, v7, s16, v4
	v_lshlrev_b16_e32 v8, 8, v4
	v_and_b32_e32 v7, 0x3f00, v4
	v_add_u16_e32 v8, 0xe000, v8
	v_or_b32_sdwa v7, v7, v8 dst_sel:DWORD dst_unused:UNUSED_PAD src0_sel:DWORD src1_sel:BYTE_1
	v_and_b32_sdwa v8, v4, s17 dst_sel:DWORD dst_unused:UNUSED_PAD src0_sel:WORD_1 src1_sel:DWORD
	v_lshlrev_b16_sdwa v4, v202, v4 dst_sel:DWORD dst_unused:UNUSED_PAD src0_sel:DWORD src1_sel:WORD_1
	v_add_u16_e32 v4, 0xe000, v4
	v_or_b32_sdwa v4, v8, v4 dst_sel:DWORD dst_unused:UNUSED_PAD src0_sel:DWORD src1_sel:BYTE_1
	v_lshrrev_b32_e32 v5, 4, v9
	v_and_b32_e32 v6, 0x30303030, v6
	v_add_u16_e32 v7, 0xe000, v7
	v_add_u16_sdwa v4, v4, s18 dst_sel:WORD_1 dst_unused:UNUSED_PAD src0_sel:DWORD src1_sel:DWORD
	v_or_b32_e32 v8, v7, v4
	v_and_or_b32 v9, v5, s11, v6
	v_mad_i64_i32 v[4:5], s[20:21], v38, s5, v[2:3]
	v_add_co_u32_e32 v6, vcc, v4, v18
	v_addc_co_u32_e32 v7, vcc, 0, v5, vcc
	v_add_co_u32_e32 v4, vcc, v4, v20
	v_addc_co_u32_e32 v5, vcc, 0, v5, vcc
	global_load_dword v11, v[6:7], off
	global_load_dword v12, v[4:5], off offset:128
	v_lshlrev_b16_e32 v4, 8, v9
	v_lshlrev_b16_sdwa v6, v202, v9 dst_sel:DWORD dst_unused:UNUSED_PAD src0_sel:DWORD src1_sel:WORD_1
	v_and_b32_e32 v10, 0x3f00, v9
	v_add_u16_e32 v4, 0xe000, v4
	v_and_b32_sdwa v5, v9, s17 dst_sel:DWORD dst_unused:UNUSED_PAD src0_sel:WORD_1 src1_sel:DWORD
	v_add_u16_e32 v6, 0xe000, v6
	v_or_b32_sdwa v4, v10, v4 dst_sel:DWORD dst_unused:UNUSED_PAD src0_sel:DWORD src1_sel:BYTE_1
	v_or_b32_sdwa v5, v5, v6 dst_sel:DWORD dst_unused:UNUSED_PAD src0_sel:DWORD src1_sel:BYTE_1
	v_add_u16_e32 v4, 0xe000, v4
	v_add_u16_sdwa v5, v5, s18 dst_sel:WORD_1 dst_unused:UNUSED_PAD src0_sel:DWORD src1_sel:DWORD
	v_or_b32_e32 v4, v4, v5
	s_waitcnt vmcnt(2)
	v_ashrrev_i32_e32 v5, v75, v15
	ds_write2_b32 v32, v8, v4 offset1:16
	v_and_b32_e32 v4, 0xf0f0f0f, v14
	v_lshlrev_b32_e32 v6, 4, v5
	v_and_b32_e32 v9, 0x30303030, v5
	v_and_or_b32 v10, v6, s16, v4
	v_mad_i64_i32 v[4:5], s[20:21], v42, s5, v[2:3]
	v_add_co_u32_e32 v6, vcc, v4, v18
	v_addc_co_u32_e32 v7, vcc, 0, v5, vcc
	v_add_co_u32_e32 v4, vcc, v4, v20
	v_addc_co_u32_e32 v5, vcc, 0, v5, vcc
	v_lshrrev_b32_e32 v8, 4, v14
	global_load_dword v14, v[6:7], off
	global_load_dword v15, v[4:5], off offset:128
	v_lshlrev_b16_e32 v4, 8, v10
	v_lshlrev_b16_sdwa v6, v202, v10 dst_sel:DWORD dst_unused:UNUSED_PAD src0_sel:DWORD src1_sel:WORD_1
	v_and_b32_e32 v13, 0x3f00, v10
	v_add_u16_e32 v4, 0xe000, v4
	v_and_b32_sdwa v5, v10, s17 dst_sel:DWORD dst_unused:UNUSED_PAD src0_sel:WORD_1 src1_sel:DWORD
	v_add_u16_e32 v6, 0xe000, v6
	v_or_b32_sdwa v4, v13, v4 dst_sel:DWORD dst_unused:UNUSED_PAD src0_sel:DWORD src1_sel:BYTE_1
	v_or_b32_sdwa v5, v5, v6 dst_sel:DWORD dst_unused:UNUSED_PAD src0_sel:DWORD src1_sel:BYTE_1
	v_add_u16_e32 v4, 0xe000, v4
	v_add_u16_sdwa v5, v5, s18 dst_sel:WORD_1 dst_unused:UNUSED_PAD src0_sel:DWORD src1_sel:DWORD
	v_or_b32_e32 v10, v4, v5
	v_and_or_b32 v4, v8, s11, v9
	v_lshlrev_b16_e32 v6, 8, v4
	v_and_b32_e32 v5, 0x3f00, v4
	v_add_u16_e32 v6, 0xe000, v6
	v_or_b32_sdwa v5, v5, v6 dst_sel:DWORD dst_unused:UNUSED_PAD src0_sel:DWORD src1_sel:BYTE_1
	v_add_u16_e32 v8, 0xe000, v5
	v_and_b32_sdwa v9, v4, s17 dst_sel:DWORD dst_unused:UNUSED_PAD src0_sel:WORD_1 src1_sel:DWORD
	v_lshlrev_b16_sdwa v13, v202, v4 dst_sel:DWORD dst_unused:UNUSED_PAD src0_sel:DWORD src1_sel:WORD_1
	v_mad_i64_i32 v[4:5], s[20:21], v46, s5, v[2:3]
	v_add_co_u32_e32 v6, vcc, v4, v18
	v_addc_co_u32_e32 v7, vcc, 0, v5, vcc
	v_add_co_u32_e32 v4, vcc, v4, v20
	v_addc_co_u32_e32 v5, vcc, 0, v5, vcc
	global_load_dword v98, v[6:7], off
	global_load_dword v99, v[4:5], off offset:128
	v_add_u16_e32 v4, 0xe000, v13
	v_or_b32_sdwa v4, v9, v4 dst_sel:DWORD dst_unused:UNUSED_PAD src0_sel:DWORD src1_sel:BYTE_1
	v_add_u16_sdwa v4, v4, s18 dst_sel:WORD_1 dst_unused:UNUSED_PAD src0_sel:DWORD src1_sel:DWORD
	v_or_b32_e32 v4, v8, v4
	ds_write2_b32 v36, v10, v4 offset1:16
	v_mad_i64_i32 v[4:5], s[20:21], v50, s5, v[2:3]
	v_add_co_u32_e32 v6, vcc, v4, v18
	v_addc_co_u32_e32 v7, vcc, 0, v5, vcc
	v_add_co_u32_e32 v4, vcc, v4, v20
	v_addc_co_u32_e32 v5, vcc, 0, v5, vcc
	global_load_dword v8, v[6:7], off
	global_load_dword v9, v[4:5], off offset:128
	s_waitcnt vmcnt(7)
	v_and_b32_e32 v4, 0xf0f0f0f, v11
	s_waitcnt vmcnt(6)
	v_ashrrev_i32_e32 v6, v75, v12
	v_lshlrev_b32_e32 v7, 4, v6
	v_and_or_b32 v4, v7, s16, v4
	v_lshlrev_b16_e32 v10, 8, v4
	v_and_b32_e32 v7, 0x3f00, v4
	v_add_u16_e32 v10, 0xe000, v10
	v_or_b32_sdwa v7, v7, v10 dst_sel:DWORD dst_unused:UNUSED_PAD src0_sel:DWORD src1_sel:BYTE_1
	v_and_b32_sdwa v10, v4, s17 dst_sel:DWORD dst_unused:UNUSED_PAD src0_sel:WORD_1 src1_sel:DWORD
	v_lshlrev_b16_sdwa v4, v202, v4 dst_sel:DWORD dst_unused:UNUSED_PAD src0_sel:DWORD src1_sel:WORD_1
	v_add_u16_e32 v4, 0xe000, v4
	v_lshrrev_b32_e32 v5, 4, v11
	v_and_b32_e32 v6, 0x30303030, v6
	v_or_b32_sdwa v4, v10, v4 dst_sel:DWORD dst_unused:UNUSED_PAD src0_sel:DWORD src1_sel:BYTE_1
	v_add_u16_e32 v7, 0xe000, v7
	v_add_u16_sdwa v4, v4, s18 dst_sel:WORD_1 dst_unused:UNUSED_PAD src0_sel:DWORD src1_sel:DWORD
	v_and_or_b32 v5, v5, s11, v6
	v_or_b32_e32 v4, v7, v4
	v_lshlrev_b16_e32 v7, 8, v5
	v_and_b32_e32 v6, 0x3f00, v5
	v_add_u16_e32 v7, 0xe000, v7
	v_or_b32_sdwa v6, v6, v7 dst_sel:DWORD dst_unused:UNUSED_PAD src0_sel:DWORD src1_sel:BYTE_1
	v_and_b32_sdwa v7, v5, s17 dst_sel:DWORD dst_unused:UNUSED_PAD src0_sel:WORD_1 src1_sel:DWORD
	v_lshlrev_b16_sdwa v5, v202, v5 dst_sel:DWORD dst_unused:UNUSED_PAD src0_sel:DWORD src1_sel:WORD_1
	v_add_u16_e32 v5, 0xe000, v5
	v_or_b32_sdwa v5, v7, v5 dst_sel:DWORD dst_unused:UNUSED_PAD src0_sel:DWORD src1_sel:BYTE_1
	v_add_u16_e32 v6, 0xe000, v6
	v_add_u16_sdwa v5, v5, s18 dst_sel:WORD_1 dst_unused:UNUSED_PAD src0_sel:DWORD src1_sel:DWORD
	v_or_b32_e32 v5, v6, v5
	ds_write2_b32 v40, v4, v5 offset1:16
	s_waitcnt vmcnt(5)
	v_and_b32_e32 v4, 0xf0f0f0f, v14
	s_waitcnt vmcnt(4)
	v_ashrrev_i32_e32 v6, v75, v15
	v_lshlrev_b32_e32 v7, 4, v6
	v_and_or_b32 v4, v7, s16, v4
	v_lshlrev_b16_e32 v10, 8, v4
	v_and_b32_e32 v7, 0x3f00, v4
	v_add_u16_e32 v10, 0xe000, v10
	v_or_b32_sdwa v7, v7, v10 dst_sel:DWORD dst_unused:UNUSED_PAD src0_sel:DWORD src1_sel:BYTE_1
	v_and_b32_sdwa v10, v4, s17 dst_sel:DWORD dst_unused:UNUSED_PAD src0_sel:WORD_1 src1_sel:DWORD
	v_lshlrev_b16_sdwa v4, v202, v4 dst_sel:DWORD dst_unused:UNUSED_PAD src0_sel:DWORD src1_sel:WORD_1
	v_add_u16_e32 v4, 0xe000, v4
	v_lshrrev_b32_e32 v5, 4, v14
	v_and_b32_e32 v6, 0x30303030, v6
	v_or_b32_sdwa v4, v10, v4 dst_sel:DWORD dst_unused:UNUSED_PAD src0_sel:DWORD src1_sel:BYTE_1
	v_add_u16_e32 v7, 0xe000, v7
	v_add_u16_sdwa v4, v4, s18 dst_sel:WORD_1 dst_unused:UNUSED_PAD src0_sel:DWORD src1_sel:DWORD
	v_and_or_b32 v5, v5, s11, v6
	v_or_b32_e32 v4, v7, v4
	v_lshlrev_b16_e32 v7, 8, v5
	v_and_b32_e32 v6, 0x3f00, v5
	v_add_u16_e32 v7, 0xe000, v7
	v_or_b32_sdwa v6, v6, v7 dst_sel:DWORD dst_unused:UNUSED_PAD src0_sel:DWORD src1_sel:BYTE_1
	v_and_b32_sdwa v7, v5, s17 dst_sel:DWORD dst_unused:UNUSED_PAD src0_sel:WORD_1 src1_sel:DWORD
	v_lshlrev_b16_sdwa v5, v202, v5 dst_sel:DWORD dst_unused:UNUSED_PAD src0_sel:DWORD src1_sel:WORD_1
	v_add_u16_e32 v5, 0xe000, v5
	v_or_b32_sdwa v5, v7, v5 dst_sel:DWORD dst_unused:UNUSED_PAD src0_sel:DWORD src1_sel:BYTE_1
	v_add_u16_e32 v6, 0xe000, v6
	v_add_u16_sdwa v5, v5, s18 dst_sel:WORD_1 dst_unused:UNUSED_PAD src0_sel:DWORD src1_sel:DWORD
	v_or_b32_e32 v5, v6, v5
	ds_write2_b32 v44, v4, v5 offset1:16
	s_waitcnt vmcnt(3)
	v_and_b32_e32 v4, 0xf0f0f0f, v98
	s_waitcnt vmcnt(2)
	v_ashrrev_i32_e32 v6, v75, v99
	v_lshlrev_b32_e32 v7, 4, v6
	v_and_or_b32 v4, v7, s16, v4
	v_lshlrev_b16_e32 v10, 8, v4
	v_and_b32_e32 v7, 0x3f00, v4
	v_add_u16_e32 v10, 0xe000, v10
	v_or_b32_sdwa v7, v7, v10 dst_sel:DWORD dst_unused:UNUSED_PAD src0_sel:DWORD src1_sel:BYTE_1
	v_and_b32_sdwa v10, v4, s17 dst_sel:DWORD dst_unused:UNUSED_PAD src0_sel:WORD_1 src1_sel:DWORD
	v_lshlrev_b16_sdwa v4, v202, v4 dst_sel:DWORD dst_unused:UNUSED_PAD src0_sel:DWORD src1_sel:WORD_1
	v_add_u16_e32 v4, 0xe000, v4
	v_or_b32_sdwa v4, v10, v4 dst_sel:DWORD dst_unused:UNUSED_PAD src0_sel:DWORD src1_sel:BYTE_1
	v_lshrrev_b32_e32 v5, 4, v98
	v_and_b32_e32 v6, 0x30303030, v6
	v_add_u16_e32 v7, 0xe000, v7
	v_add_u16_sdwa v4, v4, s18 dst_sel:WORD_1 dst_unused:UNUSED_PAD src0_sel:DWORD src1_sel:DWORD
	v_or_b32_e32 v10, v7, v4
	v_and_or_b32 v11, v5, s11, v6
	v_mad_i64_i32 v[4:5], s[20:21], v54, s5, v[2:3]
	v_add_co_u32_e32 v6, vcc, v4, v18
	v_addc_co_u32_e32 v7, vcc, 0, v5, vcc
	v_add_co_u32_e32 v4, vcc, v4, v20
	v_addc_co_u32_e32 v5, vcc, 0, v5, vcc
	global_load_dword v13, v[6:7], off
	global_load_dword v14, v[4:5], off offset:128
	v_lshlrev_b16_e32 v4, 8, v11
	v_lshlrev_b16_sdwa v6, v202, v11 dst_sel:DWORD dst_unused:UNUSED_PAD src0_sel:DWORD src1_sel:WORD_1
	v_and_b32_e32 v12, 0x3f00, v11
	v_add_u16_e32 v4, 0xe000, v4
	v_and_b32_sdwa v5, v11, s17 dst_sel:DWORD dst_unused:UNUSED_PAD src0_sel:WORD_1 src1_sel:DWORD
	v_add_u16_e32 v6, 0xe000, v6
	v_or_b32_sdwa v4, v12, v4 dst_sel:DWORD dst_unused:UNUSED_PAD src0_sel:DWORD src1_sel:BYTE_1
	v_or_b32_sdwa v5, v5, v6 dst_sel:DWORD dst_unused:UNUSED_PAD src0_sel:DWORD src1_sel:BYTE_1
	v_add_u16_e32 v4, 0xe000, v4
	v_add_u16_sdwa v5, v5, s18 dst_sel:WORD_1 dst_unused:UNUSED_PAD src0_sel:DWORD src1_sel:DWORD
	v_or_b32_e32 v4, v4, v5
	s_waitcnt vmcnt(2)
	v_ashrrev_i32_e32 v5, v75, v9
	ds_write2_b32 v48, v10, v4 offset1:16
	v_and_b32_e32 v4, 0xf0f0f0f, v8
	v_lshlrev_b32_e32 v6, 4, v5
	v_and_b32_e32 v9, 0x30303030, v5
	v_and_or_b32 v10, v6, s16, v4
	v_mad_i64_i32 v[4:5], s[20:21], v58, s5, v[2:3]
	v_add_co_u32_e32 v6, vcc, v4, v18
	v_addc_co_u32_e32 v7, vcc, 0, v5, vcc
	v_add_co_u32_e32 v4, vcc, v4, v20
	v_addc_co_u32_e32 v5, vcc, 0, v5, vcc
	global_load_dword v12, v[6:7], off
	global_load_dword v15, v[4:5], off offset:128
	v_lshlrev_b16_e32 v4, 8, v10
	v_lshlrev_b16_sdwa v6, v202, v10 dst_sel:DWORD dst_unused:UNUSED_PAD src0_sel:DWORD src1_sel:WORD_1
	v_and_b32_e32 v11, 0x3f00, v10
	v_add_u16_e32 v4, 0xe000, v4
	v_and_b32_sdwa v5, v10, s17 dst_sel:DWORD dst_unused:UNUSED_PAD src0_sel:WORD_1 src1_sel:DWORD
	v_add_u16_e32 v6, 0xe000, v6
	v_or_b32_sdwa v4, v11, v4 dst_sel:DWORD dst_unused:UNUSED_PAD src0_sel:DWORD src1_sel:BYTE_1
	v_or_b32_sdwa v5, v5, v6 dst_sel:DWORD dst_unused:UNUSED_PAD src0_sel:DWORD src1_sel:BYTE_1
	v_lshrrev_b32_e32 v8, 4, v8
	v_add_u16_e32 v4, 0xe000, v4
	v_add_u16_sdwa v5, v5, s18 dst_sel:WORD_1 dst_unused:UNUSED_PAD src0_sel:DWORD src1_sel:DWORD
	v_or_b32_e32 v10, v4, v5
	v_and_or_b32 v4, v8, s11, v9
	v_lshlrev_b16_e32 v6, 8, v4
	v_and_b32_e32 v5, 0x3f00, v4
	v_add_u16_e32 v6, 0xe000, v6
	v_or_b32_sdwa v5, v5, v6 dst_sel:DWORD dst_unused:UNUSED_PAD src0_sel:DWORD src1_sel:BYTE_1
	v_add_u16_e32 v8, 0xe000, v5
	v_and_b32_sdwa v9, v4, s17 dst_sel:DWORD dst_unused:UNUSED_PAD src0_sel:WORD_1 src1_sel:DWORD
	v_lshlrev_b16_sdwa v11, v202, v4 dst_sel:DWORD dst_unused:UNUSED_PAD src0_sel:DWORD src1_sel:WORD_1
	v_mad_i64_i32 v[4:5], s[20:21], v62, s5, v[2:3]
	v_add_co_u32_e32 v6, vcc, v4, v18
	v_addc_co_u32_e32 v7, vcc, 0, v5, vcc
	v_add_co_u32_e32 v4, vcc, v4, v20
	v_addc_co_u32_e32 v5, vcc, 0, v5, vcc
	global_load_dword v98, v[6:7], off
	global_load_dword v99, v[4:5], off offset:128
	v_add_u16_e32 v4, 0xe000, v11
	v_or_b32_sdwa v4, v9, v4 dst_sel:DWORD dst_unused:UNUSED_PAD src0_sel:DWORD src1_sel:BYTE_1
	v_add_u16_sdwa v4, v4, s18 dst_sel:WORD_1 dst_unused:UNUSED_PAD src0_sel:DWORD src1_sel:DWORD
	v_or_b32_e32 v4, v8, v4
	ds_write2_b32 v52, v10, v4 offset1:16
	v_mad_i64_i32 v[4:5], s[20:21], v66, s5, v[2:3]
	v_add_co_u32_e32 v6, vcc, v4, v18
	v_addc_co_u32_e32 v7, vcc, 0, v5, vcc
	v_add_co_u32_e32 v4, vcc, v4, v20
	v_addc_co_u32_e32 v5, vcc, 0, v5, vcc
	global_load_dword v8, v[6:7], off
	global_load_dword v9, v[4:5], off offset:128
	s_waitcnt vmcnt(7)
	v_and_b32_e32 v4, 0xf0f0f0f, v13
	s_waitcnt vmcnt(6)
	v_ashrrev_i32_e32 v6, v75, v14
	v_lshlrev_b32_e32 v7, 4, v6
	v_and_or_b32 v4, v7, s16, v4
	v_lshlrev_b16_e32 v10, 8, v4
	v_and_b32_e32 v7, 0x3f00, v4
	v_add_u16_e32 v10, 0xe000, v10
	v_or_b32_sdwa v7, v7, v10 dst_sel:DWORD dst_unused:UNUSED_PAD src0_sel:DWORD src1_sel:BYTE_1
	v_and_b32_sdwa v10, v4, s17 dst_sel:DWORD dst_unused:UNUSED_PAD src0_sel:WORD_1 src1_sel:DWORD
	v_lshlrev_b16_sdwa v4, v202, v4 dst_sel:DWORD dst_unused:UNUSED_PAD src0_sel:DWORD src1_sel:WORD_1
	v_add_u16_e32 v4, 0xe000, v4
	v_lshrrev_b32_e32 v5, 4, v13
	v_and_b32_e32 v6, 0x30303030, v6
	v_or_b32_sdwa v4, v10, v4 dst_sel:DWORD dst_unused:UNUSED_PAD src0_sel:DWORD src1_sel:BYTE_1
	v_add_u16_e32 v7, 0xe000, v7
	v_add_u16_sdwa v4, v4, s18 dst_sel:WORD_1 dst_unused:UNUSED_PAD src0_sel:DWORD src1_sel:DWORD
	v_and_or_b32 v5, v5, s11, v6
	v_or_b32_e32 v4, v7, v4
	v_lshlrev_b16_e32 v7, 8, v5
	v_and_b32_e32 v6, 0x3f00, v5
	v_add_u16_e32 v7, 0xe000, v7
	v_or_b32_sdwa v6, v6, v7 dst_sel:DWORD dst_unused:UNUSED_PAD src0_sel:DWORD src1_sel:BYTE_1
	v_and_b32_sdwa v7, v5, s17 dst_sel:DWORD dst_unused:UNUSED_PAD src0_sel:WORD_1 src1_sel:DWORD
	v_lshlrev_b16_sdwa v5, v202, v5 dst_sel:DWORD dst_unused:UNUSED_PAD src0_sel:DWORD src1_sel:WORD_1
	v_add_u16_e32 v5, 0xe000, v5
	v_or_b32_sdwa v5, v7, v5 dst_sel:DWORD dst_unused:UNUSED_PAD src0_sel:DWORD src1_sel:BYTE_1
	v_add_u16_e32 v6, 0xe000, v6
	v_add_u16_sdwa v5, v5, s18 dst_sel:WORD_1 dst_unused:UNUSED_PAD src0_sel:DWORD src1_sel:DWORD
	v_or_b32_e32 v5, v6, v5
	ds_write2_b32 v56, v4, v5 offset1:16
	s_waitcnt vmcnt(4)
	v_ashrrev_i32_e32 v6, v75, v15
	v_and_b32_e32 v4, 0xf0f0f0f, v12
	v_lshlrev_b32_e32 v7, 4, v6
	v_and_or_b32 v4, v7, s16, v4
	v_lshlrev_b16_e32 v10, 8, v4
	v_and_b32_e32 v7, 0x3f00, v4
	v_add_u16_e32 v10, 0xe000, v10
	v_or_b32_sdwa v7, v7, v10 dst_sel:DWORD dst_unused:UNUSED_PAD src0_sel:DWORD src1_sel:BYTE_1
	v_and_b32_sdwa v10, v4, s17 dst_sel:DWORD dst_unused:UNUSED_PAD src0_sel:WORD_1 src1_sel:DWORD
	v_lshlrev_b16_sdwa v4, v202, v4 dst_sel:DWORD dst_unused:UNUSED_PAD src0_sel:DWORD src1_sel:WORD_1
	v_add_u16_e32 v4, 0xe000, v4
	v_lshrrev_b32_e32 v5, 4, v12
	v_and_b32_e32 v6, 0x30303030, v6
	v_or_b32_sdwa v4, v10, v4 dst_sel:DWORD dst_unused:UNUSED_PAD src0_sel:DWORD src1_sel:BYTE_1
	v_add_u16_e32 v7, 0xe000, v7
	v_add_u16_sdwa v4, v4, s18 dst_sel:WORD_1 dst_unused:UNUSED_PAD src0_sel:DWORD src1_sel:DWORD
	v_and_or_b32 v5, v5, s11, v6
	v_or_b32_e32 v4, v7, v4
	v_lshlrev_b16_e32 v7, 8, v5
	v_and_b32_e32 v6, 0x3f00, v5
	v_add_u16_e32 v7, 0xe000, v7
	v_or_b32_sdwa v6, v6, v7 dst_sel:DWORD dst_unused:UNUSED_PAD src0_sel:DWORD src1_sel:BYTE_1
	v_and_b32_sdwa v7, v5, s17 dst_sel:DWORD dst_unused:UNUSED_PAD src0_sel:WORD_1 src1_sel:DWORD
	v_lshlrev_b16_sdwa v5, v202, v5 dst_sel:DWORD dst_unused:UNUSED_PAD src0_sel:DWORD src1_sel:WORD_1
	v_add_u16_e32 v5, 0xe000, v5
	v_or_b32_sdwa v5, v7, v5 dst_sel:DWORD dst_unused:UNUSED_PAD src0_sel:DWORD src1_sel:BYTE_1
	v_add_u16_e32 v6, 0xe000, v6
	v_add_u16_sdwa v5, v5, s18 dst_sel:WORD_1 dst_unused:UNUSED_PAD src0_sel:DWORD src1_sel:DWORD
	v_or_b32_e32 v5, v6, v5
	ds_write2_b32 v60, v4, v5 offset1:16
	s_waitcnt vmcnt(3)
	v_and_b32_e32 v4, 0xf0f0f0f, v98
	s_waitcnt vmcnt(2)
	v_ashrrev_i32_e32 v6, v75, v99
	v_lshlrev_b32_e32 v7, 4, v6
	v_and_or_b32 v4, v7, s16, v4
	v_lshlrev_b16_e32 v10, 8, v4
	v_and_b32_e32 v7, 0x3f00, v4
	v_add_u16_e32 v10, 0xe000, v10
	v_or_b32_sdwa v7, v7, v10 dst_sel:DWORD dst_unused:UNUSED_PAD src0_sel:DWORD src1_sel:BYTE_1
	v_and_b32_sdwa v10, v4, s17 dst_sel:DWORD dst_unused:UNUSED_PAD src0_sel:WORD_1 src1_sel:DWORD
	v_lshlrev_b16_sdwa v4, v202, v4 dst_sel:DWORD dst_unused:UNUSED_PAD src0_sel:DWORD src1_sel:WORD_1
	v_add_u16_e32 v4, 0xe000, v4
	v_or_b32_sdwa v4, v10, v4 dst_sel:DWORD dst_unused:UNUSED_PAD src0_sel:DWORD src1_sel:BYTE_1
	v_lshrrev_b32_e32 v5, 4, v98
	v_and_b32_e32 v6, 0x30303030, v6
	v_add_u16_e32 v7, 0xe000, v7
	v_add_u16_sdwa v4, v4, s18 dst_sel:WORD_1 dst_unused:UNUSED_PAD src0_sel:DWORD src1_sel:DWORD
	v_or_b32_e32 v10, v7, v4
	v_and_or_b32 v11, v5, s11, v6
	v_mad_i64_i32 v[4:5], s[20:21], v70, s5, v[2:3]
	v_add_co_u32_e32 v6, vcc, v4, v18
	v_addc_co_u32_e32 v7, vcc, 0, v5, vcc
	v_add_co_u32_e32 v4, vcc, v4, v20
	v_addc_co_u32_e32 v5, vcc, 0, v5, vcc
	global_load_dword v13, v[6:7], off
	global_load_dword v14, v[4:5], off offset:128
	v_lshlrev_b16_e32 v4, 8, v11
	v_lshlrev_b16_sdwa v6, v202, v11 dst_sel:DWORD dst_unused:UNUSED_PAD src0_sel:DWORD src1_sel:WORD_1
	v_and_b32_e32 v12, 0x3f00, v11
	v_add_u16_e32 v4, 0xe000, v4
	v_and_b32_sdwa v5, v11, s17 dst_sel:DWORD dst_unused:UNUSED_PAD src0_sel:WORD_1 src1_sel:DWORD
	v_add_u16_e32 v6, 0xe000, v6
	v_or_b32_sdwa v4, v12, v4 dst_sel:DWORD dst_unused:UNUSED_PAD src0_sel:DWORD src1_sel:BYTE_1
	v_or_b32_sdwa v5, v5, v6 dst_sel:DWORD dst_unused:UNUSED_PAD src0_sel:DWORD src1_sel:BYTE_1
	v_add_u16_e32 v4, 0xe000, v4
	v_add_u16_sdwa v5, v5, s18 dst_sel:WORD_1 dst_unused:UNUSED_PAD src0_sel:DWORD src1_sel:DWORD
	v_or_b32_e32 v4, v4, v5
	s_waitcnt vmcnt(2)
	v_ashrrev_i32_e32 v5, v75, v9
	ds_write2_b32 v64, v10, v4 offset1:16
	v_and_b32_e32 v4, 0xf0f0f0f, v8
	v_lshlrev_b32_e32 v6, 4, v5
	v_and_b32_e32 v9, 0x30303030, v5
	v_and_or_b32 v10, v6, s16, v4
	v_mad_i64_i32 v[4:5], s[20:21], v74, s5, v[2:3]
	v_add_co_u32_e32 v6, vcc, v4, v18
	v_addc_co_u32_e32 v7, vcc, 0, v5, vcc
	v_add_co_u32_e32 v4, vcc, v4, v20
	v_addc_co_u32_e32 v5, vcc, 0, v5, vcc
	global_load_dword v12, v[6:7], off
	global_load_dword v15, v[4:5], off offset:128
	v_lshlrev_b16_e32 v4, 8, v10
	v_lshlrev_b16_sdwa v6, v202, v10 dst_sel:DWORD dst_unused:UNUSED_PAD src0_sel:DWORD src1_sel:WORD_1
	v_and_b32_e32 v11, 0x3f00, v10
	v_add_u16_e32 v4, 0xe000, v4
	v_and_b32_sdwa v5, v10, s17 dst_sel:DWORD dst_unused:UNUSED_PAD src0_sel:WORD_1 src1_sel:DWORD
	v_add_u16_e32 v6, 0xe000, v6
	v_or_b32_sdwa v4, v11, v4 dst_sel:DWORD dst_unused:UNUSED_PAD src0_sel:DWORD src1_sel:BYTE_1
	v_or_b32_sdwa v5, v5, v6 dst_sel:DWORD dst_unused:UNUSED_PAD src0_sel:DWORD src1_sel:BYTE_1
	v_lshrrev_b32_e32 v8, 4, v8
	v_add_u16_e32 v4, 0xe000, v4
	v_add_u16_sdwa v5, v5, s18 dst_sel:WORD_1 dst_unused:UNUSED_PAD src0_sel:DWORD src1_sel:DWORD
	v_or_b32_e32 v4, v4, v5
	v_and_or_b32 v5, v8, s11, v9
	v_lshlrev_b16_e32 v7, 8, v5
	v_and_b32_e32 v6, 0x3f00, v5
	v_add_u16_e32 v7, 0xe000, v7
	v_or_b32_sdwa v6, v6, v7 dst_sel:DWORD dst_unused:UNUSED_PAD src0_sel:DWORD src1_sel:BYTE_1
	v_and_b32_sdwa v7, v5, s17 dst_sel:DWORD dst_unused:UNUSED_PAD src0_sel:WORD_1 src1_sel:DWORD
	v_lshlrev_b16_sdwa v5, v202, v5 dst_sel:DWORD dst_unused:UNUSED_PAD src0_sel:DWORD src1_sel:WORD_1
	v_add_u16_e32 v5, 0xe000, v5
	v_or_b32_sdwa v5, v7, v5 dst_sel:DWORD dst_unused:UNUSED_PAD src0_sel:DWORD src1_sel:BYTE_1
	v_add_u16_e32 v6, 0xe000, v6
	v_add_u16_sdwa v5, v5, s18 dst_sel:WORD_1 dst_unused:UNUSED_PAD src0_sel:DWORD src1_sel:DWORD
	v_or_b32_e32 v5, v6, v5
	ds_write2_b32 v68, v4, v5 offset1:16
	v_mad_i64_i32 v[4:5], s[20:21], v78, s5, v[2:3]
	v_add_co_u32_e32 v6, vcc, v4, v18
	v_addc_co_u32_e32 v7, vcc, 0, v5, vcc
	v_add_co_u32_e32 v4, vcc, v4, v20
	v_addc_co_u32_e32 v5, vcc, 0, v5, vcc
	v_mad_i64_i32 v[2:3], s[20:21], v82, s5, v[2:3]
	v_add_co_u32_e32 v8, vcc, v2, v18
	v_addc_co_u32_e32 v9, vcc, 0, v3, vcc
	v_add_co_u32_e32 v2, vcc, v2, v20
	v_addc_co_u32_e32 v3, vcc, 0, v3, vcc
	global_load_dword v100, v[6:7], off
	global_load_dword v101, v[4:5], off offset:128
	global_load_dword v102, v[8:9], off
	global_load_dword v103, v[2:3], off offset:128
	s_mov_b32 s21, 0
	s_waitcnt vmcnt(7)
	v_and_b32_e32 v2, 0xf0f0f0f, v13
	s_waitcnt vmcnt(6)
	v_ashrrev_i32_e32 v4, v75, v14
	v_lshlrev_b32_e32 v5, 4, v4
	v_and_or_b32 v2, v5, s16, v2
	v_lshlrev_b16_e32 v6, 8, v2
	v_and_b32_e32 v5, 0x3f00, v2
	v_add_u16_e32 v6, 0xe000, v6
	v_or_b32_sdwa v5, v5, v6 dst_sel:DWORD dst_unused:UNUSED_PAD src0_sel:DWORD src1_sel:BYTE_1
	v_and_b32_sdwa v6, v2, s17 dst_sel:DWORD dst_unused:UNUSED_PAD src0_sel:WORD_1 src1_sel:DWORD
	v_lshlrev_b16_sdwa v2, v202, v2 dst_sel:DWORD dst_unused:UNUSED_PAD src0_sel:DWORD src1_sel:WORD_1
	v_add_u16_e32 v2, 0xe000, v2
	v_lshrrev_b32_e32 v3, 4, v13
	v_and_b32_e32 v4, 0x30303030, v4
	v_or_b32_sdwa v2, v6, v2 dst_sel:DWORD dst_unused:UNUSED_PAD src0_sel:DWORD src1_sel:BYTE_1
	v_add_u16_e32 v5, 0xe000, v5
	v_add_u16_sdwa v2, v2, s18 dst_sel:WORD_1 dst_unused:UNUSED_PAD src0_sel:DWORD src1_sel:DWORD
	v_and_or_b32 v3, v3, s11, v4
	v_or_b32_e32 v2, v5, v2
	v_lshlrev_b16_e32 v5, 8, v3
	v_and_b32_e32 v4, 0x3f00, v3
	v_add_u16_e32 v5, 0xe000, v5
	v_or_b32_sdwa v4, v4, v5 dst_sel:DWORD dst_unused:UNUSED_PAD src0_sel:DWORD src1_sel:BYTE_1
	v_and_b32_sdwa v5, v3, s17 dst_sel:DWORD dst_unused:UNUSED_PAD src0_sel:WORD_1 src1_sel:DWORD
	v_lshlrev_b16_sdwa v3, v202, v3 dst_sel:DWORD dst_unused:UNUSED_PAD src0_sel:DWORD src1_sel:WORD_1
	v_add_u16_e32 v3, 0xe000, v3
	v_or_b32_sdwa v3, v5, v3 dst_sel:DWORD dst_unused:UNUSED_PAD src0_sel:DWORD src1_sel:BYTE_1
	v_add_u16_e32 v4, 0xe000, v4
	v_add_u16_sdwa v3, v3, s18 dst_sel:WORD_1 dst_unused:UNUSED_PAD src0_sel:DWORD src1_sel:DWORD
	v_or_b32_e32 v3, v4, v3
	ds_write2_b32 v72, v2, v3 offset1:16
	s_waitcnt vmcnt(4)
	v_ashrrev_i32_e32 v4, v75, v15
	v_and_b32_e32 v2, 0xf0f0f0f, v12
	v_lshlrev_b32_e32 v5, 4, v4
	v_and_or_b32 v2, v5, s16, v2
	v_lshlrev_b16_e32 v6, 8, v2
	v_and_b32_e32 v5, 0x3f00, v2
	v_add_u16_e32 v6, 0xe000, v6
	v_or_b32_sdwa v5, v5, v6 dst_sel:DWORD dst_unused:UNUSED_PAD src0_sel:DWORD src1_sel:BYTE_1
	v_and_b32_sdwa v6, v2, s17 dst_sel:DWORD dst_unused:UNUSED_PAD src0_sel:WORD_1 src1_sel:DWORD
	v_lshlrev_b16_sdwa v2, v202, v2 dst_sel:DWORD dst_unused:UNUSED_PAD src0_sel:DWORD src1_sel:WORD_1
	v_lshrrev_b32_e32 v3, 4, v12
	v_and_b32_e32 v4, 0x30303030, v4
	v_add_u16_e32 v2, 0xe000, v2
	v_or_b32_sdwa v2, v6, v2 dst_sel:DWORD dst_unused:UNUSED_PAD src0_sel:DWORD src1_sel:BYTE_1
	v_and_or_b32 v105, v3, s11, v4
	v_add_u16_e32 v5, 0xe000, v5
	v_add_u16_sdwa v2, v2, s18 dst_sel:WORD_1 dst_unused:UNUSED_PAD src0_sel:DWORD src1_sel:DWORD
	v_lshlrev_b16_e32 v3, 8, v105
	v_or_b32_e32 v104, v5, v2
	v_and_b32_e32 v2, 0x3f00, v105
	v_add_u16_e32 v3, 0xe000, v3
	v_or_b32_sdwa v2, v2, v3 dst_sel:DWORD dst_unused:UNUSED_PAD src0_sel:DWORD src1_sel:BYTE_1
	v_add_u16_e32 v106, 0xe000, v2
	v_mov_b32_e32 v3, s1
	v_add_co_u32_e32 v2, vcc, s0, v88
	v_addc_co_u32_e32 v3, vcc, 0, v3, vcc
	v_mad_i64_i32 v[4:5], s[0:1], v90, s5, v[2:3]
	v_mad_i64_i32 v[2:3], s[0:1], v92, s5, v[2:3]
	v_add_u32_e32 v14, s19, v97
	global_load_ushort v107, v[0:1], off offset:208
	global_load_dword v108, v[4:5], off offset:192
	global_load_dword v109, v[2:3], off offset:192
	v_add_u32_e32 v0, v14, v164
	v_add_u32_e32 v2, v14, v166
	;; [unrolled: 1-line block ×5, first 2 shown]
	v_mad_i64_i32 v[0:1], s[0:1], v0, 36, v[94:95]
	v_mad_i64_i32 v[2:3], s[0:1], v2, 36, v[94:95]
	;; [unrolled: 1-line block ×5, first 2 shown]
	v_add_u32_e32 v10, v14, v178
	v_add_u32_e32 v12, v14, v181
	;; [unrolled: 1-line block ×3, first 2 shown]
	v_mad_i64_i32 v[10:11], s[0:1], v10, 36, v[94:95]
	v_mad_i64_i32 v[12:13], s[0:1], v12, 36, v[94:95]
	;; [unrolled: 1-line block ×3, first 2 shown]
	v_mad_u64_u32 v[98:99], s[0:1], v203, 36, s[2:3]
	global_load_dword v0, v[0:1], off offset:4
	s_nop 0
	global_load_dword v1, v[2:3], off offset:4
	s_nop 0
	global_load_dword v2, v[4:5], off offset:4
	global_load_dword v3, v[6:7], off offset:4
	s_nop 0
	global_load_dword v4, v[8:9], off offset:4
	global_load_dword v5, v[98:99], off
	global_load_dword v6, v[10:11], off offset:4
	global_load_dword v7, v[12:13], off offset:4
	s_nop 0
	global_load_dword v8, v[14:15], off offset:4
	v_lshlrev_b16_sdwa v10, v202, v105 dst_sel:DWORD dst_unused:UNUSED_PAD src0_sel:DWORD src1_sel:WORD_1
	v_and_b32_sdwa v9, v105, s17 dst_sel:DWORD dst_unused:UNUSED_PAD src0_sel:WORD_1 src1_sel:DWORD
	v_add_u16_e32 v10, 0xe000, v10
	v_or_b32_sdwa v9, v9, v10 dst_sel:DWORD dst_unused:UNUSED_PAD src0_sel:DWORD src1_sel:BYTE_1
	v_add_u16_sdwa v9, v9, s18 dst_sel:WORD_1 dst_unused:UNUSED_PAD src0_sel:DWORD src1_sel:DWORD
	v_or_b32_e32 v9, v106, v9
	s_waitcnt vmcnt(14)
	v_ashrrev_i32_e32 v11, v75, v101
	ds_write2_b32 v76, v104, v9 offset1:16
	v_and_b32_e32 v9, 0xf0f0f0f, v100
	v_lshlrev_b32_e32 v12, 4, v11
	v_and_or_b32 v9, v12, s16, v9
	v_lshlrev_b16_e32 v13, 8, v9
	v_and_b32_e32 v12, 0x3f00, v9
	v_add_u16_e32 v13, 0xe000, v13
	v_or_b32_sdwa v12, v12, v13 dst_sel:DWORD dst_unused:UNUSED_PAD src0_sel:DWORD src1_sel:BYTE_1
	v_and_b32_sdwa v13, v9, s17 dst_sel:DWORD dst_unused:UNUSED_PAD src0_sel:WORD_1 src1_sel:DWORD
	v_lshlrev_b16_sdwa v9, v202, v9 dst_sel:DWORD dst_unused:UNUSED_PAD src0_sel:DWORD src1_sel:WORD_1
	v_add_u16_e32 v9, 0xe000, v9
	v_lshrrev_b32_e32 v10, 4, v100
	v_and_b32_e32 v11, 0x30303030, v11
	v_or_b32_sdwa v9, v13, v9 dst_sel:DWORD dst_unused:UNUSED_PAD src0_sel:DWORD src1_sel:BYTE_1
	v_add_u16_e32 v12, 0xe000, v12
	v_add_u16_sdwa v9, v9, s18 dst_sel:WORD_1 dst_unused:UNUSED_PAD src0_sel:DWORD src1_sel:DWORD
	v_and_or_b32 v10, v10, s11, v11
	v_or_b32_e32 v9, v12, v9
	v_lshlrev_b16_e32 v12, 8, v10
	v_and_b32_e32 v11, 0x3f00, v10
	v_add_u16_e32 v12, 0xe000, v12
	v_or_b32_sdwa v11, v11, v12 dst_sel:DWORD dst_unused:UNUSED_PAD src0_sel:DWORD src1_sel:BYTE_1
	v_and_b32_sdwa v12, v10, s17 dst_sel:DWORD dst_unused:UNUSED_PAD src0_sel:WORD_1 src1_sel:DWORD
	v_lshlrev_b16_sdwa v10, v202, v10 dst_sel:DWORD dst_unused:UNUSED_PAD src0_sel:DWORD src1_sel:WORD_1
	v_add_u16_e32 v10, 0xe000, v10
	v_or_b32_sdwa v10, v12, v10 dst_sel:DWORD dst_unused:UNUSED_PAD src0_sel:DWORD src1_sel:BYTE_1
	v_add_u16_e32 v11, 0xe000, v11
	v_add_u16_sdwa v10, v10, s18 dst_sel:WORD_1 dst_unused:UNUSED_PAD src0_sel:DWORD src1_sel:DWORD
	v_or_b32_e32 v10, v11, v10
	s_waitcnt vmcnt(12)
	v_ashrrev_i32_e32 v11, v75, v103
	ds_write2_b32 v80, v9, v10 offset1:16
	v_and_b32_e32 v9, 0xf0f0f0f, v102
	v_lshlrev_b32_e32 v12, 4, v11
	v_and_or_b32 v9, v12, s16, v9
	v_lshlrev_b16_e32 v13, 8, v9
	v_and_b32_e32 v12, 0x3f00, v9
	v_add_u16_e32 v13, 0xe000, v13
	v_or_b32_sdwa v12, v12, v13 dst_sel:DWORD dst_unused:UNUSED_PAD src0_sel:DWORD src1_sel:BYTE_1
	v_and_b32_sdwa v13, v9, s17 dst_sel:DWORD dst_unused:UNUSED_PAD src0_sel:WORD_1 src1_sel:DWORD
	v_lshlrev_b16_sdwa v9, v202, v9 dst_sel:DWORD dst_unused:UNUSED_PAD src0_sel:DWORD src1_sel:WORD_1
	v_add_u16_e32 v9, 0xe000, v9
	v_lshrrev_b32_e32 v10, 4, v102
	v_and_b32_e32 v11, 0x30303030, v11
	v_or_b32_sdwa v9, v13, v9 dst_sel:DWORD dst_unused:UNUSED_PAD src0_sel:DWORD src1_sel:BYTE_1
	v_add_u16_e32 v12, 0xe000, v12
	v_add_u16_sdwa v9, v9, s18 dst_sel:WORD_1 dst_unused:UNUSED_PAD src0_sel:DWORD src1_sel:DWORD
	v_and_or_b32 v10, v10, s11, v11
	v_or_b32_e32 v9, v12, v9
	v_lshlrev_b16_e32 v12, 8, v10
	v_and_b32_e32 v11, 0x3f00, v10
	v_add_u16_e32 v12, 0xe000, v12
	v_or_b32_sdwa v11, v11, v12 dst_sel:DWORD dst_unused:UNUSED_PAD src0_sel:DWORD src1_sel:BYTE_1
	v_and_b32_sdwa v12, v10, s17 dst_sel:DWORD dst_unused:UNUSED_PAD src0_sel:WORD_1 src1_sel:DWORD
	v_lshlrev_b16_sdwa v10, v202, v10 dst_sel:DWORD dst_unused:UNUSED_PAD src0_sel:DWORD src1_sel:WORD_1
	v_add_u16_e32 v10, 0xe000, v10
	v_or_b32_sdwa v10, v12, v10 dst_sel:DWORD dst_unused:UNUSED_PAD src0_sel:DWORD src1_sel:BYTE_1
	s_waitcnt vmcnt(11)
	v_cvt_f32_f16_e32 v12, v107
	v_add_u16_e32 v11, 0xe000, v11
	v_add_u16_sdwa v10, v10, s18 dst_sel:WORD_1 dst_unused:UNUSED_PAD src0_sel:DWORD src1_sel:DWORD
	v_or_b32_e32 v10, v11, v10
	ds_write2_b32 v84, v9, v10 offset1:16
	ds_write_b32 v85, v12
	s_waitcnt vmcnt(10)
	ds_write_b32 v200, v108
	s_waitcnt vmcnt(9)
	;; [unrolled: 2-line block ×8, first 2 shown]
	v_cvt_f32_f16_e32 v0, v5
	s_waitcnt vmcnt(2)
	ds_write_b32 v180, v6
	s_waitcnt vmcnt(1)
	ds_write_b32 v183, v7
	s_waitcnt vmcnt(0)
	ds_write_b32 v186, v8
	ds_write_b32 v93, v0
	s_waitcnt lgkmcnt(0)
	s_barrier
	ds_read_b32 v204, v187
	ds_read_b32 v205, v189 offset:128
	ds_read_b32 v206, v190 offset:256
	;; [unrolled: 1-line block ×3, first 2 shown]
	s_mov_b64 s[0:1], -1
.LBB136_6:                              ;   Parent Loop BB136_5 Depth=1
                                        ; =>  This Inner Loop Header: Depth=2
	s_lshl_b32 s20, s21, 1
	v_or_b32_e32 v0, s20, v83
	v_lshlrev_b32_e32 v12, 2, v0
	s_lshr_b32 s22, s21, 1
	s_lshl_b32 s21, s21, 3
	v_lshrrev_b32_e32 v98, 1, v0
	ds_read_b128 v[0:3], v12 offset:33280
	ds_read_b128 v[4:7], v12 offset:33296
	;; [unrolled: 1-line block ×4, first 2 shown]
	ds_read_b64 v[162:163], v98 offset:43584
	v_add_u32_e32 v106, s22, v192
	v_add_u32_e32 v107, s21, v193
	ds_read2_b32 v[102:103], v107 offset0:6 offset1:7
	ds_read2_b32 v[104:105], v107 offset0:4 offset1:5
	;; [unrolled: 1-line block ×3, first 2 shown]
	ds_read2_b32 v[100:101], v107 offset1:1
	ds_read_b32 v108, v106
	ds_read2_b32 v[158:159], v107 offset0:14 offset1:15
	ds_read2_b32 v[160:161], v107 offset0:12 offset1:13
	v_mov_b32_e32 v106, 0
	ds_read2_b32 v[114:115], v107 offset0:10 offset1:11
	ds_read2_b32 v[116:117], v107 offset0:8 offset1:9
	s_waitcnt lgkmcnt(7)
	v_dot4c_i32_i8_e32 v106, v104, v4
	v_mov_b32_e32 v107, 0
	v_dot4c_i32_i8_e32 v106, v105, v5
	s_waitcnt lgkmcnt(5)
	v_dot4c_i32_i8_e32 v107, v100, v0
	v_dot4c_i32_i8_e32 v106, v102, v6
	;; [unrolled: 1-line block ×4, first 2 shown]
	s_waitcnt lgkmcnt(4)
	v_bfe_i32 v208, v108, 8, 8
	v_dot4c_i32_i8_e32 v107, v98, v2
	v_dot4c_i32_i8_e32 v107, v99, v3
	v_mul_lo_u32 v106, v106, v208
	v_bfe_i32 v209, v108, 0, 8
	v_mov_b32_e32 v109, 0
	v_mad_u64_u32 v[106:107], s[24:25], v107, v209, v[106:107]
	s_waitcnt lgkmcnt(2)
	v_dot4c_i32_i8_e32 v109, v160, v12
	v_mov_b32_e32 v110, 0
	v_cvt_f32_i32_e32 v106, v106
	v_dot4c_i32_i8_e32 v109, v161, v13
	s_waitcnt lgkmcnt(0)
	v_dot4c_i32_i8_e32 v110, v116, v8
	v_dot4c_i32_i8_e32 v109, v158, v14
	;; [unrolled: 1-line block ×5, first 2 shown]
	v_ashrrev_i32_e32 v211, 24, v108
	v_dot4c_i32_i8_e32 v110, v115, v11
	v_fma_f32 v111, v162, v106, 0
	v_bfe_i32 v210, v108, 16, 8
	v_mul_lo_u32 v106, v109, v211
	v_mad_u64_u32 v[106:107], s[24:25], v110, v210, v[106:107]
	v_cvt_f32_i32_e32 v106, v106
	v_add_u32_e32 v118, s22, v194
	v_add_u32_e32 v122, s21, v195
	v_mov_b32_e32 v123, 0
	v_fmac_f32_e32 v111, v163, v106
	v_fmac_f32_e32 v91, v204, v111
	ds_read2_b32 v[110:111], v122 offset0:6 offset1:7
	ds_read2_b32 v[112:113], v122 offset0:4 offset1:5
	ds_read2_b32 v[106:107], v122 offset0:2 offset1:3
	ds_read2_b32 v[108:109], v122 offset1:1
	ds_read_b32 v124, v118
	ds_read2_b32 v[118:119], v122 offset0:14 offset1:15
	ds_read2_b32 v[120:121], v122 offset0:12 offset1:13
	;; [unrolled: 1-line block ×4, first 2 shown]
	v_mov_b32_e32 v122, 0
	s_waitcnt lgkmcnt(7)
	v_dot4c_i32_i8_e32 v122, v112, v4
	v_dot4c_i32_i8_e32 v122, v113, v5
	s_waitcnt lgkmcnt(5)
	v_dot4c_i32_i8_e32 v123, v108, v0
	v_dot4c_i32_i8_e32 v122, v110, v6
	;; [unrolled: 1-line block ×4, first 2 shown]
	s_waitcnt lgkmcnt(4)
	v_bfe_i32 v212, v124, 8, 8
	v_dot4c_i32_i8_e32 v123, v106, v2
	v_dot4c_i32_i8_e32 v123, v107, v3
	v_mul_lo_u32 v122, v122, v212
	v_bfe_i32 v213, v124, 0, 8
	v_mov_b32_e32 v125, 0
	v_mad_u64_u32 v[122:123], s[24:25], v123, v213, v[122:123]
	s_waitcnt lgkmcnt(2)
	v_dot4c_i32_i8_e32 v125, v120, v12
	v_mov_b32_e32 v126, 0
	v_cvt_f32_i32_e32 v122, v122
	v_dot4c_i32_i8_e32 v125, v121, v13
	s_waitcnt lgkmcnt(0)
	v_dot4c_i32_i8_e32 v126, v136, v8
	v_dot4c_i32_i8_e32 v125, v118, v14
	;; [unrolled: 1-line block ×5, first 2 shown]
	v_ashrrev_i32_e32 v215, 24, v124
	v_dot4c_i32_i8_e32 v126, v133, v11
	v_fma_f32 v127, v162, v122, 0
	v_bfe_i32 v214, v124, 16, 8
	v_mul_lo_u32 v122, v125, v215
	v_mad_u64_u32 v[122:123], s[24:25], v126, v214, v[122:123]
	v_cvt_f32_i32_e32 v122, v122
	v_add_u32_e32 v130, s22, v196
	v_add_u32_e32 v131, s21, v197
	v_mov_b32_e32 v135, 0
	v_fmac_f32_e32 v127, v163, v122
	v_fmac_f32_e32 v89, v205, v127
	ds_read2_b32 v[126:127], v131 offset0:6 offset1:7
	ds_read2_b32 v[128:129], v131 offset0:4 offset1:5
	ds_read2_b32 v[122:123], v131 offset0:2 offset1:3
	ds_read2_b32 v[124:125], v131 offset1:1
	ds_read_b32 v134, v130
	ds_read2_b32 v[138:139], v131 offset0:14 offset1:15
	ds_read2_b32 v[140:141], v131 offset0:12 offset1:13
	v_mov_b32_e32 v130, 0
	ds_read2_b32 v[148:149], v131 offset0:10 offset1:11
	ds_read2_b32 v[152:153], v131 offset0:8 offset1:9
	s_waitcnt lgkmcnt(7)
	v_dot4c_i32_i8_e32 v130, v128, v4
	v_mov_b32_e32 v131, 0
	v_dot4c_i32_i8_e32 v130, v129, v5
	s_waitcnt lgkmcnt(5)
	v_dot4c_i32_i8_e32 v131, v124, v0
	v_dot4c_i32_i8_e32 v130, v126, v6
	;; [unrolled: 1-line block ×4, first 2 shown]
	s_waitcnt lgkmcnt(4)
	v_bfe_i32 v216, v134, 8, 8
	v_dot4c_i32_i8_e32 v131, v122, v2
	v_dot4c_i32_i8_e32 v131, v123, v3
	v_mul_lo_u32 v130, v130, v216
	v_bfe_i32 v217, v134, 0, 8
	s_waitcnt lgkmcnt(2)
	v_dot4c_i32_i8_e32 v135, v140, v12
	v_mad_u64_u32 v[130:131], s[24:25], v131, v217, v[130:131]
	v_mov_b32_e32 v142, 0
	v_cvt_f32_i32_e32 v130, v130
	v_dot4c_i32_i8_e32 v135, v141, v13
	s_waitcnt lgkmcnt(0)
	v_dot4c_i32_i8_e32 v142, v152, v8
	v_dot4c_i32_i8_e32 v135, v138, v14
	;; [unrolled: 1-line block ×5, first 2 shown]
	v_ashrrev_i32_e32 v219, 24, v134
	v_dot4c_i32_i8_e32 v142, v149, v11
	v_fma_f32 v143, v162, v130, 0
	v_bfe_i32 v218, v134, 16, 8
	v_mul_lo_u32 v130, v135, v219
	v_mad_u64_u32 v[130:131], s[24:25], v142, v218, v[130:131]
	v_cvt_f32_i32_e32 v130, v130
	v_add_u32_e32 v146, s22, v198
	v_add_u32_e32 v156, s21, v199
	v_mov_b32_e32 v224, 0
	v_fmac_f32_e32 v143, v163, v130
	v_fmac_f32_e32 v87, v206, v143
	ds_read2_b32 v[142:143], v156 offset0:6 offset1:7
	ds_read2_b32 v[144:145], v156 offset0:4 offset1:5
	ds_read2_b32 v[130:131], v156 offset0:2 offset1:3
	ds_read2_b32 v[134:135], v156 offset1:1
	ds_read_b32 v223, v146
	ds_read2_b32 v[146:147], v156 offset0:14 offset1:15
	ds_read2_b32 v[150:151], v156 offset0:12 offset1:13
	;; [unrolled: 1-line block ×4, first 2 shown]
	v_mov_b32_e32 v225, 0
	s_waitcnt lgkmcnt(4)
	v_bfe_i32 v220, v223, 8, 8
	v_bfe_i32 v221, v223, 0, 8
	s_waitcnt lgkmcnt(2)
	v_dot4c_i32_i8_e32 v224, v150, v12
	v_mov_b32_e32 v12, 0
	s_waitcnt lgkmcnt(0)
	v_dot4c_i32_i8_e32 v12, v156, v8
	v_mov_b32_e32 v8, 0
	v_dot4c_i32_i8_e32 v8, v144, v4
	v_dot4c_i32_i8_e32 v8, v145, v5
	v_mov_b32_e32 v5, 0
	v_dot4c_i32_i8_e32 v5, v134, v0
	v_dot4c_i32_i8_e32 v8, v142, v6
	v_dot4c_i32_i8_e32 v5, v135, v1
	v_dot4c_i32_i8_e32 v8, v143, v7
	v_dot4c_i32_i8_e32 v5, v130, v2
	v_dot4c_i32_i8_e32 v5, v131, v3
	v_dot4c_i32_i8_e32 v224, v151, v13
	v_mul_lo_u32 v4, v8, v220
	v_dot4c_i32_i8_e32 v224, v146, v14
	v_mad_u64_u32 v[0:1], s[22:23], v5, v221, v[4:5]
	v_cvt_f32_i32_e32 v0, v0
	v_dot4c_i32_i8_e32 v12, v157, v9
	v_dot4c_i32_i8_e32 v224, v147, v15
	;; [unrolled: 1-line block ×3, first 2 shown]
	v_bfe_i32 v222, v223, 16, 8
	v_ashrrev_i32_e32 v223, 24, v223
	v_dot4c_i32_i8_e32 v12, v155, v11
	v_fma_f32 v2, v162, v0, 0
	v_mul_lo_u32 v0, v224, v223
	v_mov_b32_e32 v224, 0
	v_mad_u64_u32 v[0:1], s[22:23], v12, v222, v[0:1]
	v_cvt_f32_i32_e32 v0, v0
	v_mov_b32_e32 v226, 0
	v_mov_b32_e32 v227, 0
	s_and_b64 vcc, exec, s[0:1]
	v_fmac_f32_e32 v2, v163, v0
	v_or_b32_e32 v0, s20, v167
	v_lshlrev_b32_e32 v12, 2, v0
	v_lshrrev_b32_e32 v162, 1, v0
	v_fmac_f32_e32 v81, v207, v2
	ds_read_b128 v[0:3], v12 offset:33280
	ds_read_b128 v[4:7], v12 offset:33296
	;; [unrolled: 1-line block ×4, first 2 shown]
	ds_read_b64 v[162:163], v162 offset:43584
	s_waitcnt lgkmcnt(4)
	v_dot4c_i32_i8_e32 v225, v100, v0
	s_waitcnt lgkmcnt(3)
	v_dot4c_i32_i8_e32 v224, v104, v4
	v_dot4c_i32_i8_e32 v224, v105, v5
	;; [unrolled: 1-line block ×7, first 2 shown]
	s_waitcnt lgkmcnt(1)
	v_dot4c_i32_i8_e32 v226, v160, v12
	v_mul_lo_u32 v224, v224, v208
	v_dot4c_i32_i8_e32 v226, v161, v13
	v_mad_u64_u32 v[224:225], s[22:23], v225, v209, v[224:225]
	v_cvt_f32_i32_e32 v224, v224
	v_dot4c_i32_i8_e32 v227, v116, v8
	v_dot4c_i32_i8_e32 v226, v158, v14
	;; [unrolled: 1-line block ×6, first 2 shown]
	s_waitcnt lgkmcnt(0)
	v_fma_f32 v228, v162, v224, 0
	v_mul_lo_u32 v224, v226, v211
	v_mov_b32_e32 v226, 0
	v_mad_u64_u32 v[224:225], s[22:23], v227, v210, v[224:225]
	v_cvt_f32_i32_e32 v224, v224
	v_mov_b32_e32 v225, 0
	v_dot4c_i32_i8_e32 v225, v108, v0
	v_dot4c_i32_i8_e32 v225, v109, v1
	v_fmac_f32_e32 v228, v163, v224
	v_mov_b32_e32 v224, 0
	v_dot4c_i32_i8_e32 v224, v112, v4
	v_dot4c_i32_i8_e32 v224, v113, v5
	;; [unrolled: 1-line block ×7, first 2 shown]
	v_mul_lo_u32 v224, v224, v212
	v_mov_b32_e32 v227, 0
	v_mad_u64_u32 v[224:225], s[22:23], v225, v213, v[224:225]
	v_cvt_f32_i32_e32 v224, v224
	v_dot4c_i32_i8_e32 v226, v121, v13
	v_dot4c_i32_i8_e32 v227, v136, v8
	;; [unrolled: 1-line block ×6, first 2 shown]
	v_fmac_f32_e32 v79, v204, v228
	v_dot4c_i32_i8_e32 v227, v133, v11
	v_fma_f32 v228, v162, v224, 0
	v_mul_lo_u32 v224, v226, v215
	v_mov_b32_e32 v226, 0
	v_mad_u64_u32 v[224:225], s[22:23], v227, v214, v[224:225]
	v_cvt_f32_i32_e32 v224, v224
	v_mov_b32_e32 v225, 0
	v_dot4c_i32_i8_e32 v225, v124, v0
	v_dot4c_i32_i8_e32 v225, v125, v1
	v_fmac_f32_e32 v228, v163, v224
	v_mov_b32_e32 v224, 0
	v_dot4c_i32_i8_e32 v224, v128, v4
	v_dot4c_i32_i8_e32 v224, v129, v5
	;; [unrolled: 1-line block ×7, first 2 shown]
	v_mul_lo_u32 v224, v224, v216
	v_mov_b32_e32 v227, 0
	v_mad_u64_u32 v[224:225], s[22:23], v225, v217, v[224:225]
	v_cvt_f32_i32_e32 v224, v224
	v_dot4c_i32_i8_e32 v226, v141, v13
	v_dot4c_i32_i8_e32 v227, v152, v8
	;; [unrolled: 1-line block ×6, first 2 shown]
	v_fmac_f32_e32 v77, v205, v228
	v_dot4c_i32_i8_e32 v227, v149, v11
	v_fma_f32 v228, v162, v224, 0
	v_mul_lo_u32 v224, v226, v219
	v_mov_b32_e32 v226, 0
	v_mad_u64_u32 v[224:225], s[22:23], v227, v218, v[224:225]
	v_cvt_f32_i32_e32 v224, v224
	v_mov_b32_e32 v225, 0
	v_mov_b32_e32 v227, 0
	s_mov_b64 s[0:1], 0
	v_fmac_f32_e32 v228, v163, v224
	v_mov_b32_e32 v224, 0
	v_dot4c_i32_i8_e32 v224, v150, v12
	v_mov_b32_e32 v12, 0
	v_dot4c_i32_i8_e32 v12, v156, v8
	;; [unrolled: 2-line block ×3, first 2 shown]
	v_dot4c_i32_i8_e32 v8, v145, v5
	v_mov_b32_e32 v5, 0
	v_dot4c_i32_i8_e32 v5, v134, v0
	v_dot4c_i32_i8_e32 v8, v142, v6
	;; [unrolled: 1-line block ×7, first 2 shown]
	v_mul_lo_u32 v4, v8, v220
	v_dot4c_i32_i8_e32 v224, v146, v14
	v_mad_u64_u32 v[0:1], s[22:23], v5, v221, v[4:5]
	v_cvt_f32_i32_e32 v0, v0
	v_dot4c_i32_i8_e32 v12, v157, v9
	v_dot4c_i32_i8_e32 v224, v147, v15
	v_dot4c_i32_i8_e32 v12, v154, v10
	v_dot4c_i32_i8_e32 v12, v155, v11
	v_fma_f32 v2, v162, v0, 0
	v_mul_lo_u32 v0, v224, v223
	v_mov_b32_e32 v224, 0
	v_mad_u64_u32 v[0:1], s[22:23], v12, v222, v[0:1]
	v_cvt_f32_i32_e32 v0, v0
	v_fmac_f32_e32 v73, v206, v228
	v_fmac_f32_e32 v2, v163, v0
	v_or_b32_e32 v0, s20, v170
	v_lshlrev_b32_e32 v12, 2, v0
	v_lshrrev_b32_e32 v162, 1, v0
	v_fmac_f32_e32 v71, v207, v2
	ds_read_b128 v[0:3], v12 offset:33280
	ds_read_b128 v[4:7], v12 offset:33296
	;; [unrolled: 1-line block ×4, first 2 shown]
	ds_read_b64 v[162:163], v162 offset:43584
	s_waitcnt lgkmcnt(4)
	v_dot4c_i32_i8_e32 v225, v100, v0
	s_waitcnt lgkmcnt(3)
	v_dot4c_i32_i8_e32 v224, v104, v4
	v_dot4c_i32_i8_e32 v224, v105, v5
	;; [unrolled: 1-line block ×7, first 2 shown]
	s_waitcnt lgkmcnt(1)
	v_dot4c_i32_i8_e32 v226, v160, v12
	v_mul_lo_u32 v224, v224, v208
	v_dot4c_i32_i8_e32 v226, v161, v13
	v_mad_u64_u32 v[224:225], s[22:23], v225, v209, v[224:225]
	v_cvt_f32_i32_e32 v224, v224
	v_dot4c_i32_i8_e32 v227, v116, v8
	v_dot4c_i32_i8_e32 v226, v158, v14
	;; [unrolled: 1-line block ×6, first 2 shown]
	s_waitcnt lgkmcnt(0)
	v_fma_f32 v228, v162, v224, 0
	v_mul_lo_u32 v224, v226, v211
	v_mov_b32_e32 v226, 0
	v_mad_u64_u32 v[224:225], s[22:23], v227, v210, v[224:225]
	v_cvt_f32_i32_e32 v224, v224
	v_mov_b32_e32 v225, 0
	v_dot4c_i32_i8_e32 v225, v108, v0
	v_dot4c_i32_i8_e32 v225, v109, v1
	v_fmac_f32_e32 v228, v163, v224
	v_mov_b32_e32 v224, 0
	v_dot4c_i32_i8_e32 v224, v112, v4
	v_dot4c_i32_i8_e32 v224, v113, v5
	;; [unrolled: 1-line block ×7, first 2 shown]
	v_mul_lo_u32 v224, v224, v212
	v_mov_b32_e32 v227, 0
	v_mad_u64_u32 v[224:225], s[22:23], v225, v213, v[224:225]
	v_cvt_f32_i32_e32 v224, v224
	v_dot4c_i32_i8_e32 v226, v121, v13
	v_dot4c_i32_i8_e32 v227, v136, v8
	;; [unrolled: 1-line block ×6, first 2 shown]
	v_fmac_f32_e32 v67, v204, v228
	v_dot4c_i32_i8_e32 v227, v133, v11
	v_fma_f32 v228, v162, v224, 0
	v_mul_lo_u32 v224, v226, v215
	v_mov_b32_e32 v226, 0
	v_mad_u64_u32 v[224:225], s[22:23], v227, v214, v[224:225]
	v_cvt_f32_i32_e32 v224, v224
	v_mov_b32_e32 v225, 0
	v_dot4c_i32_i8_e32 v225, v124, v0
	v_dot4c_i32_i8_e32 v225, v125, v1
	v_fmac_f32_e32 v228, v163, v224
	v_mov_b32_e32 v224, 0
	v_dot4c_i32_i8_e32 v224, v128, v4
	v_dot4c_i32_i8_e32 v224, v129, v5
	;; [unrolled: 1-line block ×7, first 2 shown]
	v_mul_lo_u32 v224, v224, v216
	v_mov_b32_e32 v227, 0
	v_mad_u64_u32 v[224:225], s[22:23], v225, v217, v[224:225]
	v_cvt_f32_i32_e32 v224, v224
	v_dot4c_i32_i8_e32 v226, v141, v13
	v_dot4c_i32_i8_e32 v227, v152, v8
	;; [unrolled: 1-line block ×6, first 2 shown]
	v_fmac_f32_e32 v65, v205, v228
	v_dot4c_i32_i8_e32 v227, v149, v11
	v_fma_f32 v228, v162, v224, 0
	v_mul_lo_u32 v224, v226, v219
	v_mov_b32_e32 v226, 0
	v_mad_u64_u32 v[224:225], s[22:23], v227, v218, v[224:225]
	v_cvt_f32_i32_e32 v224, v224
	v_mov_b32_e32 v225, 0
	v_mov_b32_e32 v227, 0
	v_fmac_f32_e32 v228, v163, v224
	v_mov_b32_e32 v224, 0
	v_dot4c_i32_i8_e32 v224, v150, v12
	v_mov_b32_e32 v12, 0
	v_dot4c_i32_i8_e32 v12, v156, v8
	;; [unrolled: 2-line block ×3, first 2 shown]
	v_dot4c_i32_i8_e32 v8, v145, v5
	v_mov_b32_e32 v5, 0
	v_dot4c_i32_i8_e32 v5, v134, v0
	v_dot4c_i32_i8_e32 v8, v142, v6
	;; [unrolled: 1-line block ×7, first 2 shown]
	v_mul_lo_u32 v4, v8, v220
	v_dot4c_i32_i8_e32 v224, v146, v14
	v_mad_u64_u32 v[0:1], s[22:23], v5, v221, v[4:5]
	v_cvt_f32_i32_e32 v0, v0
	v_dot4c_i32_i8_e32 v12, v157, v9
	v_dot4c_i32_i8_e32 v224, v147, v15
	;; [unrolled: 1-line block ×4, first 2 shown]
	v_fma_f32 v2, v162, v0, 0
	v_mul_lo_u32 v0, v224, v223
	v_mov_b32_e32 v224, 0
	v_mad_u64_u32 v[0:1], s[22:23], v12, v222, v[0:1]
	v_cvt_f32_i32_e32 v0, v0
	v_fmac_f32_e32 v63, v206, v228
	v_fmac_f32_e32 v2, v163, v0
	v_or_b32_e32 v0, s20, v173
	v_lshlrev_b32_e32 v12, 2, v0
	v_lshrrev_b32_e32 v162, 1, v0
	v_fmac_f32_e32 v61, v207, v2
	ds_read_b128 v[0:3], v12 offset:33280
	ds_read_b128 v[4:7], v12 offset:33296
	;; [unrolled: 1-line block ×4, first 2 shown]
	ds_read_b64 v[162:163], v162 offset:43584
	s_waitcnt lgkmcnt(4)
	v_dot4c_i32_i8_e32 v225, v100, v0
	s_waitcnt lgkmcnt(3)
	v_dot4c_i32_i8_e32 v224, v104, v4
	v_dot4c_i32_i8_e32 v224, v105, v5
	;; [unrolled: 1-line block ×7, first 2 shown]
	s_waitcnt lgkmcnt(1)
	v_dot4c_i32_i8_e32 v226, v160, v12
	v_mul_lo_u32 v224, v224, v208
	v_dot4c_i32_i8_e32 v226, v161, v13
	v_mad_u64_u32 v[224:225], s[22:23], v225, v209, v[224:225]
	v_cvt_f32_i32_e32 v224, v224
	v_dot4c_i32_i8_e32 v227, v116, v8
	v_dot4c_i32_i8_e32 v226, v158, v14
	;; [unrolled: 1-line block ×6, first 2 shown]
	s_waitcnt lgkmcnt(0)
	v_fma_f32 v228, v162, v224, 0
	v_mul_lo_u32 v224, v226, v211
	v_mov_b32_e32 v226, 0
	v_mad_u64_u32 v[224:225], s[22:23], v227, v210, v[224:225]
	v_cvt_f32_i32_e32 v224, v224
	v_mov_b32_e32 v225, 0
	v_dot4c_i32_i8_e32 v225, v108, v0
	v_dot4c_i32_i8_e32 v225, v109, v1
	v_fmac_f32_e32 v228, v163, v224
	v_mov_b32_e32 v224, 0
	v_dot4c_i32_i8_e32 v224, v112, v4
	v_dot4c_i32_i8_e32 v224, v113, v5
	;; [unrolled: 1-line block ×7, first 2 shown]
	v_mul_lo_u32 v224, v224, v212
	v_mov_b32_e32 v227, 0
	v_mad_u64_u32 v[224:225], s[22:23], v225, v213, v[224:225]
	v_cvt_f32_i32_e32 v224, v224
	v_dot4c_i32_i8_e32 v226, v121, v13
	v_dot4c_i32_i8_e32 v227, v136, v8
	;; [unrolled: 1-line block ×6, first 2 shown]
	v_fmac_f32_e32 v57, v204, v228
	v_dot4c_i32_i8_e32 v227, v133, v11
	v_fma_f32 v228, v162, v224, 0
	v_mul_lo_u32 v224, v226, v215
	v_mov_b32_e32 v226, 0
	v_mad_u64_u32 v[224:225], s[22:23], v227, v214, v[224:225]
	v_cvt_f32_i32_e32 v224, v224
	v_mov_b32_e32 v225, 0
	v_dot4c_i32_i8_e32 v225, v124, v0
	v_dot4c_i32_i8_e32 v225, v125, v1
	v_fmac_f32_e32 v228, v163, v224
	v_mov_b32_e32 v224, 0
	v_dot4c_i32_i8_e32 v224, v128, v4
	v_dot4c_i32_i8_e32 v224, v129, v5
	;; [unrolled: 1-line block ×7, first 2 shown]
	v_mul_lo_u32 v224, v224, v216
	v_mov_b32_e32 v227, 0
	v_mad_u64_u32 v[224:225], s[22:23], v225, v217, v[224:225]
	v_cvt_f32_i32_e32 v224, v224
	v_dot4c_i32_i8_e32 v226, v141, v13
	v_dot4c_i32_i8_e32 v227, v152, v8
	;; [unrolled: 1-line block ×6, first 2 shown]
	v_fmac_f32_e32 v53, v205, v228
	v_dot4c_i32_i8_e32 v227, v149, v11
	v_fma_f32 v228, v162, v224, 0
	v_mul_lo_u32 v224, v226, v219
	v_mov_b32_e32 v226, 0
	v_mad_u64_u32 v[224:225], s[22:23], v227, v218, v[224:225]
	v_cvt_f32_i32_e32 v224, v224
	v_mov_b32_e32 v225, 0
	v_mov_b32_e32 v227, 0
	v_fmac_f32_e32 v228, v163, v224
	v_mov_b32_e32 v224, 0
	v_dot4c_i32_i8_e32 v224, v150, v12
	v_mov_b32_e32 v12, 0
	v_dot4c_i32_i8_e32 v12, v156, v8
	;; [unrolled: 2-line block ×3, first 2 shown]
	v_dot4c_i32_i8_e32 v8, v145, v5
	v_mov_b32_e32 v5, 0
	v_dot4c_i32_i8_e32 v5, v134, v0
	v_dot4c_i32_i8_e32 v8, v142, v6
	;; [unrolled: 1-line block ×7, first 2 shown]
	v_mul_lo_u32 v4, v8, v220
	v_dot4c_i32_i8_e32 v224, v146, v14
	v_mad_u64_u32 v[0:1], s[22:23], v5, v221, v[4:5]
	v_cvt_f32_i32_e32 v0, v0
	v_dot4c_i32_i8_e32 v12, v157, v9
	v_dot4c_i32_i8_e32 v224, v147, v15
	;; [unrolled: 1-line block ×4, first 2 shown]
	v_fma_f32 v2, v162, v0, 0
	v_mul_lo_u32 v0, v224, v223
	v_mov_b32_e32 v224, 0
	v_mad_u64_u32 v[0:1], s[22:23], v12, v222, v[0:1]
	v_cvt_f32_i32_e32 v0, v0
	v_fmac_f32_e32 v51, v206, v228
	v_fmac_f32_e32 v2, v163, v0
	v_or_b32_e32 v0, s20, v176
	v_lshlrev_b32_e32 v12, 2, v0
	v_lshrrev_b32_e32 v162, 1, v0
	v_fmac_f32_e32 v49, v207, v2
	ds_read_b128 v[0:3], v12 offset:33280
	ds_read_b128 v[4:7], v12 offset:33296
	;; [unrolled: 1-line block ×4, first 2 shown]
	ds_read_b64 v[162:163], v162 offset:43584
	s_waitcnt lgkmcnt(4)
	v_dot4c_i32_i8_e32 v225, v100, v0
	s_waitcnt lgkmcnt(3)
	v_dot4c_i32_i8_e32 v224, v104, v4
	v_dot4c_i32_i8_e32 v224, v105, v5
	;; [unrolled: 1-line block ×7, first 2 shown]
	s_waitcnt lgkmcnt(1)
	v_dot4c_i32_i8_e32 v226, v160, v12
	v_mul_lo_u32 v224, v224, v208
	v_dot4c_i32_i8_e32 v226, v161, v13
	v_mad_u64_u32 v[224:225], s[22:23], v225, v209, v[224:225]
	v_cvt_f32_i32_e32 v224, v224
	v_dot4c_i32_i8_e32 v227, v116, v8
	v_dot4c_i32_i8_e32 v226, v158, v14
	;; [unrolled: 1-line block ×6, first 2 shown]
	s_waitcnt lgkmcnt(0)
	v_fma_f32 v228, v162, v224, 0
	v_mul_lo_u32 v224, v226, v211
	v_mov_b32_e32 v226, 0
	v_mad_u64_u32 v[224:225], s[22:23], v227, v210, v[224:225]
	v_cvt_f32_i32_e32 v224, v224
	v_mov_b32_e32 v225, 0
	v_dot4c_i32_i8_e32 v225, v108, v0
	v_dot4c_i32_i8_e32 v225, v109, v1
	v_fmac_f32_e32 v228, v163, v224
	v_mov_b32_e32 v224, 0
	v_dot4c_i32_i8_e32 v224, v112, v4
	v_dot4c_i32_i8_e32 v224, v113, v5
	;; [unrolled: 1-line block ×7, first 2 shown]
	v_mul_lo_u32 v224, v224, v212
	v_mov_b32_e32 v227, 0
	v_mad_u64_u32 v[224:225], s[22:23], v225, v213, v[224:225]
	v_cvt_f32_i32_e32 v224, v224
	v_dot4c_i32_i8_e32 v226, v121, v13
	v_dot4c_i32_i8_e32 v227, v136, v8
	;; [unrolled: 1-line block ×6, first 2 shown]
	v_fmac_f32_e32 v47, v204, v228
	v_dot4c_i32_i8_e32 v227, v133, v11
	v_fma_f32 v228, v162, v224, 0
	v_mul_lo_u32 v224, v226, v215
	v_mov_b32_e32 v226, 0
	v_mad_u64_u32 v[224:225], s[22:23], v227, v214, v[224:225]
	v_cvt_f32_i32_e32 v224, v224
	v_mov_b32_e32 v225, 0
	v_dot4c_i32_i8_e32 v225, v124, v0
	v_dot4c_i32_i8_e32 v225, v125, v1
	v_fmac_f32_e32 v228, v163, v224
	v_mov_b32_e32 v224, 0
	v_dot4c_i32_i8_e32 v224, v128, v4
	v_dot4c_i32_i8_e32 v224, v129, v5
	;; [unrolled: 1-line block ×7, first 2 shown]
	v_mul_lo_u32 v224, v224, v216
	v_mov_b32_e32 v227, 0
	v_mad_u64_u32 v[224:225], s[22:23], v225, v217, v[224:225]
	v_cvt_f32_i32_e32 v224, v224
	v_dot4c_i32_i8_e32 v226, v141, v13
	v_dot4c_i32_i8_e32 v227, v152, v8
	;; [unrolled: 1-line block ×6, first 2 shown]
	v_fmac_f32_e32 v45, v205, v228
	v_dot4c_i32_i8_e32 v227, v149, v11
	v_fma_f32 v228, v162, v224, 0
	v_mul_lo_u32 v224, v226, v219
	v_mov_b32_e32 v226, 0
	v_mad_u64_u32 v[224:225], s[22:23], v227, v218, v[224:225]
	v_cvt_f32_i32_e32 v224, v224
	v_mov_b32_e32 v225, 0
	v_mov_b32_e32 v227, 0
	v_fmac_f32_e32 v228, v163, v224
	v_mov_b32_e32 v224, 0
	v_dot4c_i32_i8_e32 v224, v150, v12
	v_mov_b32_e32 v12, 0
	v_dot4c_i32_i8_e32 v12, v156, v8
	;; [unrolled: 2-line block ×3, first 2 shown]
	v_dot4c_i32_i8_e32 v8, v145, v5
	v_mov_b32_e32 v5, 0
	v_dot4c_i32_i8_e32 v5, v134, v0
	v_dot4c_i32_i8_e32 v8, v142, v6
	;; [unrolled: 1-line block ×7, first 2 shown]
	v_mul_lo_u32 v4, v8, v220
	v_dot4c_i32_i8_e32 v224, v146, v14
	v_mad_u64_u32 v[0:1], s[22:23], v5, v221, v[4:5]
	v_cvt_f32_i32_e32 v0, v0
	v_dot4c_i32_i8_e32 v12, v157, v9
	v_dot4c_i32_i8_e32 v224, v147, v15
	;; [unrolled: 1-line block ×4, first 2 shown]
	v_fma_f32 v2, v162, v0, 0
	v_mul_lo_u32 v0, v224, v223
	v_mov_b32_e32 v224, 0
	v_mad_u64_u32 v[0:1], s[22:23], v12, v222, v[0:1]
	v_cvt_f32_i32_e32 v0, v0
	v_fmac_f32_e32 v43, v206, v228
	v_fmac_f32_e32 v2, v163, v0
	v_or_b32_e32 v0, s20, v179
	v_lshlrev_b32_e32 v12, 2, v0
	v_lshrrev_b32_e32 v162, 1, v0
	v_fmac_f32_e32 v41, v207, v2
	ds_read_b128 v[0:3], v12 offset:33280
	ds_read_b128 v[4:7], v12 offset:33296
	;; [unrolled: 1-line block ×4, first 2 shown]
	ds_read_b64 v[162:163], v162 offset:43584
	s_waitcnt lgkmcnt(4)
	v_dot4c_i32_i8_e32 v225, v100, v0
	s_waitcnt lgkmcnt(3)
	v_dot4c_i32_i8_e32 v224, v104, v4
	v_dot4c_i32_i8_e32 v224, v105, v5
	;; [unrolled: 1-line block ×7, first 2 shown]
	s_waitcnt lgkmcnt(1)
	v_dot4c_i32_i8_e32 v226, v160, v12
	v_mul_lo_u32 v224, v224, v208
	v_dot4c_i32_i8_e32 v226, v161, v13
	v_mad_u64_u32 v[224:225], s[22:23], v225, v209, v[224:225]
	v_cvt_f32_i32_e32 v224, v224
	v_dot4c_i32_i8_e32 v227, v116, v8
	v_dot4c_i32_i8_e32 v226, v158, v14
	;; [unrolled: 1-line block ×6, first 2 shown]
	s_waitcnt lgkmcnt(0)
	v_fma_f32 v228, v162, v224, 0
	v_mul_lo_u32 v224, v226, v211
	v_mov_b32_e32 v226, 0
	v_mad_u64_u32 v[224:225], s[22:23], v227, v210, v[224:225]
	v_cvt_f32_i32_e32 v224, v224
	v_mov_b32_e32 v225, 0
	v_dot4c_i32_i8_e32 v225, v108, v0
	v_dot4c_i32_i8_e32 v225, v109, v1
	v_fmac_f32_e32 v228, v163, v224
	v_mov_b32_e32 v224, 0
	v_dot4c_i32_i8_e32 v224, v112, v4
	v_dot4c_i32_i8_e32 v224, v113, v5
	;; [unrolled: 1-line block ×7, first 2 shown]
	v_mul_lo_u32 v224, v224, v212
	v_mov_b32_e32 v227, 0
	v_mad_u64_u32 v[224:225], s[22:23], v225, v213, v[224:225]
	v_cvt_f32_i32_e32 v224, v224
	v_dot4c_i32_i8_e32 v226, v121, v13
	v_dot4c_i32_i8_e32 v227, v136, v8
	;; [unrolled: 1-line block ×6, first 2 shown]
	v_fmac_f32_e32 v39, v204, v228
	v_dot4c_i32_i8_e32 v227, v133, v11
	v_fma_f32 v228, v162, v224, 0
	v_mul_lo_u32 v224, v226, v215
	v_mov_b32_e32 v226, 0
	v_mad_u64_u32 v[224:225], s[22:23], v227, v214, v[224:225]
	v_cvt_f32_i32_e32 v224, v224
	v_mov_b32_e32 v225, 0
	v_dot4c_i32_i8_e32 v225, v124, v0
	v_dot4c_i32_i8_e32 v225, v125, v1
	v_fmac_f32_e32 v228, v163, v224
	v_mov_b32_e32 v224, 0
	v_dot4c_i32_i8_e32 v224, v128, v4
	v_dot4c_i32_i8_e32 v224, v129, v5
	v_dot4c_i32_i8_e32 v224, v126, v6
	v_dot4c_i32_i8_e32 v224, v127, v7
	v_dot4c_i32_i8_e32 v225, v122, v2
	v_dot4c_i32_i8_e32 v225, v123, v3
	v_dot4c_i32_i8_e32 v226, v140, v12
	v_mul_lo_u32 v224, v224, v216
	v_mov_b32_e32 v227, 0
	v_mad_u64_u32 v[224:225], s[22:23], v225, v217, v[224:225]
	v_cvt_f32_i32_e32 v224, v224
	v_dot4c_i32_i8_e32 v226, v141, v13
	v_dot4c_i32_i8_e32 v227, v152, v8
	;; [unrolled: 1-line block ×6, first 2 shown]
	v_fmac_f32_e32 v37, v205, v228
	v_dot4c_i32_i8_e32 v227, v149, v11
	v_fma_f32 v228, v162, v224, 0
	v_mul_lo_u32 v224, v226, v219
	v_mov_b32_e32 v226, 0
	v_mad_u64_u32 v[224:225], s[22:23], v227, v218, v[224:225]
	v_cvt_f32_i32_e32 v224, v224
	v_mov_b32_e32 v225, 0
	v_mov_b32_e32 v227, 0
	v_fmac_f32_e32 v228, v163, v224
	v_mov_b32_e32 v224, 0
	v_dot4c_i32_i8_e32 v224, v150, v12
	v_mov_b32_e32 v12, 0
	v_dot4c_i32_i8_e32 v12, v156, v8
	;; [unrolled: 2-line block ×3, first 2 shown]
	v_dot4c_i32_i8_e32 v8, v145, v5
	v_mov_b32_e32 v5, 0
	v_dot4c_i32_i8_e32 v5, v134, v0
	v_dot4c_i32_i8_e32 v8, v142, v6
	;; [unrolled: 1-line block ×7, first 2 shown]
	v_mul_lo_u32 v4, v8, v220
	v_dot4c_i32_i8_e32 v224, v146, v14
	v_mad_u64_u32 v[0:1], s[22:23], v5, v221, v[4:5]
	v_cvt_f32_i32_e32 v0, v0
	v_dot4c_i32_i8_e32 v12, v157, v9
	v_dot4c_i32_i8_e32 v224, v147, v15
	;; [unrolled: 1-line block ×4, first 2 shown]
	v_fma_f32 v2, v162, v0, 0
	v_mul_lo_u32 v0, v224, v223
	v_mov_b32_e32 v224, 0
	v_mad_u64_u32 v[0:1], s[22:23], v12, v222, v[0:1]
	v_cvt_f32_i32_e32 v0, v0
	v_fmac_f32_e32 v35, v206, v228
	v_fmac_f32_e32 v2, v163, v0
	v_or_b32_e32 v0, s20, v182
	v_lshlrev_b32_e32 v12, 2, v0
	v_lshrrev_b32_e32 v162, 1, v0
	v_fmac_f32_e32 v33, v207, v2
	ds_read_b128 v[0:3], v12 offset:33280
	ds_read_b128 v[4:7], v12 offset:33296
	;; [unrolled: 1-line block ×4, first 2 shown]
	ds_read_b64 v[162:163], v162 offset:43584
	s_waitcnt lgkmcnt(4)
	v_dot4c_i32_i8_e32 v225, v100, v0
	s_waitcnt lgkmcnt(3)
	v_dot4c_i32_i8_e32 v224, v104, v4
	v_dot4c_i32_i8_e32 v224, v105, v5
	;; [unrolled: 1-line block ×7, first 2 shown]
	s_waitcnt lgkmcnt(1)
	v_dot4c_i32_i8_e32 v226, v160, v12
	v_mul_lo_u32 v224, v224, v208
	v_dot4c_i32_i8_e32 v226, v161, v13
	v_mad_u64_u32 v[224:225], s[22:23], v225, v209, v[224:225]
	v_cvt_f32_i32_e32 v224, v224
	v_dot4c_i32_i8_e32 v227, v116, v8
	v_dot4c_i32_i8_e32 v226, v158, v14
	;; [unrolled: 1-line block ×6, first 2 shown]
	s_waitcnt lgkmcnt(0)
	v_fma_f32 v228, v162, v224, 0
	v_mul_lo_u32 v224, v226, v211
	v_mov_b32_e32 v226, 0
	v_mad_u64_u32 v[224:225], s[22:23], v227, v210, v[224:225]
	v_cvt_f32_i32_e32 v224, v224
	v_mov_b32_e32 v225, 0
	v_dot4c_i32_i8_e32 v225, v108, v0
	v_dot4c_i32_i8_e32 v225, v109, v1
	v_fmac_f32_e32 v228, v163, v224
	v_mov_b32_e32 v224, 0
	v_dot4c_i32_i8_e32 v224, v112, v4
	v_dot4c_i32_i8_e32 v224, v113, v5
	;; [unrolled: 1-line block ×7, first 2 shown]
	v_mul_lo_u32 v224, v224, v212
	v_mov_b32_e32 v227, 0
	v_mad_u64_u32 v[224:225], s[22:23], v225, v213, v[224:225]
	v_cvt_f32_i32_e32 v224, v224
	v_dot4c_i32_i8_e32 v226, v121, v13
	v_dot4c_i32_i8_e32 v227, v136, v8
	;; [unrolled: 1-line block ×6, first 2 shown]
	v_fmac_f32_e32 v31, v204, v228
	v_dot4c_i32_i8_e32 v227, v133, v11
	v_fma_f32 v228, v162, v224, 0
	v_mul_lo_u32 v224, v226, v215
	v_mov_b32_e32 v226, 0
	v_mad_u64_u32 v[224:225], s[22:23], v227, v214, v[224:225]
	v_cvt_f32_i32_e32 v224, v224
	v_mov_b32_e32 v225, 0
	v_dot4c_i32_i8_e32 v225, v124, v0
	v_dot4c_i32_i8_e32 v225, v125, v1
	v_fmac_f32_e32 v228, v163, v224
	v_mov_b32_e32 v224, 0
	v_dot4c_i32_i8_e32 v224, v128, v4
	v_dot4c_i32_i8_e32 v224, v129, v5
	;; [unrolled: 1-line block ×7, first 2 shown]
	v_mul_lo_u32 v224, v224, v216
	v_mov_b32_e32 v227, 0
	v_mad_u64_u32 v[224:225], s[22:23], v225, v217, v[224:225]
	v_cvt_f32_i32_e32 v224, v224
	v_dot4c_i32_i8_e32 v226, v141, v13
	v_dot4c_i32_i8_e32 v227, v152, v8
	;; [unrolled: 1-line block ×6, first 2 shown]
	v_fmac_f32_e32 v29, v205, v228
	v_dot4c_i32_i8_e32 v227, v149, v11
	v_fma_f32 v228, v162, v224, 0
	v_mul_lo_u32 v224, v226, v219
	s_nop 0
	v_mad_u64_u32 v[224:225], s[22:23], v227, v218, v[224:225]
	v_cvt_f32_i32_e32 v224, v224
	v_fmac_f32_e32 v228, v163, v224
	v_mov_b32_e32 v224, 0
	v_dot4c_i32_i8_e32 v224, v150, v12
	v_mov_b32_e32 v12, 0
	v_dot4c_i32_i8_e32 v12, v156, v8
	v_mov_b32_e32 v8, 0
	v_dot4c_i32_i8_e32 v8, v144, v4
	v_dot4c_i32_i8_e32 v8, v145, v5
	v_mov_b32_e32 v5, 0
	v_dot4c_i32_i8_e32 v5, v134, v0
	v_dot4c_i32_i8_e32 v8, v142, v6
	;; [unrolled: 1-line block ×7, first 2 shown]
	v_mul_lo_u32 v4, v8, v220
	v_dot4c_i32_i8_e32 v224, v146, v14
	v_mad_u64_u32 v[0:1], s[22:23], v5, v221, v[4:5]
	v_cvt_f32_i32_e32 v0, v0
	v_dot4c_i32_i8_e32 v12, v157, v9
	v_dot4c_i32_i8_e32 v224, v147, v15
	;; [unrolled: 1-line block ×4, first 2 shown]
	v_fma_f32 v2, v162, v0, 0
	v_mul_lo_u32 v0, v224, v223
	v_mov_b32_e32 v224, 0
	v_mad_u64_u32 v[0:1], s[22:23], v12, v222, v[0:1]
	v_cvt_f32_i32_e32 v0, v0
	v_fmac_f32_e32 v27, v206, v228
	v_fmac_f32_e32 v2, v163, v0
	v_or_b32_e32 v0, s20, v185
	v_lshlrev_b32_e32 v12, 2, v0
	v_lshrrev_b32_e32 v162, 1, v0
	v_fmac_f32_e32 v25, v207, v2
	ds_read_b128 v[0:3], v12 offset:33280
	ds_read_b128 v[4:7], v12 offset:33296
	;; [unrolled: 1-line block ×4, first 2 shown]
	ds_read_b64 v[162:163], v162 offset:43584
	s_waitcnt lgkmcnt(1)
	v_dot4c_i32_i8_e32 v224, v160, v12
	v_dot4c_i32_i8_e32 v224, v161, v13
	;; [unrolled: 1-line block ×3, first 2 shown]
	v_mov_b32_e32 v158, 0
	v_dot4c_i32_i8_e32 v158, v116, v8
	v_dot4c_i32_i8_e32 v158, v117, v9
	;; [unrolled: 1-line block ×3, first 2 shown]
	v_mov_b32_e32 v114, 0
	v_dot4c_i32_i8_e32 v114, v104, v4
	v_dot4c_i32_i8_e32 v114, v105, v5
	;; [unrolled: 1-line block ×4, first 2 shown]
	v_mov_b32_e32 v103, 0
	v_dot4c_i32_i8_e32 v103, v100, v0
	v_dot4c_i32_i8_e32 v103, v101, v1
	;; [unrolled: 1-line block ×3, first 2 shown]
	v_mul_lo_u32 v102, v114, v208
	v_dot4c_i32_i8_e32 v103, v99, v3
	v_dot4c_i32_i8_e32 v224, v159, v15
	v_dot4c_i32_i8_e32 v158, v115, v11
	v_mov_b32_e32 v101, 0
	v_mad_u64_u32 v[98:99], s[20:21], v103, v209, v[102:103]
	v_cvt_f32_i32_e32 v98, v98
	v_dot4c_i32_i8_e32 v101, v136, v8
	v_dot4c_i32_i8_e32 v101, v137, v9
	;; [unrolled: 1-line block ×3, first 2 shown]
	s_waitcnt lgkmcnt(0)
	v_fma_f32 v100, v162, v98, 0
	v_mul_lo_u32 v98, v224, v211
	v_mad_u64_u32 v[98:99], s[20:21], v158, v210, v[98:99]
	v_cvt_f32_i32_e32 v98, v98
	v_mov_b32_e32 v99, 0
	v_dot4c_i32_i8_e32 v99, v108, v0
	v_dot4c_i32_i8_e32 v99, v109, v1
	v_fmac_f32_e32 v100, v163, v98
	v_mov_b32_e32 v98, 0
	v_dot4c_i32_i8_e32 v98, v112, v4
	v_dot4c_i32_i8_e32 v98, v113, v5
	;; [unrolled: 1-line block ×6, first 2 shown]
	v_fmac_f32_e32 v23, v204, v100
	v_mul_lo_u32 v98, v98, v212
	v_mov_b32_e32 v100, 0
	v_mad_u64_u32 v[98:99], s[20:21], v99, v213, v[98:99]
	v_dot4c_i32_i8_e32 v100, v120, v12
	v_cvt_f32_i32_e32 v98, v98
	v_dot4c_i32_i8_e32 v100, v121, v13
	v_dot4c_i32_i8_e32 v100, v118, v14
	;; [unrolled: 1-line block ×4, first 2 shown]
	v_fma_f32 v102, v162, v98, 0
	s_nop 0
	v_mul_lo_u32 v98, v100, v215
	v_mad_u64_u32 v[98:99], s[20:21], v101, v214, v[98:99]
	v_cvt_f32_i32_e32 v98, v98
	v_mov_b32_e32 v99, 0
	v_dot4c_i32_i8_e32 v99, v124, v0
	v_dot4c_i32_i8_e32 v99, v125, v1
	v_fmac_f32_e32 v102, v163, v98
	v_mov_b32_e32 v98, 0
	v_dot4c_i32_i8_e32 v98, v128, v4
	v_dot4c_i32_i8_e32 v98, v129, v5
	;; [unrolled: 1-line block ×6, first 2 shown]
	v_mov_b32_e32 v100, 0
	v_mul_lo_u32 v98, v98, v216
	v_dot4c_i32_i8_e32 v100, v140, v12
	v_mad_u64_u32 v[98:99], s[20:21], v99, v217, v[98:99]
	v_mov_b32_e32 v101, 0
	v_cvt_f32_i32_e32 v98, v98
	v_dot4c_i32_i8_e32 v100, v141, v13
	v_dot4c_i32_i8_e32 v101, v152, v8
	;; [unrolled: 1-line block ×6, first 2 shown]
	v_fmac_f32_e32 v21, v205, v102
	v_dot4c_i32_i8_e32 v101, v149, v11
	v_fma_f32 v102, v162, v98, 0
	v_mul_lo_u32 v98, v100, v219
	s_nop 0
	v_mad_u64_u32 v[98:99], s[20:21], v101, v218, v[98:99]
	v_cvt_f32_i32_e32 v98, v98
	v_fmac_f32_e32 v102, v163, v98
	v_mov_b32_e32 v98, 0
	v_dot4c_i32_i8_e32 v98, v150, v12
	v_mov_b32_e32 v12, 0
	v_dot4c_i32_i8_e32 v12, v156, v8
	;; [unrolled: 2-line block ×3, first 2 shown]
	v_dot4c_i32_i8_e32 v8, v145, v5
	v_mov_b32_e32 v5, 0
	v_dot4c_i32_i8_e32 v5, v134, v0
	v_dot4c_i32_i8_e32 v8, v142, v6
	;; [unrolled: 1-line block ×7, first 2 shown]
	v_mul_lo_u32 v4, v8, v220
	v_dot4c_i32_i8_e32 v98, v146, v14
	v_mad_u64_u32 v[0:1], s[20:21], v5, v221, v[4:5]
	v_cvt_f32_i32_e32 v0, v0
	v_dot4c_i32_i8_e32 v12, v157, v9
	v_dot4c_i32_i8_e32 v98, v147, v15
	;; [unrolled: 1-line block ×4, first 2 shown]
	v_fma_f32 v2, v162, v0, 0
	v_mul_lo_u32 v0, v98, v223
	v_fmac_f32_e32 v19, v206, v102
	v_mad_u64_u32 v[0:1], s[20:21], v12, v222, v[0:1]
	v_cvt_f32_i32_e32 v0, v0
	s_mov_b32 s21, 8
	v_fmac_f32_e32 v2, v163, v0
	v_fmac_f32_e32 v17, v207, v2
	s_cbranch_vccnz .LBB136_6
; %bb.7:                                ;   in Loop: Header=BB136_5 Depth=1
	v_add_u32_e32 v14, s19, v188
	v_add_u32_e32 v0, v14, v164
	;; [unrolled: 1-line block ×6, first 2 shown]
	v_mad_i64_i32 v[0:1], s[0:1], v0, 36, v[94:95]
	v_mad_i64_i32 v[2:3], s[0:1], v2, 36, v[94:95]
	;; [unrolled: 1-line block ×4, first 2 shown]
	v_add_u32_e32 v8, v14, v175
	v_add_u32_e32 v10, v14, v178
	;; [unrolled: 1-line block ×4, first 2 shown]
	v_mad_u64_u32 v[98:99], s[0:1], v98, 36, s[2:3]
	s_barrier
	v_mad_i64_i32 v[8:9], s[0:1], v8, 36, v[94:95]
	v_mad_i64_i32 v[10:11], s[0:1], v10, 36, v[94:95]
	;; [unrolled: 1-line block ×4, first 2 shown]
	global_load_dword v98, v[98:99], off
	s_nop 0
	global_load_dword v0, v[0:1], off offset:4
	s_nop 0
	global_load_dword v1, v[2:3], off offset:4
	;; [unrolled: 2-line block ×3, first 2 shown]
	global_load_dword v3, v[6:7], off offset:4
	s_nop 0
	global_load_dword v4, v[8:9], off offset:4
	global_load_dword v5, v[10:11], off offset:4
	;; [unrolled: 1-line block ×4, first 2 shown]
	s_mov_b32 s0, 16
	s_waitcnt vmcnt(8)
	v_cvt_f32_f16_e32 v8, v98
	s_waitcnt vmcnt(7)
	ds_write_b32 v165, v0
	s_waitcnt vmcnt(6)
	ds_write_b32 v168, v1
	;; [unrolled: 2-line block ×8, first 2 shown]
	ds_write_b32 v93, v8
	s_waitcnt lgkmcnt(0)
	s_barrier
	ds_read_b32 v203, v187
	ds_read_b32 v204, v189 offset:128
	ds_read_b32 v205, v190 offset:256
	;; [unrolled: 1-line block ×3, first 2 shown]
.LBB136_8:                              ;   Parent Loop BB136_5 Depth=1
                                        ; =>  This Inner Loop Header: Depth=2
	s_lshl_b32 s1, s0, 1
	s_and_b32 s1, s1, 16
	v_or_b32_e32 v0, s1, v83
	v_lshlrev_b32_e32 v12, 2, v0
	s_lshr_b32 s19, s0, 1
	s_lshl_b32 s20, s0, 3
	v_lshrrev_b32_e32 v98, 1, v0
	ds_read_b128 v[0:3], v12 offset:33280
	ds_read_b128 v[4:7], v12 offset:33296
	;; [unrolled: 1-line block ×4, first 2 shown]
	ds_read_b64 v[162:163], v98 offset:43584
	v_add_u32_e32 v106, s19, v192
	v_add_u32_e32 v107, s20, v193
	ds_read2_b32 v[102:103], v107 offset0:6 offset1:7
	ds_read2_b32 v[104:105], v107 offset0:4 offset1:5
	;; [unrolled: 1-line block ×3, first 2 shown]
	ds_read2_b32 v[100:101], v107 offset1:1
	ds_read_b32 v108, v106
	ds_read2_b32 v[158:159], v107 offset0:14 offset1:15
	ds_read2_b32 v[160:161], v107 offset0:12 offset1:13
	v_mov_b32_e32 v106, 0
	ds_read2_b32 v[114:115], v107 offset0:10 offset1:11
	ds_read2_b32 v[116:117], v107 offset0:8 offset1:9
	s_waitcnt lgkmcnt(7)
	v_dot4c_i32_i8_e32 v106, v104, v4
	v_mov_b32_e32 v107, 0
	v_dot4c_i32_i8_e32 v106, v105, v5
	s_waitcnt lgkmcnt(5)
	v_dot4c_i32_i8_e32 v107, v100, v0
	v_dot4c_i32_i8_e32 v106, v102, v6
	;; [unrolled: 1-line block ×4, first 2 shown]
	s_waitcnt lgkmcnt(4)
	v_bfe_i32 v207, v108, 8, 8
	v_dot4c_i32_i8_e32 v107, v98, v2
	v_dot4c_i32_i8_e32 v107, v99, v3
	v_mul_lo_u32 v106, v106, v207
	v_bfe_i32 v208, v108, 0, 8
	v_mov_b32_e32 v109, 0
	v_mad_u64_u32 v[106:107], s[22:23], v107, v208, v[106:107]
	s_waitcnt lgkmcnt(2)
	v_dot4c_i32_i8_e32 v109, v160, v12
	v_mov_b32_e32 v110, 0
	v_cvt_f32_i32_e32 v106, v106
	v_dot4c_i32_i8_e32 v109, v161, v13
	s_waitcnt lgkmcnt(0)
	v_dot4c_i32_i8_e32 v110, v116, v8
	v_dot4c_i32_i8_e32 v109, v158, v14
	;; [unrolled: 1-line block ×5, first 2 shown]
	v_ashrrev_i32_e32 v210, 24, v108
	v_dot4c_i32_i8_e32 v110, v115, v11
	v_fma_f32 v111, v162, v106, 0
	v_bfe_i32 v209, v108, 16, 8
	v_mul_lo_u32 v106, v109, v210
	v_mad_u64_u32 v[106:107], s[22:23], v110, v209, v[106:107]
	v_cvt_f32_i32_e32 v106, v106
	v_add_u32_e32 v118, s19, v194
	v_add_u32_e32 v122, s20, v195
	v_mov_b32_e32 v123, 0
	v_fmac_f32_e32 v111, v163, v106
	v_fmac_f32_e32 v91, v203, v111
	ds_read2_b32 v[110:111], v122 offset0:6 offset1:7
	ds_read2_b32 v[112:113], v122 offset0:4 offset1:5
	;; [unrolled: 1-line block ×3, first 2 shown]
	ds_read2_b32 v[108:109], v122 offset1:1
	ds_read_b32 v124, v118
	ds_read2_b32 v[118:119], v122 offset0:14 offset1:15
	ds_read2_b32 v[120:121], v122 offset0:12 offset1:13
	;; [unrolled: 1-line block ×4, first 2 shown]
	v_mov_b32_e32 v122, 0
	s_waitcnt lgkmcnt(7)
	v_dot4c_i32_i8_e32 v122, v112, v4
	v_dot4c_i32_i8_e32 v122, v113, v5
	s_waitcnt lgkmcnt(5)
	v_dot4c_i32_i8_e32 v123, v108, v0
	v_dot4c_i32_i8_e32 v122, v110, v6
	;; [unrolled: 1-line block ×4, first 2 shown]
	s_waitcnt lgkmcnt(4)
	v_bfe_i32 v211, v124, 8, 8
	v_dot4c_i32_i8_e32 v123, v106, v2
	v_dot4c_i32_i8_e32 v123, v107, v3
	v_mul_lo_u32 v122, v122, v211
	v_bfe_i32 v212, v124, 0, 8
	v_mov_b32_e32 v125, 0
	v_mad_u64_u32 v[122:123], s[22:23], v123, v212, v[122:123]
	s_waitcnt lgkmcnt(2)
	v_dot4c_i32_i8_e32 v125, v120, v12
	v_mov_b32_e32 v126, 0
	v_cvt_f32_i32_e32 v122, v122
	v_dot4c_i32_i8_e32 v125, v121, v13
	s_waitcnt lgkmcnt(0)
	v_dot4c_i32_i8_e32 v126, v136, v8
	v_dot4c_i32_i8_e32 v125, v118, v14
	;; [unrolled: 1-line block ×5, first 2 shown]
	v_ashrrev_i32_e32 v214, 24, v124
	v_dot4c_i32_i8_e32 v126, v133, v11
	v_fma_f32 v127, v162, v122, 0
	v_bfe_i32 v213, v124, 16, 8
	v_mul_lo_u32 v122, v125, v214
	v_mad_u64_u32 v[122:123], s[22:23], v126, v213, v[122:123]
	v_cvt_f32_i32_e32 v122, v122
	v_add_u32_e32 v130, s19, v196
	v_add_u32_e32 v131, s20, v197
	v_mov_b32_e32 v135, 0
	v_fmac_f32_e32 v127, v163, v122
	v_fmac_f32_e32 v89, v204, v127
	ds_read2_b32 v[126:127], v131 offset0:6 offset1:7
	ds_read2_b32 v[128:129], v131 offset0:4 offset1:5
	;; [unrolled: 1-line block ×3, first 2 shown]
	ds_read2_b32 v[124:125], v131 offset1:1
	ds_read_b32 v134, v130
	ds_read2_b32 v[138:139], v131 offset0:14 offset1:15
	ds_read2_b32 v[140:141], v131 offset0:12 offset1:13
	v_mov_b32_e32 v130, 0
	ds_read2_b32 v[148:149], v131 offset0:10 offset1:11
	ds_read2_b32 v[152:153], v131 offset0:8 offset1:9
	s_waitcnt lgkmcnt(7)
	v_dot4c_i32_i8_e32 v130, v128, v4
	v_mov_b32_e32 v131, 0
	v_dot4c_i32_i8_e32 v130, v129, v5
	s_waitcnt lgkmcnt(5)
	v_dot4c_i32_i8_e32 v131, v124, v0
	v_dot4c_i32_i8_e32 v130, v126, v6
	;; [unrolled: 1-line block ×4, first 2 shown]
	s_waitcnt lgkmcnt(4)
	v_bfe_i32 v215, v134, 8, 8
	v_dot4c_i32_i8_e32 v131, v122, v2
	v_dot4c_i32_i8_e32 v131, v123, v3
	v_mul_lo_u32 v130, v130, v215
	v_bfe_i32 v216, v134, 0, 8
	s_waitcnt lgkmcnt(2)
	v_dot4c_i32_i8_e32 v135, v140, v12
	v_mad_u64_u32 v[130:131], s[22:23], v131, v216, v[130:131]
	v_mov_b32_e32 v142, 0
	v_cvt_f32_i32_e32 v130, v130
	v_dot4c_i32_i8_e32 v135, v141, v13
	s_waitcnt lgkmcnt(0)
	v_dot4c_i32_i8_e32 v142, v152, v8
	v_dot4c_i32_i8_e32 v135, v138, v14
	;; [unrolled: 1-line block ×5, first 2 shown]
	v_ashrrev_i32_e32 v218, 24, v134
	v_dot4c_i32_i8_e32 v142, v149, v11
	v_fma_f32 v143, v162, v130, 0
	v_bfe_i32 v217, v134, 16, 8
	v_mul_lo_u32 v130, v135, v218
	v_mad_u64_u32 v[130:131], s[22:23], v142, v217, v[130:131]
	v_cvt_f32_i32_e32 v130, v130
	v_add_u32_e32 v146, s19, v198
	v_add_u32_e32 v156, s20, v199
	v_mov_b32_e32 v223, 0
	v_fmac_f32_e32 v143, v163, v130
	v_fmac_f32_e32 v87, v205, v143
	ds_read2_b32 v[142:143], v156 offset0:6 offset1:7
	ds_read2_b32 v[144:145], v156 offset0:4 offset1:5
	;; [unrolled: 1-line block ×3, first 2 shown]
	ds_read2_b32 v[134:135], v156 offset1:1
	ds_read_b32 v222, v146
	ds_read2_b32 v[146:147], v156 offset0:14 offset1:15
	ds_read2_b32 v[150:151], v156 offset0:12 offset1:13
	;; [unrolled: 1-line block ×4, first 2 shown]
	v_mov_b32_e32 v224, 0
	s_waitcnt lgkmcnt(4)
	v_bfe_i32 v219, v222, 8, 8
	v_bfe_i32 v220, v222, 0, 8
	s_waitcnt lgkmcnt(2)
	v_dot4c_i32_i8_e32 v223, v150, v12
	v_mov_b32_e32 v12, 0
	s_waitcnt lgkmcnt(0)
	v_dot4c_i32_i8_e32 v12, v156, v8
	v_mov_b32_e32 v8, 0
	v_dot4c_i32_i8_e32 v8, v144, v4
	v_dot4c_i32_i8_e32 v8, v145, v5
	v_mov_b32_e32 v5, 0
	v_dot4c_i32_i8_e32 v5, v134, v0
	v_dot4c_i32_i8_e32 v8, v142, v6
	;; [unrolled: 1-line block ×7, first 2 shown]
	v_mul_lo_u32 v4, v8, v219
	v_dot4c_i32_i8_e32 v223, v146, v14
	v_mad_u64_u32 v[0:1], s[20:21], v5, v220, v[4:5]
	v_cvt_f32_i32_e32 v0, v0
	v_dot4c_i32_i8_e32 v12, v157, v9
	v_dot4c_i32_i8_e32 v223, v147, v15
	;; [unrolled: 1-line block ×3, first 2 shown]
	v_bfe_i32 v221, v222, 16, 8
	v_ashrrev_i32_e32 v222, 24, v222
	v_dot4c_i32_i8_e32 v12, v155, v11
	v_fma_f32 v2, v162, v0, 0
	v_mul_lo_u32 v0, v223, v222
	v_mov_b32_e32 v225, 0
	v_mad_u64_u32 v[0:1], s[20:21], v12, v221, v[0:1]
	v_cvt_f32_i32_e32 v0, v0
	v_mov_b32_e32 v223, 0
	v_mov_b32_e32 v226, 0
	v_fmac_f32_e32 v2, v163, v0
	v_or_b32_e32 v0, s1, v167
	v_lshlrev_b32_e32 v12, 2, v0
	v_lshrrev_b32_e32 v162, 1, v0
	v_fmac_f32_e32 v81, v206, v2
	ds_read_b128 v[0:3], v12 offset:33280
	ds_read_b128 v[4:7], v12 offset:33296
	;; [unrolled: 1-line block ×4, first 2 shown]
	ds_read_b64 v[162:163], v162 offset:43584
	s_waitcnt lgkmcnt(4)
	v_dot4c_i32_i8_e32 v225, v100, v0
	s_waitcnt lgkmcnt(3)
	v_dot4c_i32_i8_e32 v224, v104, v4
	v_dot4c_i32_i8_e32 v224, v105, v5
	;; [unrolled: 1-line block ×7, first 2 shown]
	s_waitcnt lgkmcnt(1)
	v_dot4c_i32_i8_e32 v223, v160, v12
	v_mul_lo_u32 v224, v224, v207
	v_dot4c_i32_i8_e32 v223, v161, v13
	v_mad_u64_u32 v[224:225], s[20:21], v225, v208, v[224:225]
	v_cvt_f32_i32_e32 v224, v224
	v_dot4c_i32_i8_e32 v226, v116, v8
	v_dot4c_i32_i8_e32 v223, v158, v14
	;; [unrolled: 1-line block ×6, first 2 shown]
	s_waitcnt lgkmcnt(0)
	v_fma_f32 v227, v162, v224, 0
	v_mul_lo_u32 v224, v223, v210
	v_mad_u64_u32 v[224:225], s[20:21], v226, v209, v[224:225]
	v_cvt_f32_i32_e32 v223, v224
	v_mov_b32_e32 v224, 0
	v_dot4c_i32_i8_e32 v224, v112, v4
	v_mov_b32_e32 v225, 0
	v_dot4c_i32_i8_e32 v224, v113, v5
	v_dot4c_i32_i8_e32 v225, v108, v0
	;; [unrolled: 1-line block ×7, first 2 shown]
	v_fmac_f32_e32 v227, v163, v223
	v_mul_lo_u32 v224, v224, v211
	v_mov_b32_e32 v223, 0
	v_mad_u64_u32 v[224:225], s[20:21], v225, v212, v[224:225]
	v_dot4c_i32_i8_e32 v223, v120, v12
	v_mov_b32_e32 v226, 0
	v_cvt_f32_i32_e32 v224, v224
	v_dot4c_i32_i8_e32 v223, v121, v13
	v_dot4c_i32_i8_e32 v226, v136, v8
	;; [unrolled: 1-line block ×6, first 2 shown]
	v_fmac_f32_e32 v79, v203, v227
	v_dot4c_i32_i8_e32 v226, v133, v11
	v_fma_f32 v227, v162, v224, 0
	v_mul_lo_u32 v224, v223, v214
	s_nop 0
	v_mad_u64_u32 v[224:225], s[20:21], v226, v213, v[224:225]
	v_cvt_f32_i32_e32 v223, v224
	v_mov_b32_e32 v224, 0
	v_dot4c_i32_i8_e32 v224, v128, v4
	v_mov_b32_e32 v225, 0
	v_dot4c_i32_i8_e32 v224, v129, v5
	v_dot4c_i32_i8_e32 v225, v124, v0
	;; [unrolled: 1-line block ×7, first 2 shown]
	v_fmac_f32_e32 v227, v163, v223
	v_mul_lo_u32 v224, v224, v215
	v_mov_b32_e32 v223, 0
	v_mad_u64_u32 v[224:225], s[20:21], v225, v216, v[224:225]
	v_dot4c_i32_i8_e32 v223, v140, v12
	v_mov_b32_e32 v226, 0
	v_cvt_f32_i32_e32 v224, v224
	v_dot4c_i32_i8_e32 v223, v141, v13
	v_dot4c_i32_i8_e32 v226, v152, v8
	;; [unrolled: 1-line block ×6, first 2 shown]
	v_fmac_f32_e32 v77, v204, v227
	v_dot4c_i32_i8_e32 v226, v149, v11
	v_fma_f32 v227, v162, v224, 0
	v_mul_lo_u32 v224, v223, v218
	s_nop 0
	v_mad_u64_u32 v[224:225], s[20:21], v226, v217, v[224:225]
	v_cvt_f32_i32_e32 v223, v224
	v_mov_b32_e32 v224, 0
	v_mov_b32_e32 v225, 0
	;; [unrolled: 1-line block ×3, first 2 shown]
	v_fmac_f32_e32 v227, v163, v223
	v_mov_b32_e32 v223, 0
	v_dot4c_i32_i8_e32 v223, v150, v12
	v_mov_b32_e32 v12, 0
	v_dot4c_i32_i8_e32 v12, v156, v8
	;; [unrolled: 2-line block ×3, first 2 shown]
	v_dot4c_i32_i8_e32 v8, v145, v5
	v_mov_b32_e32 v5, 0
	v_dot4c_i32_i8_e32 v5, v134, v0
	v_dot4c_i32_i8_e32 v8, v142, v6
	;; [unrolled: 1-line block ×7, first 2 shown]
	v_mul_lo_u32 v4, v8, v219
	v_dot4c_i32_i8_e32 v223, v146, v14
	v_mad_u64_u32 v[0:1], s[20:21], v5, v220, v[4:5]
	v_cvt_f32_i32_e32 v0, v0
	v_dot4c_i32_i8_e32 v12, v157, v9
	v_dot4c_i32_i8_e32 v223, v147, v15
	;; [unrolled: 1-line block ×4, first 2 shown]
	v_fma_f32 v2, v162, v0, 0
	v_mul_lo_u32 v0, v223, v222
	v_mov_b32_e32 v223, 0
	v_mad_u64_u32 v[0:1], s[20:21], v12, v221, v[0:1]
	v_cvt_f32_i32_e32 v0, v0
	v_fmac_f32_e32 v73, v205, v227
	v_fmac_f32_e32 v2, v163, v0
	v_or_b32_e32 v0, s1, v170
	v_lshlrev_b32_e32 v12, 2, v0
	v_lshrrev_b32_e32 v162, 1, v0
	v_fmac_f32_e32 v71, v206, v2
	ds_read_b128 v[0:3], v12 offset:33280
	ds_read_b128 v[4:7], v12 offset:33296
	;; [unrolled: 1-line block ×4, first 2 shown]
	ds_read_b64 v[162:163], v162 offset:43584
	s_waitcnt lgkmcnt(4)
	v_dot4c_i32_i8_e32 v225, v100, v0
	s_waitcnt lgkmcnt(3)
	v_dot4c_i32_i8_e32 v224, v104, v4
	v_dot4c_i32_i8_e32 v224, v105, v5
	;; [unrolled: 1-line block ×7, first 2 shown]
	s_waitcnt lgkmcnt(1)
	v_dot4c_i32_i8_e32 v223, v160, v12
	v_mul_lo_u32 v224, v224, v207
	v_dot4c_i32_i8_e32 v223, v161, v13
	v_mad_u64_u32 v[224:225], s[20:21], v225, v208, v[224:225]
	v_cvt_f32_i32_e32 v224, v224
	v_dot4c_i32_i8_e32 v226, v116, v8
	v_dot4c_i32_i8_e32 v223, v158, v14
	;; [unrolled: 1-line block ×6, first 2 shown]
	s_waitcnt lgkmcnt(0)
	v_fma_f32 v227, v162, v224, 0
	v_mul_lo_u32 v224, v223, v210
	v_mad_u64_u32 v[224:225], s[20:21], v226, v209, v[224:225]
	v_cvt_f32_i32_e32 v223, v224
	v_mov_b32_e32 v224, 0
	v_dot4c_i32_i8_e32 v224, v112, v4
	v_mov_b32_e32 v225, 0
	v_dot4c_i32_i8_e32 v224, v113, v5
	v_dot4c_i32_i8_e32 v225, v108, v0
	;; [unrolled: 1-line block ×7, first 2 shown]
	v_fmac_f32_e32 v227, v163, v223
	v_mul_lo_u32 v224, v224, v211
	v_mov_b32_e32 v223, 0
	v_mad_u64_u32 v[224:225], s[20:21], v225, v212, v[224:225]
	v_dot4c_i32_i8_e32 v223, v120, v12
	v_mov_b32_e32 v226, 0
	v_cvt_f32_i32_e32 v224, v224
	v_dot4c_i32_i8_e32 v223, v121, v13
	v_dot4c_i32_i8_e32 v226, v136, v8
	;; [unrolled: 1-line block ×6, first 2 shown]
	v_fmac_f32_e32 v67, v203, v227
	v_dot4c_i32_i8_e32 v226, v133, v11
	v_fma_f32 v227, v162, v224, 0
	v_mul_lo_u32 v224, v223, v214
	s_nop 0
	v_mad_u64_u32 v[224:225], s[20:21], v226, v213, v[224:225]
	v_cvt_f32_i32_e32 v223, v224
	v_mov_b32_e32 v224, 0
	v_dot4c_i32_i8_e32 v224, v128, v4
	v_mov_b32_e32 v225, 0
	v_dot4c_i32_i8_e32 v224, v129, v5
	v_dot4c_i32_i8_e32 v225, v124, v0
	;; [unrolled: 1-line block ×7, first 2 shown]
	v_fmac_f32_e32 v227, v163, v223
	v_mul_lo_u32 v224, v224, v215
	v_mov_b32_e32 v223, 0
	v_mad_u64_u32 v[224:225], s[20:21], v225, v216, v[224:225]
	v_dot4c_i32_i8_e32 v223, v140, v12
	v_mov_b32_e32 v226, 0
	v_cvt_f32_i32_e32 v224, v224
	v_dot4c_i32_i8_e32 v223, v141, v13
	v_dot4c_i32_i8_e32 v226, v152, v8
	;; [unrolled: 1-line block ×6, first 2 shown]
	v_fmac_f32_e32 v65, v204, v227
	v_dot4c_i32_i8_e32 v226, v149, v11
	v_fma_f32 v227, v162, v224, 0
	v_mul_lo_u32 v224, v223, v218
	s_nop 0
	v_mad_u64_u32 v[224:225], s[20:21], v226, v217, v[224:225]
	v_cvt_f32_i32_e32 v223, v224
	v_mov_b32_e32 v224, 0
	v_mov_b32_e32 v225, 0
	;; [unrolled: 1-line block ×3, first 2 shown]
	v_fmac_f32_e32 v227, v163, v223
	v_mov_b32_e32 v223, 0
	v_dot4c_i32_i8_e32 v223, v150, v12
	v_mov_b32_e32 v12, 0
	v_dot4c_i32_i8_e32 v12, v156, v8
	;; [unrolled: 2-line block ×3, first 2 shown]
	v_dot4c_i32_i8_e32 v8, v145, v5
	v_mov_b32_e32 v5, 0
	v_dot4c_i32_i8_e32 v5, v134, v0
	v_dot4c_i32_i8_e32 v8, v142, v6
	;; [unrolled: 1-line block ×7, first 2 shown]
	v_mul_lo_u32 v4, v8, v219
	v_dot4c_i32_i8_e32 v223, v146, v14
	v_mad_u64_u32 v[0:1], s[20:21], v5, v220, v[4:5]
	v_cvt_f32_i32_e32 v0, v0
	v_dot4c_i32_i8_e32 v12, v157, v9
	v_dot4c_i32_i8_e32 v223, v147, v15
	;; [unrolled: 1-line block ×4, first 2 shown]
	v_fma_f32 v2, v162, v0, 0
	v_mul_lo_u32 v0, v223, v222
	v_mov_b32_e32 v223, 0
	v_mad_u64_u32 v[0:1], s[20:21], v12, v221, v[0:1]
	v_cvt_f32_i32_e32 v0, v0
	v_fmac_f32_e32 v63, v205, v227
	v_fmac_f32_e32 v2, v163, v0
	v_or_b32_e32 v0, s1, v173
	v_lshlrev_b32_e32 v12, 2, v0
	v_lshrrev_b32_e32 v162, 1, v0
	v_fmac_f32_e32 v61, v206, v2
	ds_read_b128 v[0:3], v12 offset:33280
	ds_read_b128 v[4:7], v12 offset:33296
	;; [unrolled: 1-line block ×4, first 2 shown]
	ds_read_b64 v[162:163], v162 offset:43584
	s_waitcnt lgkmcnt(4)
	v_dot4c_i32_i8_e32 v225, v100, v0
	s_waitcnt lgkmcnt(3)
	v_dot4c_i32_i8_e32 v224, v104, v4
	v_dot4c_i32_i8_e32 v224, v105, v5
	;; [unrolled: 1-line block ×7, first 2 shown]
	s_waitcnt lgkmcnt(1)
	v_dot4c_i32_i8_e32 v223, v160, v12
	v_mul_lo_u32 v224, v224, v207
	v_dot4c_i32_i8_e32 v223, v161, v13
	v_mad_u64_u32 v[224:225], s[20:21], v225, v208, v[224:225]
	v_cvt_f32_i32_e32 v224, v224
	v_dot4c_i32_i8_e32 v226, v116, v8
	v_dot4c_i32_i8_e32 v223, v158, v14
	;; [unrolled: 1-line block ×6, first 2 shown]
	s_waitcnt lgkmcnt(0)
	v_fma_f32 v227, v162, v224, 0
	v_mul_lo_u32 v224, v223, v210
	v_mad_u64_u32 v[224:225], s[20:21], v226, v209, v[224:225]
	v_cvt_f32_i32_e32 v223, v224
	v_mov_b32_e32 v224, 0
	v_dot4c_i32_i8_e32 v224, v112, v4
	v_mov_b32_e32 v225, 0
	v_dot4c_i32_i8_e32 v224, v113, v5
	v_dot4c_i32_i8_e32 v225, v108, v0
	;; [unrolled: 1-line block ×7, first 2 shown]
	v_fmac_f32_e32 v227, v163, v223
	v_mul_lo_u32 v224, v224, v211
	v_mov_b32_e32 v223, 0
	v_mad_u64_u32 v[224:225], s[20:21], v225, v212, v[224:225]
	v_dot4c_i32_i8_e32 v223, v120, v12
	v_mov_b32_e32 v226, 0
	v_cvt_f32_i32_e32 v224, v224
	v_dot4c_i32_i8_e32 v223, v121, v13
	v_dot4c_i32_i8_e32 v226, v136, v8
	;; [unrolled: 1-line block ×6, first 2 shown]
	v_fmac_f32_e32 v57, v203, v227
	v_dot4c_i32_i8_e32 v226, v133, v11
	v_fma_f32 v227, v162, v224, 0
	v_mul_lo_u32 v224, v223, v214
	s_nop 0
	v_mad_u64_u32 v[224:225], s[20:21], v226, v213, v[224:225]
	v_cvt_f32_i32_e32 v223, v224
	v_mov_b32_e32 v224, 0
	v_dot4c_i32_i8_e32 v224, v128, v4
	v_mov_b32_e32 v225, 0
	v_dot4c_i32_i8_e32 v224, v129, v5
	v_dot4c_i32_i8_e32 v225, v124, v0
	;; [unrolled: 1-line block ×7, first 2 shown]
	v_fmac_f32_e32 v227, v163, v223
	v_mul_lo_u32 v224, v224, v215
	v_mov_b32_e32 v223, 0
	v_mad_u64_u32 v[224:225], s[20:21], v225, v216, v[224:225]
	v_dot4c_i32_i8_e32 v223, v140, v12
	v_mov_b32_e32 v226, 0
	v_cvt_f32_i32_e32 v224, v224
	v_dot4c_i32_i8_e32 v223, v141, v13
	v_dot4c_i32_i8_e32 v226, v152, v8
	v_dot4c_i32_i8_e32 v223, v138, v14
	v_dot4c_i32_i8_e32 v226, v153, v9
	v_dot4c_i32_i8_e32 v223, v139, v15
	v_dot4c_i32_i8_e32 v226, v148, v10
	v_fmac_f32_e32 v53, v204, v227
	v_dot4c_i32_i8_e32 v226, v149, v11
	v_fma_f32 v227, v162, v224, 0
	v_mul_lo_u32 v224, v223, v218
	s_nop 0
	v_mad_u64_u32 v[224:225], s[20:21], v226, v217, v[224:225]
	v_cvt_f32_i32_e32 v223, v224
	v_mov_b32_e32 v224, 0
	v_mov_b32_e32 v225, 0
	;; [unrolled: 1-line block ×3, first 2 shown]
	v_fmac_f32_e32 v227, v163, v223
	v_mov_b32_e32 v223, 0
	v_dot4c_i32_i8_e32 v223, v150, v12
	v_mov_b32_e32 v12, 0
	v_dot4c_i32_i8_e32 v12, v156, v8
	;; [unrolled: 2-line block ×3, first 2 shown]
	v_dot4c_i32_i8_e32 v8, v145, v5
	v_mov_b32_e32 v5, 0
	v_dot4c_i32_i8_e32 v5, v134, v0
	v_dot4c_i32_i8_e32 v8, v142, v6
	v_dot4c_i32_i8_e32 v5, v135, v1
	v_dot4c_i32_i8_e32 v8, v143, v7
	v_dot4c_i32_i8_e32 v5, v130, v2
	v_dot4c_i32_i8_e32 v5, v131, v3
	v_dot4c_i32_i8_e32 v223, v151, v13
	v_mul_lo_u32 v4, v8, v219
	v_dot4c_i32_i8_e32 v223, v146, v14
	v_mad_u64_u32 v[0:1], s[20:21], v5, v220, v[4:5]
	v_cvt_f32_i32_e32 v0, v0
	v_dot4c_i32_i8_e32 v12, v157, v9
	v_dot4c_i32_i8_e32 v223, v147, v15
	;; [unrolled: 1-line block ×4, first 2 shown]
	v_fma_f32 v2, v162, v0, 0
	v_mul_lo_u32 v0, v223, v222
	v_mov_b32_e32 v223, 0
	v_mad_u64_u32 v[0:1], s[20:21], v12, v221, v[0:1]
	v_cvt_f32_i32_e32 v0, v0
	v_fmac_f32_e32 v51, v205, v227
	v_fmac_f32_e32 v2, v163, v0
	v_or_b32_e32 v0, s1, v176
	v_lshlrev_b32_e32 v12, 2, v0
	v_lshrrev_b32_e32 v162, 1, v0
	v_fmac_f32_e32 v49, v206, v2
	ds_read_b128 v[0:3], v12 offset:33280
	ds_read_b128 v[4:7], v12 offset:33296
	;; [unrolled: 1-line block ×4, first 2 shown]
	ds_read_b64 v[162:163], v162 offset:43584
	s_waitcnt lgkmcnt(4)
	v_dot4c_i32_i8_e32 v225, v100, v0
	s_waitcnt lgkmcnt(3)
	v_dot4c_i32_i8_e32 v224, v104, v4
	v_dot4c_i32_i8_e32 v224, v105, v5
	;; [unrolled: 1-line block ×7, first 2 shown]
	s_waitcnt lgkmcnt(1)
	v_dot4c_i32_i8_e32 v223, v160, v12
	v_mul_lo_u32 v224, v224, v207
	v_dot4c_i32_i8_e32 v223, v161, v13
	v_mad_u64_u32 v[224:225], s[20:21], v225, v208, v[224:225]
	v_cvt_f32_i32_e32 v224, v224
	v_dot4c_i32_i8_e32 v226, v116, v8
	v_dot4c_i32_i8_e32 v223, v158, v14
	;; [unrolled: 1-line block ×6, first 2 shown]
	s_waitcnt lgkmcnt(0)
	v_fma_f32 v227, v162, v224, 0
	v_mul_lo_u32 v224, v223, v210
	v_mad_u64_u32 v[224:225], s[20:21], v226, v209, v[224:225]
	v_cvt_f32_i32_e32 v223, v224
	v_mov_b32_e32 v224, 0
	v_dot4c_i32_i8_e32 v224, v112, v4
	v_mov_b32_e32 v225, 0
	v_dot4c_i32_i8_e32 v224, v113, v5
	v_dot4c_i32_i8_e32 v225, v108, v0
	;; [unrolled: 1-line block ×7, first 2 shown]
	v_fmac_f32_e32 v227, v163, v223
	v_mul_lo_u32 v224, v224, v211
	v_mov_b32_e32 v223, 0
	v_mad_u64_u32 v[224:225], s[20:21], v225, v212, v[224:225]
	v_dot4c_i32_i8_e32 v223, v120, v12
	v_mov_b32_e32 v226, 0
	v_cvt_f32_i32_e32 v224, v224
	v_dot4c_i32_i8_e32 v223, v121, v13
	v_dot4c_i32_i8_e32 v226, v136, v8
	;; [unrolled: 1-line block ×6, first 2 shown]
	v_fmac_f32_e32 v47, v203, v227
	v_dot4c_i32_i8_e32 v226, v133, v11
	v_fma_f32 v227, v162, v224, 0
	v_mul_lo_u32 v224, v223, v214
	s_nop 0
	v_mad_u64_u32 v[224:225], s[20:21], v226, v213, v[224:225]
	v_cvt_f32_i32_e32 v223, v224
	v_mov_b32_e32 v224, 0
	v_dot4c_i32_i8_e32 v224, v128, v4
	v_mov_b32_e32 v225, 0
	v_dot4c_i32_i8_e32 v224, v129, v5
	v_dot4c_i32_i8_e32 v225, v124, v0
	v_dot4c_i32_i8_e32 v224, v126, v6
	v_dot4c_i32_i8_e32 v225, v125, v1
	v_dot4c_i32_i8_e32 v224, v127, v7
	v_dot4c_i32_i8_e32 v225, v122, v2
	v_dot4c_i32_i8_e32 v225, v123, v3
	v_fmac_f32_e32 v227, v163, v223
	v_mul_lo_u32 v224, v224, v215
	v_mov_b32_e32 v223, 0
	v_mad_u64_u32 v[224:225], s[20:21], v225, v216, v[224:225]
	v_dot4c_i32_i8_e32 v223, v140, v12
	v_mov_b32_e32 v226, 0
	v_cvt_f32_i32_e32 v224, v224
	v_dot4c_i32_i8_e32 v223, v141, v13
	v_dot4c_i32_i8_e32 v226, v152, v8
	;; [unrolled: 1-line block ×6, first 2 shown]
	v_fmac_f32_e32 v45, v204, v227
	v_dot4c_i32_i8_e32 v226, v149, v11
	v_fma_f32 v227, v162, v224, 0
	v_mul_lo_u32 v224, v223, v218
	s_nop 0
	v_mad_u64_u32 v[224:225], s[20:21], v226, v217, v[224:225]
	v_cvt_f32_i32_e32 v223, v224
	v_mov_b32_e32 v224, 0
	v_mov_b32_e32 v225, 0
	;; [unrolled: 1-line block ×3, first 2 shown]
	v_fmac_f32_e32 v227, v163, v223
	v_mov_b32_e32 v223, 0
	v_dot4c_i32_i8_e32 v223, v150, v12
	v_mov_b32_e32 v12, 0
	v_dot4c_i32_i8_e32 v12, v156, v8
	;; [unrolled: 2-line block ×3, first 2 shown]
	v_dot4c_i32_i8_e32 v8, v145, v5
	v_mov_b32_e32 v5, 0
	v_dot4c_i32_i8_e32 v5, v134, v0
	v_dot4c_i32_i8_e32 v8, v142, v6
	;; [unrolled: 1-line block ×7, first 2 shown]
	v_mul_lo_u32 v4, v8, v219
	v_dot4c_i32_i8_e32 v223, v146, v14
	v_mad_u64_u32 v[0:1], s[20:21], v5, v220, v[4:5]
	v_cvt_f32_i32_e32 v0, v0
	v_dot4c_i32_i8_e32 v12, v157, v9
	v_dot4c_i32_i8_e32 v223, v147, v15
	v_dot4c_i32_i8_e32 v12, v154, v10
	v_dot4c_i32_i8_e32 v12, v155, v11
	v_fma_f32 v2, v162, v0, 0
	v_mul_lo_u32 v0, v223, v222
	v_mov_b32_e32 v223, 0
	v_mad_u64_u32 v[0:1], s[20:21], v12, v221, v[0:1]
	v_cvt_f32_i32_e32 v0, v0
	v_fmac_f32_e32 v43, v205, v227
	v_fmac_f32_e32 v2, v163, v0
	v_or_b32_e32 v0, s1, v179
	v_lshlrev_b32_e32 v12, 2, v0
	v_lshrrev_b32_e32 v162, 1, v0
	v_fmac_f32_e32 v41, v206, v2
	ds_read_b128 v[0:3], v12 offset:33280
	ds_read_b128 v[4:7], v12 offset:33296
	;; [unrolled: 1-line block ×4, first 2 shown]
	ds_read_b64 v[162:163], v162 offset:43584
	s_waitcnt lgkmcnt(4)
	v_dot4c_i32_i8_e32 v225, v100, v0
	s_waitcnt lgkmcnt(3)
	v_dot4c_i32_i8_e32 v224, v104, v4
	v_dot4c_i32_i8_e32 v224, v105, v5
	;; [unrolled: 1-line block ×7, first 2 shown]
	s_waitcnt lgkmcnt(1)
	v_dot4c_i32_i8_e32 v223, v160, v12
	v_mul_lo_u32 v224, v224, v207
	v_dot4c_i32_i8_e32 v223, v161, v13
	v_mad_u64_u32 v[224:225], s[20:21], v225, v208, v[224:225]
	v_cvt_f32_i32_e32 v224, v224
	v_dot4c_i32_i8_e32 v226, v116, v8
	v_dot4c_i32_i8_e32 v223, v158, v14
	;; [unrolled: 1-line block ×6, first 2 shown]
	s_waitcnt lgkmcnt(0)
	v_fma_f32 v227, v162, v224, 0
	v_mul_lo_u32 v224, v223, v210
	v_mad_u64_u32 v[224:225], s[20:21], v226, v209, v[224:225]
	v_cvt_f32_i32_e32 v223, v224
	v_mov_b32_e32 v224, 0
	v_dot4c_i32_i8_e32 v224, v112, v4
	v_mov_b32_e32 v225, 0
	v_dot4c_i32_i8_e32 v224, v113, v5
	v_dot4c_i32_i8_e32 v225, v108, v0
	;; [unrolled: 1-line block ×7, first 2 shown]
	v_fmac_f32_e32 v227, v163, v223
	v_mul_lo_u32 v224, v224, v211
	v_mov_b32_e32 v223, 0
	v_mad_u64_u32 v[224:225], s[20:21], v225, v212, v[224:225]
	v_dot4c_i32_i8_e32 v223, v120, v12
	v_mov_b32_e32 v226, 0
	v_cvt_f32_i32_e32 v224, v224
	v_dot4c_i32_i8_e32 v223, v121, v13
	v_dot4c_i32_i8_e32 v226, v136, v8
	;; [unrolled: 1-line block ×6, first 2 shown]
	v_fmac_f32_e32 v39, v203, v227
	v_dot4c_i32_i8_e32 v226, v133, v11
	v_fma_f32 v227, v162, v224, 0
	v_mul_lo_u32 v224, v223, v214
	s_nop 0
	v_mad_u64_u32 v[224:225], s[20:21], v226, v213, v[224:225]
	v_cvt_f32_i32_e32 v223, v224
	v_mov_b32_e32 v224, 0
	v_dot4c_i32_i8_e32 v224, v128, v4
	v_mov_b32_e32 v225, 0
	v_dot4c_i32_i8_e32 v224, v129, v5
	v_dot4c_i32_i8_e32 v225, v124, v0
	;; [unrolled: 1-line block ×7, first 2 shown]
	v_fmac_f32_e32 v227, v163, v223
	v_mul_lo_u32 v224, v224, v215
	v_mov_b32_e32 v223, 0
	v_mad_u64_u32 v[224:225], s[20:21], v225, v216, v[224:225]
	v_dot4c_i32_i8_e32 v223, v140, v12
	v_mov_b32_e32 v226, 0
	v_cvt_f32_i32_e32 v224, v224
	v_dot4c_i32_i8_e32 v223, v141, v13
	v_dot4c_i32_i8_e32 v226, v152, v8
	;; [unrolled: 1-line block ×6, first 2 shown]
	v_fmac_f32_e32 v37, v204, v227
	v_dot4c_i32_i8_e32 v226, v149, v11
	v_fma_f32 v227, v162, v224, 0
	v_mul_lo_u32 v224, v223, v218
	s_nop 0
	v_mad_u64_u32 v[224:225], s[20:21], v226, v217, v[224:225]
	v_cvt_f32_i32_e32 v223, v224
	v_mov_b32_e32 v224, 0
	v_mov_b32_e32 v225, 0
	;; [unrolled: 1-line block ×3, first 2 shown]
	v_fmac_f32_e32 v227, v163, v223
	v_mov_b32_e32 v223, 0
	v_dot4c_i32_i8_e32 v223, v150, v12
	v_mov_b32_e32 v12, 0
	v_dot4c_i32_i8_e32 v12, v156, v8
	;; [unrolled: 2-line block ×3, first 2 shown]
	v_dot4c_i32_i8_e32 v8, v145, v5
	v_mov_b32_e32 v5, 0
	v_dot4c_i32_i8_e32 v5, v134, v0
	v_dot4c_i32_i8_e32 v8, v142, v6
	;; [unrolled: 1-line block ×7, first 2 shown]
	v_mul_lo_u32 v4, v8, v219
	v_dot4c_i32_i8_e32 v223, v146, v14
	v_mad_u64_u32 v[0:1], s[20:21], v5, v220, v[4:5]
	v_cvt_f32_i32_e32 v0, v0
	v_dot4c_i32_i8_e32 v12, v157, v9
	v_dot4c_i32_i8_e32 v223, v147, v15
	;; [unrolled: 1-line block ×4, first 2 shown]
	v_fma_f32 v2, v162, v0, 0
	v_mul_lo_u32 v0, v223, v222
	v_mov_b32_e32 v223, 0
	v_mad_u64_u32 v[0:1], s[20:21], v12, v221, v[0:1]
	v_cvt_f32_i32_e32 v0, v0
	v_fmac_f32_e32 v35, v205, v227
	v_fmac_f32_e32 v2, v163, v0
	v_or_b32_e32 v0, s1, v182
	v_lshlrev_b32_e32 v12, 2, v0
	v_lshrrev_b32_e32 v162, 1, v0
	v_fmac_f32_e32 v33, v206, v2
	ds_read_b128 v[0:3], v12 offset:33280
	ds_read_b128 v[4:7], v12 offset:33296
	;; [unrolled: 1-line block ×4, first 2 shown]
	ds_read_b64 v[162:163], v162 offset:43584
	s_waitcnt lgkmcnt(4)
	v_dot4c_i32_i8_e32 v225, v100, v0
	s_waitcnt lgkmcnt(3)
	v_dot4c_i32_i8_e32 v224, v104, v4
	v_dot4c_i32_i8_e32 v224, v105, v5
	;; [unrolled: 1-line block ×7, first 2 shown]
	s_waitcnt lgkmcnt(1)
	v_dot4c_i32_i8_e32 v223, v160, v12
	v_mul_lo_u32 v224, v224, v207
	v_dot4c_i32_i8_e32 v223, v161, v13
	v_mad_u64_u32 v[224:225], s[20:21], v225, v208, v[224:225]
	v_cvt_f32_i32_e32 v224, v224
	v_dot4c_i32_i8_e32 v226, v116, v8
	v_dot4c_i32_i8_e32 v223, v158, v14
	;; [unrolled: 1-line block ×6, first 2 shown]
	s_waitcnt lgkmcnt(0)
	v_fma_f32 v227, v162, v224, 0
	v_mul_lo_u32 v224, v223, v210
	v_mad_u64_u32 v[224:225], s[20:21], v226, v209, v[224:225]
	v_cvt_f32_i32_e32 v223, v224
	v_mov_b32_e32 v224, 0
	v_dot4c_i32_i8_e32 v224, v112, v4
	v_mov_b32_e32 v225, 0
	v_dot4c_i32_i8_e32 v224, v113, v5
	v_dot4c_i32_i8_e32 v225, v108, v0
	;; [unrolled: 1-line block ×7, first 2 shown]
	v_fmac_f32_e32 v227, v163, v223
	v_mul_lo_u32 v224, v224, v211
	v_mov_b32_e32 v223, 0
	v_mad_u64_u32 v[224:225], s[20:21], v225, v212, v[224:225]
	v_dot4c_i32_i8_e32 v223, v120, v12
	v_mov_b32_e32 v226, 0
	v_cvt_f32_i32_e32 v224, v224
	v_dot4c_i32_i8_e32 v223, v121, v13
	v_dot4c_i32_i8_e32 v226, v136, v8
	;; [unrolled: 1-line block ×6, first 2 shown]
	v_fmac_f32_e32 v31, v203, v227
	v_dot4c_i32_i8_e32 v226, v133, v11
	v_fma_f32 v227, v162, v224, 0
	v_mul_lo_u32 v224, v223, v214
	s_nop 0
	v_mad_u64_u32 v[224:225], s[20:21], v226, v213, v[224:225]
	v_cvt_f32_i32_e32 v223, v224
	v_mov_b32_e32 v224, 0
	v_dot4c_i32_i8_e32 v224, v128, v4
	v_mov_b32_e32 v225, 0
	v_dot4c_i32_i8_e32 v224, v129, v5
	v_dot4c_i32_i8_e32 v225, v124, v0
	;; [unrolled: 1-line block ×7, first 2 shown]
	v_fmac_f32_e32 v227, v163, v223
	v_mul_lo_u32 v224, v224, v215
	v_mov_b32_e32 v223, 0
	v_mad_u64_u32 v[224:225], s[20:21], v225, v216, v[224:225]
	v_dot4c_i32_i8_e32 v223, v140, v12
	v_mov_b32_e32 v226, 0
	v_cvt_f32_i32_e32 v224, v224
	v_dot4c_i32_i8_e32 v223, v141, v13
	v_dot4c_i32_i8_e32 v226, v152, v8
	;; [unrolled: 1-line block ×6, first 2 shown]
	v_fmac_f32_e32 v29, v204, v227
	v_dot4c_i32_i8_e32 v226, v149, v11
	v_fma_f32 v227, v162, v224, 0
	v_mul_lo_u32 v224, v223, v218
	s_nop 0
	v_mad_u64_u32 v[224:225], s[20:21], v226, v217, v[224:225]
	v_cvt_f32_i32_e32 v223, v224
	v_fmac_f32_e32 v227, v163, v223
	v_mov_b32_e32 v223, 0
	v_dot4c_i32_i8_e32 v223, v150, v12
	v_mov_b32_e32 v12, 0
	v_dot4c_i32_i8_e32 v12, v156, v8
	;; [unrolled: 2-line block ×3, first 2 shown]
	v_dot4c_i32_i8_e32 v8, v145, v5
	v_mov_b32_e32 v5, 0
	v_dot4c_i32_i8_e32 v5, v134, v0
	v_dot4c_i32_i8_e32 v8, v142, v6
	;; [unrolled: 1-line block ×7, first 2 shown]
	v_mul_lo_u32 v4, v8, v219
	v_dot4c_i32_i8_e32 v223, v146, v14
	v_mad_u64_u32 v[0:1], s[20:21], v5, v220, v[4:5]
	v_cvt_f32_i32_e32 v0, v0
	v_dot4c_i32_i8_e32 v12, v157, v9
	v_dot4c_i32_i8_e32 v223, v147, v15
	;; [unrolled: 1-line block ×4, first 2 shown]
	v_fma_f32 v2, v162, v0, 0
	v_mul_lo_u32 v0, v223, v222
	v_mov_b32_e32 v223, 0
	v_mad_u64_u32 v[0:1], s[20:21], v12, v221, v[0:1]
	v_cvt_f32_i32_e32 v0, v0
	v_fmac_f32_e32 v27, v205, v227
	v_fmac_f32_e32 v2, v163, v0
	v_or_b32_e32 v0, s1, v185
	v_lshlrev_b32_e32 v12, 2, v0
	v_lshrrev_b32_e32 v162, 1, v0
	v_fmac_f32_e32 v25, v206, v2
	ds_read_b128 v[0:3], v12 offset:33280
	ds_read_b128 v[4:7], v12 offset:33296
	;; [unrolled: 1-line block ×4, first 2 shown]
	ds_read_b64 v[162:163], v162 offset:43584
	s_add_i32 s1, s0, 8
	s_cmp_lt_u32 s0, 24
	s_mov_b32 s0, s1
	s_waitcnt lgkmcnt(1)
	v_dot4c_i32_i8_e32 v223, v160, v12
	v_dot4c_i32_i8_e32 v223, v161, v13
	;; [unrolled: 1-line block ×3, first 2 shown]
	v_mov_b32_e32 v158, 0
	v_dot4c_i32_i8_e32 v158, v116, v8
	v_dot4c_i32_i8_e32 v158, v117, v9
	;; [unrolled: 1-line block ×3, first 2 shown]
	v_mov_b32_e32 v114, 0
	v_dot4c_i32_i8_e32 v114, v104, v4
	v_dot4c_i32_i8_e32 v114, v105, v5
	v_dot4c_i32_i8_e32 v114, v102, v6
	v_dot4c_i32_i8_e32 v114, v103, v7
	v_mov_b32_e32 v103, 0
	v_dot4c_i32_i8_e32 v103, v100, v0
	v_dot4c_i32_i8_e32 v103, v101, v1
	;; [unrolled: 1-line block ×3, first 2 shown]
	v_mul_lo_u32 v102, v114, v207
	v_dot4c_i32_i8_e32 v103, v99, v3
	v_dot4c_i32_i8_e32 v223, v159, v15
	;; [unrolled: 1-line block ×3, first 2 shown]
	v_mov_b32_e32 v101, 0
	v_mad_u64_u32 v[98:99], s[20:21], v103, v208, v[102:103]
	v_cvt_f32_i32_e32 v98, v98
	v_dot4c_i32_i8_e32 v101, v136, v8
	v_dot4c_i32_i8_e32 v101, v137, v9
	v_dot4c_i32_i8_e32 v101, v132, v10
	s_waitcnt lgkmcnt(0)
	v_fma_f32 v100, v162, v98, 0
	v_mul_lo_u32 v98, v223, v210
	v_mad_u64_u32 v[98:99], s[20:21], v158, v209, v[98:99]
	v_cvt_f32_i32_e32 v98, v98
	v_mov_b32_e32 v99, 0
	v_dot4c_i32_i8_e32 v99, v108, v0
	v_dot4c_i32_i8_e32 v99, v109, v1
	v_fmac_f32_e32 v100, v163, v98
	v_mov_b32_e32 v98, 0
	v_dot4c_i32_i8_e32 v98, v112, v4
	v_dot4c_i32_i8_e32 v98, v113, v5
	;; [unrolled: 1-line block ×6, first 2 shown]
	v_fmac_f32_e32 v23, v203, v100
	v_mul_lo_u32 v98, v98, v211
	v_mov_b32_e32 v100, 0
	v_mad_u64_u32 v[98:99], s[20:21], v99, v212, v[98:99]
	v_dot4c_i32_i8_e32 v100, v120, v12
	v_cvt_f32_i32_e32 v98, v98
	v_dot4c_i32_i8_e32 v100, v121, v13
	v_dot4c_i32_i8_e32 v100, v118, v14
	;; [unrolled: 1-line block ×4, first 2 shown]
	v_fma_f32 v102, v162, v98, 0
	s_nop 0
	v_mul_lo_u32 v98, v100, v214
	v_mad_u64_u32 v[98:99], s[20:21], v101, v213, v[98:99]
	v_cvt_f32_i32_e32 v98, v98
	v_mov_b32_e32 v99, 0
	v_dot4c_i32_i8_e32 v99, v124, v0
	v_dot4c_i32_i8_e32 v99, v125, v1
	v_fmac_f32_e32 v102, v163, v98
	v_mov_b32_e32 v98, 0
	v_dot4c_i32_i8_e32 v98, v128, v4
	v_dot4c_i32_i8_e32 v98, v129, v5
	;; [unrolled: 1-line block ×6, first 2 shown]
	v_mov_b32_e32 v100, 0
	v_mul_lo_u32 v98, v98, v215
	v_dot4c_i32_i8_e32 v100, v140, v12
	v_mad_u64_u32 v[98:99], s[20:21], v99, v216, v[98:99]
	v_mov_b32_e32 v101, 0
	v_cvt_f32_i32_e32 v98, v98
	v_dot4c_i32_i8_e32 v100, v141, v13
	v_dot4c_i32_i8_e32 v101, v152, v8
	v_dot4c_i32_i8_e32 v100, v138, v14
	v_dot4c_i32_i8_e32 v101, v153, v9
	v_dot4c_i32_i8_e32 v100, v139, v15
	v_dot4c_i32_i8_e32 v101, v148, v10
	v_fmac_f32_e32 v21, v204, v102
	v_dot4c_i32_i8_e32 v101, v149, v11
	v_fma_f32 v102, v162, v98, 0
	v_mul_lo_u32 v98, v100, v218
	s_nop 0
	v_mad_u64_u32 v[98:99], s[20:21], v101, v217, v[98:99]
	v_cvt_f32_i32_e32 v98, v98
	v_fmac_f32_e32 v102, v163, v98
	v_mov_b32_e32 v98, 0
	v_dot4c_i32_i8_e32 v98, v150, v12
	v_mov_b32_e32 v12, 0
	v_dot4c_i32_i8_e32 v12, v156, v8
	;; [unrolled: 2-line block ×3, first 2 shown]
	v_dot4c_i32_i8_e32 v8, v145, v5
	v_mov_b32_e32 v5, 0
	v_dot4c_i32_i8_e32 v5, v134, v0
	v_dot4c_i32_i8_e32 v8, v142, v6
	;; [unrolled: 1-line block ×7, first 2 shown]
	v_mul_lo_u32 v4, v8, v219
	v_dot4c_i32_i8_e32 v98, v146, v14
	v_mad_u64_u32 v[0:1], s[20:21], v5, v220, v[4:5]
	v_cvt_f32_i32_e32 v0, v0
	v_dot4c_i32_i8_e32 v12, v157, v9
	v_dot4c_i32_i8_e32 v98, v147, v15
	;; [unrolled: 1-line block ×4, first 2 shown]
	v_fma_f32 v2, v162, v0, 0
	v_mul_lo_u32 v0, v98, v222
	v_fmac_f32_e32 v19, v205, v102
	v_mad_u64_u32 v[0:1], s[20:21], v12, v221, v[0:1]
	v_cvt_f32_i32_e32 v0, v0
	v_fmac_f32_e32 v2, v163, v0
	v_fmac_f32_e32 v17, v206, v2
	s_cbranch_scc1 .LBB136_8
; %bb.9:                                ;   in Loop: Header=BB136_5 Depth=1
	s_add_i32 s9, s9, 1
	s_cmp_eq_u32 s9, s4
	s_barrier
	s_cbranch_scc0 .LBB136_5
; %bb.10:
	v_mov_b32_e32 v1, v59
.LBB136_11:
	v_cmp_gt_u32_e32 vcc, s10, v69
	s_and_saveexec_b64 s[0:1], vcc
	s_cbranch_execz .LBB136_62
; %bb.12:
	v_add_u32_e32 v0, s6, v55
	v_mul_lo_u32 v5, v69, s14
	v_cmp_gt_u32_e32 vcc, s14, v0
	s_and_saveexec_b64 s[2:3], vcc
	s_cbranch_execz .LBB136_14
; %bb.13:
	v_add_u32_e32 v2, v0, v5
	v_mov_b32_e32 v3, 0
	v_lshlrev_b64 v[2:3], 2, v[2:3]
	s_waitcnt lgkmcnt(0)
	v_mov_b32_e32 v4, s13
	v_add_co_u32_e64 v2, s[0:1], s12, v2
	v_addc_co_u32_e64 v3, s[0:1], v4, v3, s[0:1]
	global_store_dword v[2:3], v91, off
.LBB136_14:
	s_or_b64 exec, exec, s[2:3]
	v_add_u32_e32 v2, 32, v0
	v_cmp_gt_u32_e64 s[0:1], s14, v2
	s_and_saveexec_b64 s[4:5], s[0:1]
	s_cbranch_execz .LBB136_16
; %bb.15:
	v_add_u32_e32 v6, v2, v5
	v_mov_b32_e32 v7, 0
	v_lshlrev_b64 v[6:7], 2, v[6:7]
	s_waitcnt lgkmcnt(0)
	v_mov_b32_e32 v3, s13
	v_add_co_u32_e64 v6, s[2:3], s12, v6
	v_addc_co_u32_e64 v7, s[2:3], v3, v7, s[2:3]
	global_store_dword v[6:7], v89, off
.LBB136_16:
	s_or_b64 exec, exec, s[4:5]
	v_add_u32_e32 v3, 64, v0
	v_cmp_gt_u32_e64 s[2:3], s14, v3
	s_and_saveexec_b64 s[6:7], s[2:3]
	s_cbranch_execz .LBB136_18
; %bb.17:
	v_add_u32_e32 v6, v3, v5
	v_mov_b32_e32 v7, 0
	v_lshlrev_b64 v[6:7], 2, v[6:7]
	s_waitcnt lgkmcnt(0)
	v_mov_b32_e32 v4, s13
	v_add_co_u32_e64 v6, s[4:5], s12, v6
	v_addc_co_u32_e64 v7, s[4:5], v4, v7, s[4:5]
	global_store_dword v[6:7], v87, off
.LBB136_18:
	s_or_b64 exec, exec, s[6:7]
	v_add_u32_e32 v4, 0x60, v0
	v_cmp_gt_u32_e64 s[4:5], s14, v4
	s_and_saveexec_b64 s[8:9], s[4:5]
	s_cbranch_execz .LBB136_20
; %bb.19:
	v_add_u32_e32 v6, v4, v5
	v_mov_b32_e32 v7, 0
	v_lshlrev_b64 v[6:7], 2, v[6:7]
	s_waitcnt lgkmcnt(0)
	v_mov_b32_e32 v5, s13
	v_add_co_u32_e64 v6, s[6:7], s12, v6
	v_addc_co_u32_e64 v7, s[6:7], v5, v7, s[6:7]
	global_store_dword v[6:7], v81, off
.LBB136_20:
	s_or_b64 exec, exec, s[8:9]
	v_add3_u32 v5, v1, s15, 8
	v_cmp_gt_u32_e64 s[6:7], s10, v5
	s_and_b64 exec, exec, s[6:7]
	s_cbranch_execz .LBB136_62
; %bb.21:
	v_mul_lo_u32 v5, v5, s14
	s_and_saveexec_b64 s[8:9], vcc
	s_cbranch_execnz .LBB136_63
; %bb.22:
	s_or_b64 exec, exec, s[8:9]
	s_and_saveexec_b64 s[8:9], s[0:1]
	s_cbranch_execnz .LBB136_64
.LBB136_23:
	s_or_b64 exec, exec, s[8:9]
	s_and_saveexec_b64 s[8:9], s[2:3]
	s_cbranch_execnz .LBB136_65
.LBB136_24:
	s_or_b64 exec, exec, s[8:9]
	s_and_saveexec_b64 s[8:9], s[4:5]
	s_cbranch_execz .LBB136_26
.LBB136_25:
	v_add_u32_e32 v6, v5, v4
	v_mov_b32_e32 v7, 0
	v_lshlrev_b64 v[6:7], 2, v[6:7]
	s_waitcnt lgkmcnt(0)
	v_mov_b32_e32 v5, s13
	v_add_co_u32_e64 v6, s[6:7], s12, v6
	v_addc_co_u32_e64 v7, s[6:7], v5, v7, s[6:7]
	global_store_dword v[6:7], v71, off
.LBB136_26:
	s_or_b64 exec, exec, s[8:9]
	v_add3_u32 v5, v1, s15, 16
	v_cmp_gt_u32_e64 s[6:7], s10, v5
	s_and_b64 exec, exec, s[6:7]
	s_cbranch_execz .LBB136_62
; %bb.27:
	v_mul_lo_u32 v5, v5, s14
	s_and_saveexec_b64 s[8:9], vcc
	s_cbranch_execnz .LBB136_66
; %bb.28:
	s_or_b64 exec, exec, s[8:9]
	s_and_saveexec_b64 s[8:9], s[0:1]
	s_cbranch_execnz .LBB136_67
.LBB136_29:
	s_or_b64 exec, exec, s[8:9]
	s_and_saveexec_b64 s[8:9], s[2:3]
	s_cbranch_execnz .LBB136_68
.LBB136_30:
	s_or_b64 exec, exec, s[8:9]
	s_and_saveexec_b64 s[8:9], s[4:5]
	s_cbranch_execz .LBB136_32
.LBB136_31:
	v_add_u32_e32 v6, v5, v4
	v_mov_b32_e32 v7, 0
	v_lshlrev_b64 v[6:7], 2, v[6:7]
	s_waitcnt lgkmcnt(0)
	v_mov_b32_e32 v5, s13
	v_add_co_u32_e64 v6, s[6:7], s12, v6
	v_addc_co_u32_e64 v7, s[6:7], v5, v7, s[6:7]
	global_store_dword v[6:7], v61, off
.LBB136_32:
	s_or_b64 exec, exec, s[8:9]
	v_add3_u32 v5, v1, s15, 24
	v_cmp_gt_u32_e64 s[6:7], s10, v5
	s_and_b64 exec, exec, s[6:7]
	s_cbranch_execz .LBB136_62
; %bb.33:
	v_mul_lo_u32 v5, v5, s14
	s_and_saveexec_b64 s[8:9], vcc
	s_cbranch_execnz .LBB136_69
; %bb.34:
	s_or_b64 exec, exec, s[8:9]
	s_and_saveexec_b64 s[8:9], s[0:1]
	s_cbranch_execnz .LBB136_70
.LBB136_35:
	s_or_b64 exec, exec, s[8:9]
	s_and_saveexec_b64 s[8:9], s[2:3]
	s_cbranch_execnz .LBB136_71
.LBB136_36:
	s_or_b64 exec, exec, s[8:9]
	s_and_saveexec_b64 s[8:9], s[4:5]
	s_cbranch_execz .LBB136_38
.LBB136_37:
	v_add_u32_e32 v6, v5, v4
	v_mov_b32_e32 v7, 0
	v_lshlrev_b64 v[6:7], 2, v[6:7]
	s_waitcnt lgkmcnt(0)
	v_mov_b32_e32 v5, s13
	v_add_co_u32_e64 v6, s[6:7], s12, v6
	v_addc_co_u32_e64 v7, s[6:7], v5, v7, s[6:7]
	global_store_dword v[6:7], v49, off
.LBB136_38:
	s_or_b64 exec, exec, s[8:9]
	v_add3_u32 v5, v1, s15, 32
	v_cmp_gt_u32_e64 s[6:7], s10, v5
	s_and_b64 exec, exec, s[6:7]
	s_cbranch_execz .LBB136_62
; %bb.39:
	v_mul_lo_u32 v5, v5, s14
	s_and_saveexec_b64 s[8:9], vcc
	s_cbranch_execnz .LBB136_72
; %bb.40:
	s_or_b64 exec, exec, s[8:9]
	s_and_saveexec_b64 s[8:9], s[0:1]
	s_cbranch_execnz .LBB136_73
.LBB136_41:
	s_or_b64 exec, exec, s[8:9]
	s_and_saveexec_b64 s[8:9], s[2:3]
	s_cbranch_execnz .LBB136_74
.LBB136_42:
	s_or_b64 exec, exec, s[8:9]
	s_and_saveexec_b64 s[8:9], s[4:5]
	s_cbranch_execz .LBB136_44
.LBB136_43:
	v_add_u32_e32 v6, v5, v4
	v_mov_b32_e32 v7, 0
	v_lshlrev_b64 v[6:7], 2, v[6:7]
	s_waitcnt lgkmcnt(0)
	v_mov_b32_e32 v5, s13
	v_add_co_u32_e64 v6, s[6:7], s12, v6
	v_addc_co_u32_e64 v7, s[6:7], v5, v7, s[6:7]
	global_store_dword v[6:7], v41, off
.LBB136_44:
	s_or_b64 exec, exec, s[8:9]
	v_add3_u32 v5, v1, s15, 40
	v_cmp_gt_u32_e64 s[6:7], s10, v5
	s_and_b64 exec, exec, s[6:7]
	s_cbranch_execz .LBB136_62
; %bb.45:
	v_mul_lo_u32 v5, v5, s14
	s_and_saveexec_b64 s[8:9], vcc
	s_cbranch_execnz .LBB136_75
; %bb.46:
	s_or_b64 exec, exec, s[8:9]
	s_and_saveexec_b64 s[8:9], s[0:1]
	s_cbranch_execnz .LBB136_76
.LBB136_47:
	s_or_b64 exec, exec, s[8:9]
	s_and_saveexec_b64 s[8:9], s[2:3]
	s_cbranch_execnz .LBB136_77
.LBB136_48:
	s_or_b64 exec, exec, s[8:9]
	s_and_saveexec_b64 s[8:9], s[4:5]
	s_cbranch_execz .LBB136_50
.LBB136_49:
	v_add_u32_e32 v6, v5, v4
	v_mov_b32_e32 v7, 0
	v_lshlrev_b64 v[6:7], 2, v[6:7]
	s_waitcnt lgkmcnt(0)
	v_mov_b32_e32 v5, s13
	v_add_co_u32_e64 v6, s[6:7], s12, v6
	v_addc_co_u32_e64 v7, s[6:7], v5, v7, s[6:7]
	global_store_dword v[6:7], v33, off
.LBB136_50:
	s_or_b64 exec, exec, s[8:9]
	v_add3_u32 v5, v1, s15, 48
	v_cmp_gt_u32_e64 s[6:7], s10, v5
	s_and_b64 exec, exec, s[6:7]
	s_cbranch_execz .LBB136_62
; %bb.51:
	v_mul_lo_u32 v5, v5, s14
	s_and_saveexec_b64 s[8:9], vcc
	s_cbranch_execnz .LBB136_78
; %bb.52:
	s_or_b64 exec, exec, s[8:9]
	s_and_saveexec_b64 s[8:9], s[0:1]
	s_cbranch_execnz .LBB136_79
.LBB136_53:
	s_or_b64 exec, exec, s[8:9]
	s_and_saveexec_b64 s[8:9], s[2:3]
	s_cbranch_execnz .LBB136_80
.LBB136_54:
	s_or_b64 exec, exec, s[8:9]
	s_and_saveexec_b64 s[8:9], s[4:5]
	s_cbranch_execz .LBB136_56
.LBB136_55:
	v_add_u32_e32 v6, v5, v4
	v_mov_b32_e32 v7, 0
	v_lshlrev_b64 v[6:7], 2, v[6:7]
	s_waitcnt lgkmcnt(0)
	v_mov_b32_e32 v5, s13
	v_add_co_u32_e64 v6, s[6:7], s12, v6
	v_addc_co_u32_e64 v7, s[6:7], v5, v7, s[6:7]
	global_store_dword v[6:7], v25, off
.LBB136_56:
	s_or_b64 exec, exec, s[8:9]
	v_add3_u32 v1, v1, s15, 56
	v_cmp_gt_u32_e64 s[6:7], s10, v1
	s_and_b64 exec, exec, s[6:7]
	s_cbranch_execz .LBB136_62
; %bb.57:
	v_mul_lo_u32 v1, v1, s14
	s_and_saveexec_b64 s[6:7], vcc
	s_cbranch_execnz .LBB136_81
; %bb.58:
	s_or_b64 exec, exec, s[6:7]
	s_and_saveexec_b64 s[6:7], s[0:1]
	s_cbranch_execnz .LBB136_82
.LBB136_59:
	s_or_b64 exec, exec, s[6:7]
	s_and_saveexec_b64 s[0:1], s[2:3]
	s_cbranch_execnz .LBB136_83
.LBB136_60:
	s_or_b64 exec, exec, s[0:1]
	s_and_b64 exec, exec, s[4:5]
	s_cbranch_execz .LBB136_62
.LBB136_61:
	v_add_u32_e32 v0, v1, v4
	v_mov_b32_e32 v1, 0
	v_lshlrev_b64 v[0:1], 2, v[0:1]
	s_waitcnt lgkmcnt(0)
	v_mov_b32_e32 v2, s13
	v_add_co_u32_e32 v0, vcc, s12, v0
	v_addc_co_u32_e32 v1, vcc, v2, v1, vcc
	global_store_dword v[0:1], v17, off
.LBB136_62:
	s_endpgm
.LBB136_63:
	v_add_u32_e32 v6, v5, v0
	v_mov_b32_e32 v7, 0
	v_lshlrev_b64 v[6:7], 2, v[6:7]
	s_waitcnt lgkmcnt(0)
	v_mov_b32_e32 v8, s13
	v_add_co_u32_e64 v6, s[6:7], s12, v6
	v_addc_co_u32_e64 v7, s[6:7], v8, v7, s[6:7]
	global_store_dword v[6:7], v79, off
	s_or_b64 exec, exec, s[8:9]
	s_and_saveexec_b64 s[8:9], s[0:1]
	s_cbranch_execz .LBB136_23
.LBB136_64:
	v_add_u32_e32 v6, v5, v2
	v_mov_b32_e32 v7, 0
	v_lshlrev_b64 v[6:7], 2, v[6:7]
	s_waitcnt lgkmcnt(0)
	v_mov_b32_e32 v8, s13
	v_add_co_u32_e64 v6, s[6:7], s12, v6
	v_addc_co_u32_e64 v7, s[6:7], v8, v7, s[6:7]
	global_store_dword v[6:7], v77, off
	s_or_b64 exec, exec, s[8:9]
	s_and_saveexec_b64 s[8:9], s[2:3]
	s_cbranch_execz .LBB136_24
.LBB136_65:
	v_add_u32_e32 v6, v5, v3
	v_mov_b32_e32 v7, 0
	v_lshlrev_b64 v[6:7], 2, v[6:7]
	s_waitcnt lgkmcnt(0)
	v_mov_b32_e32 v8, s13
	v_add_co_u32_e64 v6, s[6:7], s12, v6
	v_addc_co_u32_e64 v7, s[6:7], v8, v7, s[6:7]
	global_store_dword v[6:7], v73, off
	s_or_b64 exec, exec, s[8:9]
	s_and_saveexec_b64 s[8:9], s[4:5]
	s_cbranch_execnz .LBB136_25
	s_branch .LBB136_26
.LBB136_66:
	v_add_u32_e32 v6, v5, v0
	v_mov_b32_e32 v7, 0
	v_lshlrev_b64 v[6:7], 2, v[6:7]
	s_waitcnt lgkmcnt(0)
	v_mov_b32_e32 v8, s13
	v_add_co_u32_e64 v6, s[6:7], s12, v6
	v_addc_co_u32_e64 v7, s[6:7], v8, v7, s[6:7]
	global_store_dword v[6:7], v67, off
	s_or_b64 exec, exec, s[8:9]
	s_and_saveexec_b64 s[8:9], s[0:1]
	s_cbranch_execz .LBB136_29
.LBB136_67:
	v_add_u32_e32 v6, v5, v2
	v_mov_b32_e32 v7, 0
	v_lshlrev_b64 v[6:7], 2, v[6:7]
	s_waitcnt lgkmcnt(0)
	v_mov_b32_e32 v8, s13
	v_add_co_u32_e64 v6, s[6:7], s12, v6
	v_addc_co_u32_e64 v7, s[6:7], v8, v7, s[6:7]
	global_store_dword v[6:7], v65, off
	s_or_b64 exec, exec, s[8:9]
	s_and_saveexec_b64 s[8:9], s[2:3]
	s_cbranch_execz .LBB136_30
.LBB136_68:
	v_add_u32_e32 v6, v5, v3
	v_mov_b32_e32 v7, 0
	v_lshlrev_b64 v[6:7], 2, v[6:7]
	s_waitcnt lgkmcnt(0)
	v_mov_b32_e32 v8, s13
	v_add_co_u32_e64 v6, s[6:7], s12, v6
	v_addc_co_u32_e64 v7, s[6:7], v8, v7, s[6:7]
	global_store_dword v[6:7], v63, off
	s_or_b64 exec, exec, s[8:9]
	s_and_saveexec_b64 s[8:9], s[4:5]
	s_cbranch_execnz .LBB136_31
	s_branch .LBB136_32
.LBB136_69:
	v_add_u32_e32 v6, v5, v0
	v_mov_b32_e32 v7, 0
	v_lshlrev_b64 v[6:7], 2, v[6:7]
	s_waitcnt lgkmcnt(0)
	v_mov_b32_e32 v8, s13
	v_add_co_u32_e64 v6, s[6:7], s12, v6
	v_addc_co_u32_e64 v7, s[6:7], v8, v7, s[6:7]
	global_store_dword v[6:7], v57, off
	s_or_b64 exec, exec, s[8:9]
	s_and_saveexec_b64 s[8:9], s[0:1]
	s_cbranch_execz .LBB136_35
.LBB136_70:
	v_add_u32_e32 v6, v5, v2
	v_mov_b32_e32 v7, 0
	v_lshlrev_b64 v[6:7], 2, v[6:7]
	s_waitcnt lgkmcnt(0)
	v_mov_b32_e32 v8, s13
	v_add_co_u32_e64 v6, s[6:7], s12, v6
	v_addc_co_u32_e64 v7, s[6:7], v8, v7, s[6:7]
	global_store_dword v[6:7], v53, off
	s_or_b64 exec, exec, s[8:9]
	s_and_saveexec_b64 s[8:9], s[2:3]
	s_cbranch_execz .LBB136_36
.LBB136_71:
	v_add_u32_e32 v6, v5, v3
	v_mov_b32_e32 v7, 0
	v_lshlrev_b64 v[6:7], 2, v[6:7]
	s_waitcnt lgkmcnt(0)
	v_mov_b32_e32 v8, s13
	v_add_co_u32_e64 v6, s[6:7], s12, v6
	v_addc_co_u32_e64 v7, s[6:7], v8, v7, s[6:7]
	global_store_dword v[6:7], v51, off
	s_or_b64 exec, exec, s[8:9]
	s_and_saveexec_b64 s[8:9], s[4:5]
	s_cbranch_execnz .LBB136_37
	s_branch .LBB136_38
.LBB136_72:
	v_add_u32_e32 v6, v5, v0
	v_mov_b32_e32 v7, 0
	v_lshlrev_b64 v[6:7], 2, v[6:7]
	s_waitcnt lgkmcnt(0)
	v_mov_b32_e32 v8, s13
	v_add_co_u32_e64 v6, s[6:7], s12, v6
	v_addc_co_u32_e64 v7, s[6:7], v8, v7, s[6:7]
	global_store_dword v[6:7], v47, off
	s_or_b64 exec, exec, s[8:9]
	s_and_saveexec_b64 s[8:9], s[0:1]
	s_cbranch_execz .LBB136_41
.LBB136_73:
	v_add_u32_e32 v6, v5, v2
	v_mov_b32_e32 v7, 0
	v_lshlrev_b64 v[6:7], 2, v[6:7]
	s_waitcnt lgkmcnt(0)
	v_mov_b32_e32 v8, s13
	v_add_co_u32_e64 v6, s[6:7], s12, v6
	v_addc_co_u32_e64 v7, s[6:7], v8, v7, s[6:7]
	global_store_dword v[6:7], v45, off
	s_or_b64 exec, exec, s[8:9]
	s_and_saveexec_b64 s[8:9], s[2:3]
	s_cbranch_execz .LBB136_42
.LBB136_74:
	v_add_u32_e32 v6, v5, v3
	v_mov_b32_e32 v7, 0
	v_lshlrev_b64 v[6:7], 2, v[6:7]
	s_waitcnt lgkmcnt(0)
	v_mov_b32_e32 v8, s13
	v_add_co_u32_e64 v6, s[6:7], s12, v6
	v_addc_co_u32_e64 v7, s[6:7], v8, v7, s[6:7]
	global_store_dword v[6:7], v43, off
	s_or_b64 exec, exec, s[8:9]
	s_and_saveexec_b64 s[8:9], s[4:5]
	s_cbranch_execnz .LBB136_43
	s_branch .LBB136_44
.LBB136_75:
	v_add_u32_e32 v6, v5, v0
	v_mov_b32_e32 v7, 0
	v_lshlrev_b64 v[6:7], 2, v[6:7]
	s_waitcnt lgkmcnt(0)
	v_mov_b32_e32 v8, s13
	v_add_co_u32_e64 v6, s[6:7], s12, v6
	v_addc_co_u32_e64 v7, s[6:7], v8, v7, s[6:7]
	global_store_dword v[6:7], v39, off
	s_or_b64 exec, exec, s[8:9]
	s_and_saveexec_b64 s[8:9], s[0:1]
	s_cbranch_execz .LBB136_47
.LBB136_76:
	v_add_u32_e32 v6, v5, v2
	v_mov_b32_e32 v7, 0
	v_lshlrev_b64 v[6:7], 2, v[6:7]
	s_waitcnt lgkmcnt(0)
	v_mov_b32_e32 v8, s13
	v_add_co_u32_e64 v6, s[6:7], s12, v6
	v_addc_co_u32_e64 v7, s[6:7], v8, v7, s[6:7]
	global_store_dword v[6:7], v37, off
	s_or_b64 exec, exec, s[8:9]
	s_and_saveexec_b64 s[8:9], s[2:3]
	s_cbranch_execz .LBB136_48
.LBB136_77:
	v_add_u32_e32 v6, v5, v3
	v_mov_b32_e32 v7, 0
	v_lshlrev_b64 v[6:7], 2, v[6:7]
	s_waitcnt lgkmcnt(0)
	v_mov_b32_e32 v8, s13
	v_add_co_u32_e64 v6, s[6:7], s12, v6
	v_addc_co_u32_e64 v7, s[6:7], v8, v7, s[6:7]
	global_store_dword v[6:7], v35, off
	s_or_b64 exec, exec, s[8:9]
	s_and_saveexec_b64 s[8:9], s[4:5]
	s_cbranch_execnz .LBB136_49
	s_branch .LBB136_50
.LBB136_78:
	v_add_u32_e32 v6, v5, v0
	v_mov_b32_e32 v7, 0
	v_lshlrev_b64 v[6:7], 2, v[6:7]
	s_waitcnt lgkmcnt(0)
	v_mov_b32_e32 v8, s13
	v_add_co_u32_e64 v6, s[6:7], s12, v6
	v_addc_co_u32_e64 v7, s[6:7], v8, v7, s[6:7]
	global_store_dword v[6:7], v31, off
	s_or_b64 exec, exec, s[8:9]
	s_and_saveexec_b64 s[8:9], s[0:1]
	s_cbranch_execz .LBB136_53
.LBB136_79:
	v_add_u32_e32 v6, v5, v2
	v_mov_b32_e32 v7, 0
	v_lshlrev_b64 v[6:7], 2, v[6:7]
	s_waitcnt lgkmcnt(0)
	v_mov_b32_e32 v8, s13
	v_add_co_u32_e64 v6, s[6:7], s12, v6
	v_addc_co_u32_e64 v7, s[6:7], v8, v7, s[6:7]
	global_store_dword v[6:7], v29, off
	s_or_b64 exec, exec, s[8:9]
	s_and_saveexec_b64 s[8:9], s[2:3]
	s_cbranch_execz .LBB136_54
.LBB136_80:
	v_add_u32_e32 v6, v5, v3
	v_mov_b32_e32 v7, 0
	v_lshlrev_b64 v[6:7], 2, v[6:7]
	s_waitcnt lgkmcnt(0)
	v_mov_b32_e32 v8, s13
	v_add_co_u32_e64 v6, s[6:7], s12, v6
	v_addc_co_u32_e64 v7, s[6:7], v8, v7, s[6:7]
	global_store_dword v[6:7], v27, off
	s_or_b64 exec, exec, s[8:9]
	s_and_saveexec_b64 s[8:9], s[4:5]
	s_cbranch_execnz .LBB136_55
	s_branch .LBB136_56
.LBB136_81:
	v_add_u32_e32 v6, v1, v0
	v_mov_b32_e32 v7, 0
	v_lshlrev_b64 v[6:7], 2, v[6:7]
	s_waitcnt lgkmcnt(0)
	v_mov_b32_e32 v0, s13
	v_add_co_u32_e32 v6, vcc, s12, v6
	v_addc_co_u32_e32 v7, vcc, v0, v7, vcc
	global_store_dword v[6:7], v23, off
	s_or_b64 exec, exec, s[6:7]
	s_and_saveexec_b64 s[6:7], s[0:1]
	s_cbranch_execz .LBB136_59
.LBB136_82:
	v_add_u32_e32 v6, v1, v2
	v_mov_b32_e32 v7, 0
	v_lshlrev_b64 v[6:7], 2, v[6:7]
	s_waitcnt lgkmcnt(0)
	v_mov_b32_e32 v0, s13
	v_add_co_u32_e32 v6, vcc, s12, v6
	v_addc_co_u32_e32 v7, vcc, v0, v7, vcc
	global_store_dword v[6:7], v21, off
	s_or_b64 exec, exec, s[6:7]
	s_and_saveexec_b64 s[0:1], s[2:3]
	s_cbranch_execz .LBB136_60
.LBB136_83:
	v_add_u32_e32 v2, v1, v3
	v_mov_b32_e32 v3, 0
	v_lshlrev_b64 v[2:3], 2, v[2:3]
	s_waitcnt lgkmcnt(0)
	v_mov_b32_e32 v0, s13
	v_add_co_u32_e32 v2, vcc, s12, v2
	v_addc_co_u32_e32 v3, vcc, v0, v3, vcc
	global_store_dword v[2:3], v19, off
	s_or_b64 exec, exec, s[0:1]
	s_and_b64 exec, exec, s[4:5]
	s_cbranch_execnz .LBB136_61
	s_branch .LBB136_62
	.section	.rodata,"a",@progbits
	.p2align	6, 0x0
	.amdhsa_kernel _ZL12mul_mat_q6_KIfLb1EEvPKvS1_PT_iiiii
		.amdhsa_group_segment_fixed_size 45136
		.amdhsa_private_segment_fixed_size 0
		.amdhsa_kernarg_size 44
		.amdhsa_user_sgpr_count 6
		.amdhsa_user_sgpr_private_segment_buffer 1
		.amdhsa_user_sgpr_dispatch_ptr 0
		.amdhsa_user_sgpr_queue_ptr 0
		.amdhsa_user_sgpr_kernarg_segment_ptr 1
		.amdhsa_user_sgpr_dispatch_id 0
		.amdhsa_user_sgpr_flat_scratch_init 0
		.amdhsa_user_sgpr_kernarg_preload_length 0
		.amdhsa_user_sgpr_kernarg_preload_offset 0
		.amdhsa_user_sgpr_private_segment_size 0
		.amdhsa_uses_dynamic_stack 0
		.amdhsa_system_sgpr_private_segment_wavefront_offset 0
		.amdhsa_system_sgpr_workgroup_id_x 1
		.amdhsa_system_sgpr_workgroup_id_y 1
		.amdhsa_system_sgpr_workgroup_id_z 0
		.amdhsa_system_sgpr_workgroup_info 0
		.amdhsa_system_vgpr_workitem_id 1
		.amdhsa_next_free_vgpr 229
		.amdhsa_next_free_sgpr 26
		.amdhsa_accum_offset 232
		.amdhsa_reserve_vcc 1
		.amdhsa_reserve_flat_scratch 0
		.amdhsa_float_round_mode_32 0
		.amdhsa_float_round_mode_16_64 0
		.amdhsa_float_denorm_mode_32 3
		.amdhsa_float_denorm_mode_16_64 3
		.amdhsa_dx10_clamp 1
		.amdhsa_ieee_mode 1
		.amdhsa_fp16_overflow 0
		.amdhsa_tg_split 0
		.amdhsa_exception_fp_ieee_invalid_op 0
		.amdhsa_exception_fp_denorm_src 0
		.amdhsa_exception_fp_ieee_div_zero 0
		.amdhsa_exception_fp_ieee_overflow 0
		.amdhsa_exception_fp_ieee_underflow 0
		.amdhsa_exception_fp_ieee_inexact 0
		.amdhsa_exception_int_div_zero 0
	.end_amdhsa_kernel
	.section	.text._ZL12mul_mat_q6_KIfLb1EEvPKvS1_PT_iiiii,"axG",@progbits,_ZL12mul_mat_q6_KIfLb1EEvPKvS1_PT_iiiii,comdat
.Lfunc_end136:
	.size	_ZL12mul_mat_q6_KIfLb1EEvPKvS1_PT_iiiii, .Lfunc_end136-_ZL12mul_mat_q6_KIfLb1EEvPKvS1_PT_iiiii
                                        ; -- End function
	.section	.AMDGPU.csdata,"",@progbits
; Kernel info:
; codeLenInByte = 20164
; NumSgprs: 30
; NumVgprs: 229
; NumAgprs: 0
; TotalNumVgprs: 229
; ScratchSize: 0
; MemoryBound: 0
; FloatMode: 240
; IeeeMode: 1
; LDSByteSize: 45136 bytes/workgroup (compile time only)
; SGPRBlocks: 3
; VGPRBlocks: 28
; NumSGPRsForWavesPerEU: 30
; NumVGPRsForWavesPerEU: 229
; AccumOffset: 232
; Occupancy: 1
; WaveLimiterHint : 0
; COMPUTE_PGM_RSRC2:SCRATCH_EN: 0
; COMPUTE_PGM_RSRC2:USER_SGPR: 6
; COMPUTE_PGM_RSRC2:TRAP_HANDLER: 0
; COMPUTE_PGM_RSRC2:TGID_X_EN: 1
; COMPUTE_PGM_RSRC2:TGID_Y_EN: 1
; COMPUTE_PGM_RSRC2:TGID_Z_EN: 0
; COMPUTE_PGM_RSRC2:TIDIG_COMP_CNT: 1
; COMPUTE_PGM_RSRC3_GFX90A:ACCUM_OFFSET: 57
; COMPUTE_PGM_RSRC3_GFX90A:TG_SPLIT: 0
	.section	.text._ZL12mul_mat_q4_0IN3c104HalfELb0EEvPKvS3_PT_iiiii,"axG",@progbits,_ZL12mul_mat_q4_0IN3c104HalfELb0EEvPKvS3_PT_iiiii,comdat
	.globl	_ZL12mul_mat_q4_0IN3c104HalfELb0EEvPKvS3_PT_iiiii ; -- Begin function _ZL12mul_mat_q4_0IN3c104HalfELb0EEvPKvS3_PT_iiiii
	.p2align	8
	.type	_ZL12mul_mat_q4_0IN3c104HalfELb0EEvPKvS3_PT_iiiii,@function
_ZL12mul_mat_q4_0IN3c104HalfELb0EEvPKvS3_PT_iiiii: ; @_ZL12mul_mat_q4_0IN3c104HalfELb0EEvPKvS3_PT_iiiii
; %bb.0:
	s_load_dword s14, s[4:5], 0x18
	s_load_dwordx4 s[8:11], s[4:5], 0x20
	s_waitcnt lgkmcnt(0)
	s_lshl_b32 s11, s7, 6
	v_bfe_u32 v41, v0, 10, 10
	s_cmp_gt_i32 s14, 31
	s_cbranch_scc1 .LBB137_2
; %bb.1:
	v_bfe_u32 v1, v0, 10, 10
	s_mov_b32 s0, 0
	v_and_b32_e32 v39, 0x3ff, v0
	v_add_u32_e32 v45, s11, v1
	s_mov_b32 s1, s0
	s_mov_b64 s[2:3], 0
	s_branch .LBB137_3
.LBB137_2:
	s_mov_b64 s[2:3], -1
                                        ; implicit-def: $sgpr0_sgpr1
                                        ; implicit-def: $vgpr1
                                        ; implicit-def: $vgpr39
                                        ; implicit-def: $vgpr45
.LBB137_3:
	s_load_dwordx2 s[12:13], s[4:5], 0x10
	s_lshl_b32 s6, s6, 7
	s_andn2_b64 vcc, exec, s[2:3]
	v_pk_mov_b32 v[8:9], s[0:1], s[0:1] op_sel:[0,1]
	v_pk_mov_b32 v[16:17], s[0:1], s[0:1] op_sel:[0,1]
	;; [unrolled: 1-line block ×16, first 2 shown]
	s_cbranch_vccnz .LBB137_13
; %bb.4:
	s_load_dwordx4 s[0:3], s[4:5], 0x0
	s_ashr_i32 s4, s14, 31
	s_lshr_b32 s4, s4, 27
	s_ashr_i32 s7, s9, 31
	s_add_i32 s4, s14, s4
	s_lshr_b32 s7, s7, 27
	s_ashr_i32 s5, s4, 5
	s_add_i32 s7, s9, s7
	s_ashr_i32 s16, s7, 5
	s_mul_i32 s7, s5, s6
	s_mul_hi_i32 s9, s7, 18
	s_mul_i32 s7, s7, 18
	s_waitcnt lgkmcnt(0)
	s_add_u32 s7, s0, s7
	s_addc_u32 s9, s1, s9
	v_mul_lo_u32 v44, s5, v41
	s_lshl_b32 s14, s5, 3
	v_add_u32_e32 v46, s14, v44
	v_add_u32_e32 v48, s14, v46
	;; [unrolled: 1-line block ×11, first 2 shown]
	v_and_b32_e32 v39, 0x3ff, v0
	v_add_u32_e32 v68, s14, v66
	v_add_u32_e32 v70, s14, v68
	v_lshrrev_b32_e32 v79, 3, v39
	v_add_u32_e32 v72, s14, v70
	v_and_b32_e32 v76, 7, v39
	v_lshl_add_u32 v0, v41, 2, v79
	v_add_u32_e32 v74, s14, v72
	v_and_b32_e32 v1, 0x7fc, v0
	v_lshlrev_b32_e32 v3, 2, v76
	s_movk_i32 s14, 0x6200
	v_add3_u32 v4, v1, v3, s14
	v_add_u32_e32 v1, 32, v0
	v_lshlrev_b32_e32 v2, 2, v39
	s_movk_i32 s1, 0x84
	v_mul_lo_u32 v78, s5, v0
	v_lshlrev_b32_e32 v5, 5, v0
	v_and_b32_e32 v6, 0xffc, v1
	v_lshlrev_b32_e32 v7, 5, v1
	v_add_u32_e32 v1, 64, v0
	v_add_u32_e32 v0, 0x60, v0
	v_lshrrev_b32_e32 v38, 2, v39
	v_and_b32_e32 v40, 12, v2
	v_mad_u32_u24 v47, v41, s1, v2
	s_andn2_b32 s4, s4, 31
	v_and_b32_e32 v8, 0xffc, v1
	v_lshlrev_b32_e32 v9, 5, v1
	v_and_b32_e32 v1, 0xffc, v0
	v_and_b32_e32 v2, 28, v2
	v_add_u32_e32 v80, s4, v78
	v_add3_u32 v6, v6, v3, s14
	v_add3_u32 v8, v8, v3, s14
	;; [unrolled: 1-line block ×3, first 2 shown]
	v_mov_b32_e32 v3, s3
	v_add_co_u32_e32 v86, vcc, s2, v2
	v_lshl_add_u32 v2, v41, 3, v38
	v_add_u32_e32 v82, s4, v80
	v_addc_co_u32_e32 v87, vcc, 0, v3, vcc
	v_and_b32_e32 v3, 63, v2
	v_add_u32_e32 v84, s4, v82
	s_add_i32 s4, s8, -1
	v_or_b32_e32 v13, s11, v3
	v_and_b32_e32 v2, 3, v39
	v_min_i32_e32 v13, s4, v13
	v_mad_u64_u32 v[88:89], s[14:15], v13, s16, v[2:3]
	v_lshlrev_b32_e32 v2, 2, v2
	v_add_u32_e32 v45, s11, v41
	v_lshl_or_b32 v2, v3, 4, v2
	v_lshlrev_b32_e32 v11, 5, v0
	v_cvt_f64_i32_e32 v[0:1], s4
	v_add_u32_e32 v81, 0x7280, v2
	v_cvt_f64_u32_e32 v[2:3], v45
	v_min_f64 v[2:3], v[2:3], v[0:1]
	v_cvt_i32_f64_e32 v2, v[2:3]
	v_mul_lo_u32 v83, s16, v2
	v_add_u32_e32 v2, 8, v45
	v_cvt_f64_u32_e32 v[2:3], v2
	v_min_f64 v[2:3], v[2:3], v[0:1]
	v_cvt_i32_f64_e32 v2, v[2:3]
	v_mul_lo_u32 v89, s16, v2
	;; [unrolled: 5-line block ×7, first 2 shown]
	v_add_u32_e32 v2, 56, v45
	v_cvt_f64_u32_e32 v[2:3], v2
	v_min_f64 v[0:1], v[2:3], v[0:1]
	v_and_b32_e32 v12, 31, v39
	v_lshlrev_b32_e32 v13, 7, v41
	v_cvt_i32_f64_e32 v0, v[0:1]
	v_lshl_or_b32 v12, v12, 2, v13
	v_mul_lo_u32 v107, s16, v0
	v_add_u32_e32 v0, 32, v39
	v_add_u32_e32 v1, 64, v39
	;; [unrolled: 1-line block ×3, first 2 shown]
	s_mov_b32 s0, 0
	v_add_u32_e32 v85, 0x4200, v12
	v_add_u32_e32 v91, 0x4600, v12
	;; [unrolled: 1-line block ×8, first 2 shown]
	v_lshlrev_b32_e32 v3, 5, v39
	v_lshrrev_b32_e32 v110, 3, v0
	v_and_b32_e32 v2, 0x1fc, v2
	v_and_b32_e32 v1, 0x1fc, v1
	;; [unrolled: 1-line block ×4, first 2 shown]
	v_add_u32_e32 v2, v3, v2
	v_add_u32_e32 v1, v3, v1
	v_add_u32_e32 v0, v3, v0
	v_add_u32_e32 v3, v3, v12
	v_mov_b32_e32 v12, 0x7280
	v_mad_u32_u24 v121, v39, s1, 64
	s_mov_b32 s1, s0
	v_add_u32_e32 v49, 0x420, v47
	v_add_u32_e32 v51, 0x840, v47
	;; [unrolled: 1-line block ×15, first 2 shown]
	v_mul_u32_u24_e32 v109, 0x84, v39
	v_add_u32_e32 v111, 0x6e00, v2
	v_add_u32_e32 v112, 0x6a00, v1
	;; [unrolled: 1-line block ×5, first 2 shown]
	v_lshl_add_u32 v116, v41, 4, v12
	v_add_u32_e32 v117, 0x6e10, v2
	v_add_u32_e32 v118, 0x6a10, v1
	v_add_u32_e32 v119, 0x6610, v0
	v_add_u32_e32 v120, 0x6210, v3
	v_pk_mov_b32 v[42:43], s[0:1], s[0:1] op_sel:[0,1]
	v_add_u32_e32 v122, v4, v5
	v_add_u32_e32 v123, v6, v7
	;; [unrolled: 1-line block ×4, first 2 shown]
	s_mov_b32 s4, 0x41000000
	v_pk_mov_b32 v[30:31], s[0:1], s[0:1] op_sel:[0,1]
	v_pk_mov_b32 v[22:23], s[0:1], s[0:1] op_sel:[0,1]
	;; [unrolled: 1-line block ×15, first 2 shown]
	s_branch .LBB137_6
.LBB137_5:                              ;   in Loop: Header=BB137_6 Depth=1
	s_add_i32 s0, s0, 8
	s_cmp_ge_i32 s0, s5
	s_cbranch_scc1 .LBB137_12
.LBB137_6:                              ; =>This Loop Header: Depth=1
                                        ;     Child Loop BB137_7 Depth 2
                                        ;     Child Loop BB137_10 Depth 2
	s_mul_i32 s14, s0, 18
	s_mul_hi_u32 s1, s0, 18
	s_add_u32 s14, s7, s14
	s_addc_u32 s15, s9, s1
	v_mad_u64_u32 v[0:1], s[16:17], v38, 18, s[14:15]
	v_add_co_u32_e32 v0, vcc, v0, v40
	v_addc_co_u32_e32 v1, vcc, 0, v1, vcc
	v_add_co_u32_e32 v0, vcc, 2, v0
	v_addc_co_u32_e32 v1, vcc, 0, v1, vcc
	v_mad_u64_u32 v[2:3], s[16:17], v44, 18, v[0:1]
	v_mad_u64_u32 v[4:5], s[16:17], v46, 18, v[0:1]
	;; [unrolled: 1-line block ×8, first 2 shown]
	global_load_dword v90, v[2:3], off
	global_load_dword v92, v[4:5], off
	;; [unrolled: 1-line block ×6, first 2 shown]
                                        ; kill: killed $vgpr128_vgpr129
                                        ; kill: killed $vgpr126_vgpr127
	global_load_dword v136, v[130:131], off
	global_load_dword v137, v[132:133], off
	v_mad_u64_u32 v[2:3], s[16:17], v60, 18, v[0:1]
	v_mad_u64_u32 v[4:5], s[16:17], v62, 18, v[0:1]
	;; [unrolled: 1-line block ×8, first 2 shown]
	global_load_dword v138, v[2:3], off
	global_load_dword v139, v[4:5], off
	;; [unrolled: 1-line block ×4, first 2 shown]
	s_nop 0
	global_load_dword v127, v[126:127], off
	s_nop 0
	global_load_dword v142, v[128:129], off
	global_load_dword v143, v[130:131], off
	;; [unrolled: 1-line block ×3, first 2 shown]
	v_mad_u64_u32 v[0:1], s[14:15], v76, 18, s[14:15]
	v_mad_u64_u32 v[2:3], s[14:15], v78, 18, v[0:1]
	;; [unrolled: 1-line block ×5, first 2 shown]
	v_add_u32_e32 v132, s0, v79
	global_load_ushort v145, v[2:3], off
	global_load_ushort v146, v[4:5], off
	;; [unrolled: 1-line block ×4, first 2 shown]
	v_add_u32_e32 v0, v132, v83
	v_add_u32_e32 v2, v132, v89
	;; [unrolled: 1-line block ×5, first 2 shown]
	v_mad_i64_i32 v[0:1], s[14:15], v0, 36, v[86:87]
	v_mad_i64_i32 v[2:3], s[14:15], v2, 36, v[86:87]
	;; [unrolled: 1-line block ×5, first 2 shown]
	v_add_u32_e32 v128, v132, v103
	v_add_u32_e32 v130, v132, v105
	;; [unrolled: 1-line block ×3, first 2 shown]
	v_mad_i64_i32 v[128:129], s[14:15], v128, 36, v[86:87]
	v_mad_i64_i32 v[130:131], s[14:15], v130, 36, v[86:87]
	;; [unrolled: 1-line block ×3, first 2 shown]
	global_load_dword v149, v[0:1], off offset:4
	s_nop 0
	global_load_dword v2, v[2:3], off offset:4
	s_nop 0
	;; [unrolled: 2-line block ×3, first 2 shown]
	global_load_dword v4, v[6:7], off offset:4
	global_load_dword v5, v[98:99], off offset:4
	s_nop 0
	global_load_dword v6, v[128:129], off offset:4
	global_load_dword v7, v[130:131], off offset:4
	;; [unrolled: 1-line block ×3, first 2 shown]
	v_add_u32_e32 v126, s0, v88
	v_mad_u64_u32 v[0:1], s[14:15], v126, 36, s[2:3]
	global_load_dword v0, v[0:1], off
	s_mov_b32 s1, -4
	s_waitcnt vmcnt(28)
	ds_write_b32 v47, v90
	s_waitcnt vmcnt(27)
	ds_write_b32 v49, v92
	;; [unrolled: 2-line block ×16, first 2 shown]
	v_mov_b32_e32 v127, v116
	v_mov_b32_e32 v128, v115
	;; [unrolled: 1-line block ×7, first 2 shown]
	s_waitcnt vmcnt(12)
	v_cvt_f32_f16_e32 v1, v145
	s_waitcnt vmcnt(11)
	v_cvt_f32_f16_e32 v90, v146
	;; [unrolled: 2-line block ×4, first 2 shown]
	ds_write_b32 v122, v1
	ds_write_b32 v123, v90
	;; [unrolled: 1-line block ×4, first 2 shown]
	s_waitcnt vmcnt(8)
	ds_write_b32 v85, v149
	s_waitcnt vmcnt(7)
	ds_write_b32 v91, v2
	;; [unrolled: 2-line block ×9, first 2 shown]
	s_waitcnt lgkmcnt(0)
	s_barrier
.LBB137_7:                              ;   Parent Loop BB137_6 Depth=1
                                        ; =>  This Inner Loop Header: Depth=2
	ds_read_b128 v[0:3], v128
	ds_read_b128 v[4:7], v128 offset:16
	ds_read2_b32 v[98:99], v127 offset1:32
	ds_read_b32 v90, v130
	ds_read2_b32 v[138:139], v129 offset1:1
	ds_read2_b32 v[142:143], v129 offset0:2 offset1:3
	v_add_u32_e32 v94, 0x1080, v129
	v_add_u32_e32 v96, 0x2100, v129
	v_mov_b32_e32 v170, 0
	s_waitcnt lgkmcnt(1)
	v_lshrrev_b32_e32 v92, 4, v138
	v_and_b32_e32 v135, 0xf0f0f0f, v92
	v_lshrrev_b32_e32 v92, 4, v139
	v_and_b32_e32 v137, 0xf0f0f0f, v139
	v_and_b32_e32 v139, 0xf0f0f0f, v92
	s_waitcnt lgkmcnt(0)
	v_lshrrev_b32_e32 v92, 4, v142
	v_and_b32_e32 v141, 0xf0f0f0f, v92
	v_lshrrev_b32_e32 v92, 4, v143
	v_and_b32_e32 v144, 0xf0f0f0f, v92
	ds_read_b32 v92, v131
	ds_read2_b32 v[146:147], v94 offset1:1
	v_and_b32_e32 v134, 0xf0f0f0f, v138
	v_and_b32_e32 v140, 0xf0f0f0f, v142
	;; [unrolled: 1-line block ×3, first 2 shown]
	v_mov_b32_e32 v172, 0
	s_waitcnt lgkmcnt(0)
	v_lshrrev_b32_e32 v94, 4, v146
	v_and_b32_e32 v138, 0xf0f0f0f, v94
	v_lshrrev_b32_e32 v94, 4, v147
	v_and_b32_e32 v145, 0xf0f0f0f, v94
	v_add_u32_e32 v94, 0x1088, v129
	v_and_b32_e32 v136, 0xf0f0f0f, v146
	v_and_b32_e32 v143, 0xf0f0f0f, v147
	ds_read2_b32 v[146:147], v94 offset1:1
	v_mov_b32_e32 v173, 0
	v_mov_b32_e32 v174, 0
	v_dot4c_i32_i8_e32 v170, v134, v0
	v_dot4c_i32_i8_e32 v172, v136, v0
	s_waitcnt lgkmcnt(0)
	v_lshrrev_b32_e32 v94, 4, v146
	v_and_b32_e32 v149, 0xf0f0f0f, v94
	v_lshrrev_b32_e32 v94, 4, v147
	v_and_b32_e32 v151, 0xf0f0f0f, v94
	ds_read_b32 v94, v132
	ds_read2_b32 v[152:153], v96 offset1:1
	v_and_b32_e32 v150, 0xf0f0f0f, v147
	v_and_b32_e32 v148, 0xf0f0f0f, v146
	v_dot4c_i32_i8_e32 v170, v135, v4
	v_dot4c_i32_i8_e32 v172, v138, v4
	s_waitcnt lgkmcnt(0)
	v_lshrrev_b32_e32 v96, 4, v152
	v_and_b32_e32 v147, 0xf0f0f0f, v96
	v_lshrrev_b32_e32 v96, 4, v153
	v_and_b32_e32 v146, 0xf0f0f0f, v152
	v_and_b32_e32 v152, 0xf0f0f0f, v153
	;; [unrolled: 1-line block ×3, first 2 shown]
	v_add_u32_e32 v96, 0x2108, v129
	ds_read2_b32 v[154:155], v96 offset1:1
	v_dot4c_i32_i8_e32 v173, v146, v0
	v_dot4c_i32_i8_e32 v173, v147, v4
	;; [unrolled: 1-line block ×4, first 2 shown]
	s_waitcnt lgkmcnt(0)
	v_lshrrev_b32_e32 v96, 4, v154
	v_and_b32_e32 v157, 0xf0f0f0f, v96
	v_lshrrev_b32_e32 v96, 4, v155
	v_and_b32_e32 v156, 0xf0f0f0f, v154
	v_and_b32_e32 v159, 0xf0f0f0f, v96
	v_add_u32_e32 v154, 0x3180, v129
	ds_read_b32 v96, v133
	ds_read2_b32 v[160:161], v154 offset1:1
	v_and_b32_e32 v158, 0xf0f0f0f, v155
	v_dot4c_i32_i8_e32 v173, v152, v1
	v_dot4c_i32_i8_e32 v170, v139, v5
	;; [unrolled: 1-line block ×3, first 2 shown]
	s_waitcnt lgkmcnt(0)
	v_and_b32_e32 v154, 0xf0f0f0f, v160
	v_lshrrev_b32_e32 v155, 4, v160
	v_and_b32_e32 v155, 0xf0f0f0f, v155
	v_dot4c_i32_i8_e32 v174, v154, v0
	v_dot4c_i32_i8_e32 v174, v155, v4
	v_and_b32_e32 v0, 0xf0f0f0f, v161
	v_dot4c_i32_i8_e32 v174, v0, v1
	v_add_u32_e32 v1, 0x3188, v129
	v_lshrrev_b32_e32 v4, 4, v161
	ds_read2_b32 v[160:161], v1 offset1:1
	v_and_b32_e32 v4, 0xf0f0f0f, v4
	v_dot4c_i32_i8_e32 v173, v153, v5
	v_dot4c_i32_i8_e32 v174, v4, v5
	;; [unrolled: 1-line block ×3, first 2 shown]
	s_waitcnt lgkmcnt(0)
	v_and_b32_e32 v1, 0xf0f0f0f, v160
	v_lshrrev_b32_e32 v5, 4, v160
	v_dot4c_i32_i8_e32 v172, v148, v2
	v_dot4c_i32_i8_e32 v173, v156, v2
	v_and_b32_e32 v5, 0xf0f0f0f, v5
	v_dot4c_i32_i8_e32 v174, v1, v2
	v_dot4c_i32_i8_e32 v170, v141, v6
	;; [unrolled: 1-line block ×5, first 2 shown]
	v_and_b32_e32 v2, 0xf0f0f0f, v161
	v_lshrrev_b32_e32 v6, 4, v161
	ds_read_b128 v[160:163], v128 offset:1024
	ds_read_b128 v[164:167], v128 offset:1040
	v_dot4c_i32_i8_e32 v170, v142, v3
	v_dot4c_i32_i8_e32 v172, v150, v3
	;; [unrolled: 1-line block ×4, first 2 shown]
	v_mov_b32_e32 v3, 0
	s_waitcnt lgkmcnt(1)
	v_dot4c_i32_i8_e32 v3, v134, v160
	s_waitcnt lgkmcnt(0)
	v_dot4c_i32_i8_e32 v3, v135, v164
	v_dot4c_i32_i8_e32 v3, v137, v161
	v_dot4c_i32_i8_e32 v3, v139, v165
	v_dot4c_i32_i8_e32 v3, v140, v162
	v_dot4c_i32_i8_e32 v3, v141, v166
	v_dot4c_i32_i8_e32 v3, v142, v163
	v_dot4c_i32_i8_e32 v3, v144, v167
	v_dot4c_i32_i8_e32 v170, v144, v7
	v_cvt_f32_f16_e32 v169, v99
	v_cvt_f32_f16_e32 v168, v98
	v_cvt_f32_i32_e32 v171, v3
	v_mov_b32_e32 v3, 0
	v_dot4c_i32_i8_e32 v3, v136, v160
	v_dot4c_i32_i8_e32 v3, v138, v164
	v_cvt_f32_f16_sdwa v99, v99 dst_sel:DWORD dst_unused:UNUSED_PAD src0_sel:WORD_1
	v_cvt_f32_f16_sdwa v98, v98 dst_sel:DWORD dst_unused:UNUSED_PAD src0_sel:WORD_1
	v_dot4c_i32_i8_e32 v3, v143, v161
	v_cvt_f32_i32_e32 v170, v170
	v_dot4c_i32_i8_e32 v3, v145, v165
	v_dot4c_i32_i8_e32 v3, v148, v162
	;; [unrolled: 1-line block ×3, first 2 shown]
	v_pk_mul_f32 v[98:99], v[98:99], s[4:5] op_sel_hi:[1,0]
	v_dot4c_i32_i8_e32 v3, v150, v163
	v_pk_fma_f32 v[170:171], v[168:169], v[170:171], v[98:99] neg_lo:[0,0,1] neg_hi:[0,0,1]
	v_dot4c_i32_i8_e32 v3, v151, v167
	v_pk_fma_f32 v[42:43], v[90:91], v[170:171], v[42:43] op_sel_hi:[0,1,1]
	v_dot4c_i32_i8_e32 v172, v151, v7
	v_and_b32_e32 v6, 0xf0f0f0f, v6
	v_cvt_f32_i32_e32 v171, v3
	v_mov_b32_e32 v3, 0
	v_dot4c_i32_i8_e32 v3, v146, v160
	v_dot4c_i32_i8_e32 v3, v147, v164
	;; [unrolled: 1-line block ×3, first 2 shown]
	v_cvt_f32_i32_e32 v170, v172
	v_dot4c_i32_i8_e32 v3, v153, v165
	v_dot4c_i32_i8_e32 v3, v156, v162
	;; [unrolled: 1-line block ×4, first 2 shown]
	v_pk_fma_f32 v[170:171], v[168:169], v[170:171], v[98:99] neg_lo:[0,0,1] neg_hi:[0,0,1]
	v_dot4c_i32_i8_e32 v3, v159, v167
	v_pk_fma_f32 v[36:37], v[92:93], v[170:171], v[36:37] op_sel_hi:[0,1,1]
	v_dot4c_i32_i8_e32 v173, v159, v7
	v_dot4c_i32_i8_e32 v174, v6, v7
	v_cvt_f32_i32_e32 v171, v3
	v_mov_b32_e32 v3, 0
	v_dot4c_i32_i8_e32 v3, v154, v160
	v_dot4c_i32_i8_e32 v3, v155, v164
	;; [unrolled: 1-line block ×8, first 2 shown]
	v_cvt_f32_i32_e32 v170, v173
	v_cvt_f32_i32_e32 v160, v174
	v_mov_b32_e32 v7, 0
	v_cvt_f32_i32_e32 v161, v3
	v_pk_fma_f32 v[170:171], v[168:169], v[170:171], v[98:99] neg_lo:[0,0,1] neg_hi:[0,0,1]
	v_mov_b32_e32 v3, 0
	v_mov_b32_e32 v172, 0
	v_pk_fma_f32 v[98:99], v[168:169], v[160:161], v[98:99] neg_lo:[0,0,1] neg_hi:[0,0,1]
	v_pk_fma_f32 v[32:33], v[96:97], v[98:99], v[32:33] op_sel_hi:[0,1,1]
	ds_read_b128 v[160:163], v128 offset:2048
	ds_read_b128 v[164:167], v128 offset:2064
	ds_read2_b32 v[98:99], v127 offset0:64 offset1:96
	v_mov_b32_e32 v173, 0
	v_pk_fma_f32 v[34:35], v[94:95], v[170:171], v[34:35] op_sel_hi:[0,1,1]
	s_waitcnt lgkmcnt(2)
	v_dot4c_i32_i8_e32 v3, v134, v160
	v_dot4c_i32_i8_e32 v7, v136, v160
	;; [unrolled: 1-line block ×4, first 2 shown]
	s_waitcnt lgkmcnt(1)
	v_dot4c_i32_i8_e32 v3, v135, v164
	v_dot4c_i32_i8_e32 v7, v138, v164
	;; [unrolled: 1-line block ×28, first 2 shown]
	ds_read_b128 v[160:163], v128 offset:3072
	ds_read_b128 v[164:167], v128 offset:3088
	v_mov_b32_e32 v170, 0
	s_waitcnt lgkmcnt(2)
	v_cvt_f32_f16_e32 v169, v99
	v_cvt_f32_f16_e32 v168, v98
	s_waitcnt lgkmcnt(1)
	v_dot4c_i32_i8_e32 v170, v134, v160
	s_waitcnt lgkmcnt(0)
	v_dot4c_i32_i8_e32 v170, v135, v164
	v_dot4c_i32_i8_e32 v170, v137, v161
	;; [unrolled: 1-line block ×7, first 2 shown]
	v_cvt_f32_f16_sdwa v99, v99 dst_sel:DWORD dst_unused:UNUSED_PAD src0_sel:WORD_1
	v_cvt_f32_f16_sdwa v98, v98 dst_sel:DWORD dst_unused:UNUSED_PAD src0_sel:WORD_1
	s_add_i32 s1, s1, 4
	v_cvt_f32_i32_e32 v171, v170
	v_cvt_f32_i32_e32 v170, v3
	v_mov_b32_e32 v3, 0
	v_dot4c_i32_i8_e32 v3, v136, v160
	v_dot4c_i32_i8_e32 v3, v138, v164
	;; [unrolled: 1-line block ×6, first 2 shown]
	v_pk_mul_f32 v[98:99], v[98:99], s[4:5] op_sel_hi:[1,0]
	v_dot4c_i32_i8_e32 v3, v150, v163
	v_pk_fma_f32 v[170:171], v[170:171], v[168:169], v[98:99] neg_lo:[0,0,1] neg_hi:[0,0,1]
	v_dot4c_i32_i8_e32 v3, v151, v167
	v_pk_fma_f32 v[30:31], v[90:91], v[170:171], v[30:31] op_sel_hi:[0,1,1]
	v_cvt_f32_i32_e32 v170, v7
	v_mov_b32_e32 v7, 0
	v_cvt_f32_i32_e32 v171, v3
	v_mov_b32_e32 v3, 0
	v_dot4c_i32_i8_e32 v3, v146, v160
	v_dot4c_i32_i8_e32 v3, v147, v164
	;; [unrolled: 1-line block ×7, first 2 shown]
	v_pk_fma_f32 v[170:171], v[170:171], v[168:169], v[98:99] neg_lo:[0,0,1] neg_hi:[0,0,1]
	v_dot4c_i32_i8_e32 v3, v159, v167
	v_pk_fma_f32 v[28:29], v[92:93], v[170:171], v[28:29] op_sel_hi:[0,1,1]
	v_cvt_f32_i32_e32 v170, v172
	v_mov_b32_e32 v172, 0
	v_cvt_f32_i32_e32 v171, v3
	v_mov_b32_e32 v3, 0
	v_dot4c_i32_i8_e32 v3, v154, v160
	v_dot4c_i32_i8_e32 v3, v155, v164
	;; [unrolled: 1-line block ×8, first 2 shown]
	v_cvt_f32_i32_e32 v160, v173
	v_pk_fma_f32 v[170:171], v[170:171], v[168:169], v[98:99] neg_lo:[0,0,1] neg_hi:[0,0,1]
	v_mov_b32_e32 v173, 0
	v_cvt_f32_i32_e32 v161, v3
	v_mov_b32_e32 v3, 0
	v_pk_fma_f32 v[26:27], v[94:95], v[170:171], v[26:27] op_sel_hi:[0,1,1]
	v_mov_b32_e32 v170, 0
	v_pk_fma_f32 v[98:99], v[160:161], v[168:169], v[98:99] neg_lo:[0,0,1] neg_hi:[0,0,1]
	v_pk_fma_f32 v[24:25], v[96:97], v[98:99], v[24:25] op_sel_hi:[0,1,1]
	ds_read_b128 v[160:163], v128 offset:4096
	ds_read_b128 v[164:167], v128 offset:4112
	ds_read2_b32 v[98:99], v127 offset0:128 offset1:160
	v_add_u32_e32 v133, 4, v133
	v_add_u32_e32 v132, 4, v132
	s_waitcnt lgkmcnt(2)
	v_dot4c_i32_i8_e32 v3, v134, v160
	v_dot4c_i32_i8_e32 v7, v136, v160
	;; [unrolled: 1-line block ×4, first 2 shown]
	s_waitcnt lgkmcnt(1)
	v_dot4c_i32_i8_e32 v3, v135, v164
	v_dot4c_i32_i8_e32 v7, v138, v164
	;; [unrolled: 1-line block ×28, first 2 shown]
	ds_read_b128 v[160:163], v128 offset:5120
	ds_read_b128 v[164:167], v128 offset:5136
	s_waitcnt lgkmcnt(2)
	v_cvt_f32_f16_e32 v169, v99
	v_cvt_f32_f16_e32 v168, v98
	v_cvt_f32_f16_sdwa v99, v99 dst_sel:DWORD dst_unused:UNUSED_PAD src0_sel:WORD_1
	s_waitcnt lgkmcnt(1)
	v_dot4c_i32_i8_e32 v170, v134, v160
	s_waitcnt lgkmcnt(0)
	v_dot4c_i32_i8_e32 v170, v135, v164
	v_dot4c_i32_i8_e32 v170, v137, v161
	;; [unrolled: 1-line block ×7, first 2 shown]
	v_cvt_f32_f16_sdwa v98, v98 dst_sel:DWORD dst_unused:UNUSED_PAD src0_sel:WORD_1
	v_add_u32_e32 v131, 4, v131
	v_add_u32_e32 v130, 4, v130
	v_cvt_f32_i32_e32 v171, v170
	v_cvt_f32_i32_e32 v170, v3
	v_mov_b32_e32 v3, 0
	v_dot4c_i32_i8_e32 v3, v136, v160
	v_dot4c_i32_i8_e32 v3, v138, v164
	;; [unrolled: 1-line block ×6, first 2 shown]
	v_pk_mul_f32 v[98:99], v[98:99], s[4:5] op_sel_hi:[1,0]
	v_dot4c_i32_i8_e32 v3, v150, v163
	v_pk_fma_f32 v[170:171], v[170:171], v[168:169], v[98:99] neg_lo:[0,0,1] neg_hi:[0,0,1]
	v_dot4c_i32_i8_e32 v3, v151, v167
	v_pk_fma_f32 v[22:23], v[90:91], v[170:171], v[22:23] op_sel_hi:[0,1,1]
	v_cvt_f32_i32_e32 v170, v7
	v_mov_b32_e32 v7, 0
	v_cvt_f32_i32_e32 v171, v3
	v_mov_b32_e32 v3, 0
	v_dot4c_i32_i8_e32 v3, v146, v160
	v_dot4c_i32_i8_e32 v3, v147, v164
	;; [unrolled: 1-line block ×7, first 2 shown]
	v_pk_fma_f32 v[170:171], v[170:171], v[168:169], v[98:99] neg_lo:[0,0,1] neg_hi:[0,0,1]
	v_dot4c_i32_i8_e32 v3, v159, v167
	v_pk_fma_f32 v[20:21], v[92:93], v[170:171], v[20:21] op_sel_hi:[0,1,1]
	v_cvt_f32_i32_e32 v170, v172
	v_add_u32_e32 v129, 16, v129
	v_cvt_f32_i32_e32 v171, v3
	v_mov_b32_e32 v3, 0
	v_dot4c_i32_i8_e32 v3, v154, v160
	v_dot4c_i32_i8_e32 v3, v155, v164
	;; [unrolled: 1-line block ×8, first 2 shown]
	v_cvt_f32_i32_e32 v160, v173
	v_pk_fma_f32 v[170:171], v[170:171], v[168:169], v[98:99] neg_lo:[0,0,1] neg_hi:[0,0,1]
	v_pk_fma_f32 v[18:19], v[94:95], v[170:171], v[18:19] op_sel_hi:[0,1,1]
	v_cvt_f32_i32_e32 v161, v3
	v_mov_b32_e32 v3, 0
	v_mov_b32_e32 v170, 0
	s_cmp_lt_u32 s1, 12
	v_pk_fma_f32 v[98:99], v[160:161], v[168:169], v[98:99] neg_lo:[0,0,1] neg_hi:[0,0,1]
	v_pk_fma_f32 v[16:17], v[96:97], v[98:99], v[16:17] op_sel_hi:[0,1,1]
	ds_read_b128 v[160:163], v128 offset:6144
	ds_read_b128 v[164:167], v128 offset:6160
	ds_read2_b32 v[98:99], v127 offset0:192 offset1:224
	v_mov_b32_e32 v168, 0
	v_mov_b32_e32 v169, 0
	s_waitcnt lgkmcnt(2)
	v_dot4c_i32_i8_e32 v3, v134, v160
	v_dot4c_i32_i8_e32 v7, v136, v160
	;; [unrolled: 1-line block ×4, first 2 shown]
	s_waitcnt lgkmcnt(1)
	v_dot4c_i32_i8_e32 v3, v135, v164
	v_dot4c_i32_i8_e32 v7, v138, v164
	;; [unrolled: 1-line block ×28, first 2 shown]
	ds_read_b128 v[160:163], v128 offset:7168
	ds_read_b128 v[164:167], v128 offset:7184
	v_add_u32_e32 v128, 32, v128
	v_add_u32_e32 v127, 4, v127
	s_waitcnt lgkmcnt(1)
	v_dot4c_i32_i8_e32 v170, v134, v160
	s_waitcnt lgkmcnt(0)
	v_dot4c_i32_i8_e32 v170, v135, v164
	v_dot4c_i32_i8_e32 v170, v137, v161
	;; [unrolled: 1-line block ×4, first 2 shown]
	v_cvt_f32_i32_e32 v140, v3
	v_mov_b32_e32 v3, 0
	v_dot4c_i32_i8_e32 v3, v136, v160
	v_dot4c_i32_i8_e32 v3, v138, v164
	;; [unrolled: 1-line block ×8, first 2 shown]
	v_cvt_f32_f16_e32 v135, v99
	v_cvt_f32_f16_e32 v134, v98
	v_cvt_f32_f16_sdwa v99, v99 dst_sel:DWORD dst_unused:UNUSED_PAD src0_sel:WORD_1
	v_cvt_f32_i32_e32 v137, v3
	v_mov_b32_e32 v3, 0
	v_dot4c_i32_i8_e32 v3, v146, v160
	v_dot4c_i32_i8_e32 v3, v147, v164
	v_cvt_f32_f16_sdwa v98, v98 dst_sel:DWORD dst_unused:UNUSED_PAD src0_sel:WORD_1
	v_dot4c_i32_i8_e32 v3, v152, v161
	v_cvt_f32_i32_e32 v136, v7
	v_dot4c_i32_i8_e32 v3, v153, v165
	v_dot4c_i32_i8_e32 v3, v156, v162
	;; [unrolled: 1-line block ×3, first 2 shown]
	v_pk_mul_f32 v[98:99], v[98:99], s[4:5] op_sel_hi:[1,0]
	v_dot4c_i32_i8_e32 v3, v158, v163
	v_pk_fma_f32 v[136:137], v[136:137], v[134:135], v[98:99] neg_lo:[0,0,1] neg_hi:[0,0,1]
	v_dot4c_i32_i8_e32 v3, v159, v167
	v_pk_fma_f32 v[12:13], v[92:93], v[136:137], v[12:13] op_sel_hi:[0,1,1]
	v_dot4c_i32_i8_e32 v170, v141, v166
	v_dot4c_i32_i8_e32 v170, v142, v163
	v_cvt_f32_i32_e32 v137, v3
	v_mov_b32_e32 v3, 0
	v_dot4c_i32_i8_e32 v3, v154, v160
	v_dot4c_i32_i8_e32 v3, v155, v164
	;; [unrolled: 1-line block ×9, first 2 shown]
	v_cvt_f32_i32_e32 v136, v168
	v_cvt_f32_i32_e32 v0, v169
	;; [unrolled: 1-line block ×4, first 2 shown]
	v_pk_fma_f32 v[136:137], v[136:137], v[134:135], v[98:99] neg_lo:[0,0,1] neg_hi:[0,0,1]
	v_pk_fma_f32 v[10:11], v[94:95], v[136:137], v[10:11] op_sel_hi:[0,1,1]
	v_pk_fma_f32 v[140:141], v[140:141], v[134:135], v[98:99] neg_lo:[0,0,1] neg_hi:[0,0,1]
	v_pk_fma_f32 v[0:1], v[0:1], v[134:135], v[98:99] neg_lo:[0,0,1] neg_hi:[0,0,1]
	v_pk_fma_f32 v[14:15], v[90:91], v[140:141], v[14:15] op_sel_hi:[0,1,1]
	v_pk_fma_f32 v[8:9], v[96:97], v[0:1], v[8:9] op_sel_hi:[0,1,1]
	s_cbranch_scc1 .LBB137_7
; %bb.8:                                ;   in Loop: Header=BB137_6 Depth=1
	s_or_b32 s1, s0, 4
	s_cmp_ge_i32 s1, s5
	s_barrier
	s_cbranch_scc1 .LBB137_5
; %bb.9:                                ;   in Loop: Header=BB137_6 Depth=1
	v_add_u32_e32 v90, s0, v110
	v_add_u32_e32 v92, v90, v101
	;; [unrolled: 1-line block ×6, first 2 shown]
	v_mad_i64_i32 v[98:99], s[14:15], v92, 36, v[86:87]
	v_add_u32_e32 v92, v90, v103
	v_mad_i64_i32 v[0:1], s[14:15], v0, 36, v[86:87]
	v_mad_i64_i32 v[2:3], s[14:15], v2, 36, v[86:87]
	;; [unrolled: 1-line block ×5, first 2 shown]
	v_add_u32_e32 v92, v90, v105
	v_add_u32_e32 v90, v90, v107
	v_mad_i64_i32 v[130:131], s[14:15], v92, 36, v[86:87]
	v_mad_i64_i32 v[132:133], s[14:15], v90, 36, v[86:87]
	global_load_dword v90, v[0:1], off offset:4
	s_nop 0
	global_load_dword v2, v[2:3], off offset:4
	s_nop 0
	;; [unrolled: 2-line block ×3, first 2 shown]
	global_load_dword v4, v[6:7], off offset:4
	global_load_dword v5, v[98:99], off offset:4
                                        ; kill: killed $vgpr6_vgpr7
                                        ; kill: killed $vgpr98_vgpr99
	s_nop 0
	global_load_dword v6, v[128:129], off offset:4
	global_load_dword v7, v[130:131], off offset:4
	;; [unrolled: 1-line block ×3, first 2 shown]
	v_add_u32_e32 v0, 4, v126
	v_mad_u64_u32 v[0:1], s[14:15], v0, 36, s[2:3]
	global_load_dword v0, v[0:1], off
	s_mov_b32 s1, 12
	v_mov_b32_e32 v126, v116
	v_mov_b32_e32 v127, v115
	;; [unrolled: 1-line block ×7, first 2 shown]
	s_waitcnt vmcnt(8)
	ds_write_b32 v85, v90
	s_waitcnt vmcnt(7)
	ds_write_b32 v91, v2
	;; [unrolled: 2-line block ×9, first 2 shown]
	s_waitcnt lgkmcnt(0)
	s_barrier
.LBB137_10:                             ;   Parent Loop BB137_6 Depth=1
                                        ; =>  This Inner Loop Header: Depth=2
	ds_read_b128 v[0:3], v127
	ds_read_b128 v[4:7], v127 offset:16
	ds_read2_b32 v[98:99], v126 offset1:32
	ds_read_b32 v90, v129
	ds_read2_b32 v[134:135], v128 offset1:1
	ds_read2_b32 v[142:143], v128 offset0:2 offset1:3
	v_add_u32_e32 v94, 0x1080, v128
	v_add_u32_e32 v96, 0x2100, v128
	v_mov_b32_e32 v170, 0
	s_waitcnt lgkmcnt(1)
	v_lshrrev_b32_e32 v92, 4, v134
	v_and_b32_e32 v133, 0xf0f0f0f, v134
	v_and_b32_e32 v134, 0xf0f0f0f, v92
	v_lshrrev_b32_e32 v92, 4, v135
	v_and_b32_e32 v138, 0xf0f0f0f, v92
	s_waitcnt lgkmcnt(0)
	v_lshrrev_b32_e32 v92, 4, v142
	v_and_b32_e32 v140, 0xf0f0f0f, v92
	v_lshrrev_b32_e32 v92, 4, v143
	v_and_b32_e32 v141, 0xf0f0f0f, v143
	v_and_b32_e32 v143, 0xf0f0f0f, v92
	ds_read_b32 v92, v130
	ds_read2_b32 v[144:145], v94 offset1:1
	v_and_b32_e32 v136, 0xf0f0f0f, v135
	v_and_b32_e32 v139, 0xf0f0f0f, v142
	v_mov_b32_e32 v172, 0
	v_mov_b32_e32 v173, 0
	s_waitcnt lgkmcnt(0)
	v_lshrrev_b32_e32 v94, 4, v144
	v_and_b32_e32 v137, 0xf0f0f0f, v94
	v_lshrrev_b32_e32 v94, 4, v145
	v_and_b32_e32 v135, 0xf0f0f0f, v144
	v_and_b32_e32 v144, 0xf0f0f0f, v94
	v_add_u32_e32 v94, 0x1088, v128
	ds_read2_b32 v[150:151], v94 offset1:1
	v_and_b32_e32 v142, 0xf0f0f0f, v145
	v_dot4c_i32_i8_e32 v170, v133, v0
	v_dot4c_i32_i8_e32 v172, v135, v0
	;; [unrolled: 1-line block ×3, first 2 shown]
	s_waitcnt lgkmcnt(0)
	v_lshrrev_b32_e32 v94, 4, v150
	v_and_b32_e32 v148, 0xf0f0f0f, v94
	v_lshrrev_b32_e32 v94, 4, v151
	v_and_b32_e32 v147, 0xf0f0f0f, v150
	v_and_b32_e32 v150, 0xf0f0f0f, v94
	ds_read_b32 v94, v131
	ds_read2_b32 v[152:153], v96 offset1:1
	v_and_b32_e32 v149, 0xf0f0f0f, v151
	v_dot4c_i32_i8_e32 v172, v137, v4
	v_dot4c_i32_i8_e32 v170, v136, v1
	;; [unrolled: 1-line block ×3, first 2 shown]
	s_waitcnt lgkmcnt(0)
	v_lshrrev_b32_e32 v96, 4, v152
	v_and_b32_e32 v146, 0xf0f0f0f, v96
	v_lshrrev_b32_e32 v96, 4, v153
	v_and_b32_e32 v145, 0xf0f0f0f, v152
	v_and_b32_e32 v152, 0xf0f0f0f, v96
	v_add_u32_e32 v96, 0x2108, v128
	ds_read2_b32 v[158:159], v96 offset1:1
	v_and_b32_e32 v151, 0xf0f0f0f, v153
	v_add_u32_e32 v153, 0x3180, v128
	v_dot4c_i32_i8_e32 v173, v145, v0
	v_dot4c_i32_i8_e32 v173, v146, v4
	s_waitcnt lgkmcnt(0)
	v_lshrrev_b32_e32 v96, 4, v158
	v_and_b32_e32 v156, 0xf0f0f0f, v96
	v_lshrrev_b32_e32 v96, 4, v159
	v_and_b32_e32 v155, 0xf0f0f0f, v158
	v_and_b32_e32 v158, 0xf0f0f0f, v96
	ds_read_b32 v96, v132
	ds_read2_b32 v[160:161], v153 offset1:1
	v_and_b32_e32 v157, 0xf0f0f0f, v159
	v_mov_b32_e32 v159, 0
	v_dot4c_i32_i8_e32 v173, v151, v1
	v_dot4c_i32_i8_e32 v170, v138, v5
	s_waitcnt lgkmcnt(0)
	v_and_b32_e32 v153, 0xf0f0f0f, v160
	v_lshrrev_b32_e32 v154, 4, v160
	v_and_b32_e32 v154, 0xf0f0f0f, v154
	v_dot4c_i32_i8_e32 v159, v153, v0
	v_dot4c_i32_i8_e32 v159, v154, v4
	v_and_b32_e32 v0, 0xf0f0f0f, v161
	v_dot4c_i32_i8_e32 v159, v0, v1
	v_add_u32_e32 v1, 0x3188, v128
	v_lshrrev_b32_e32 v4, 4, v161
	ds_read2_b32 v[160:161], v1 offset1:1
	v_and_b32_e32 v4, 0xf0f0f0f, v4
	v_dot4c_i32_i8_e32 v172, v144, v5
	v_dot4c_i32_i8_e32 v173, v152, v5
	;; [unrolled: 1-line block ×3, first 2 shown]
	s_waitcnt lgkmcnt(0)
	v_and_b32_e32 v1, 0xf0f0f0f, v160
	v_lshrrev_b32_e32 v5, 4, v160
	v_dot4c_i32_i8_e32 v170, v139, v2
	v_dot4c_i32_i8_e32 v172, v147, v2
	;; [unrolled: 1-line block ×3, first 2 shown]
	v_and_b32_e32 v5, 0xf0f0f0f, v5
	v_dot4c_i32_i8_e32 v159, v1, v2
	v_dot4c_i32_i8_e32 v170, v140, v6
	v_dot4c_i32_i8_e32 v172, v148, v6
	v_dot4c_i32_i8_e32 v173, v156, v6
	v_dot4c_i32_i8_e32 v159, v5, v6
	v_and_b32_e32 v2, 0xf0f0f0f, v161
	v_lshrrev_b32_e32 v6, 4, v161
	ds_read_b128 v[160:163], v127 offset:1024
	ds_read_b128 v[164:167], v127 offset:1040
	v_dot4c_i32_i8_e32 v170, v141, v3
	v_dot4c_i32_i8_e32 v172, v149, v3
	;; [unrolled: 1-line block ×4, first 2 shown]
	v_mov_b32_e32 v3, 0
	s_waitcnt lgkmcnt(1)
	v_dot4c_i32_i8_e32 v3, v133, v160
	s_waitcnt lgkmcnt(0)
	v_dot4c_i32_i8_e32 v3, v134, v164
	v_dot4c_i32_i8_e32 v3, v136, v161
	v_dot4c_i32_i8_e32 v3, v138, v165
	v_dot4c_i32_i8_e32 v3, v139, v162
	v_dot4c_i32_i8_e32 v3, v140, v166
	v_dot4c_i32_i8_e32 v3, v141, v163
	v_dot4c_i32_i8_e32 v3, v143, v167
	v_dot4c_i32_i8_e32 v170, v143, v7
	v_cvt_f32_f16_e32 v169, v99
	v_cvt_f32_f16_e32 v168, v98
	v_cvt_f32_i32_e32 v171, v3
	v_mov_b32_e32 v3, 0
	v_dot4c_i32_i8_e32 v3, v135, v160
	v_dot4c_i32_i8_e32 v3, v137, v164
	v_cvt_f32_f16_sdwa v99, v99 dst_sel:DWORD dst_unused:UNUSED_PAD src0_sel:WORD_1
	v_cvt_f32_f16_sdwa v98, v98 dst_sel:DWORD dst_unused:UNUSED_PAD src0_sel:WORD_1
	v_dot4c_i32_i8_e32 v3, v142, v161
	v_cvt_f32_i32_e32 v170, v170
	v_dot4c_i32_i8_e32 v3, v144, v165
	v_dot4c_i32_i8_e32 v3, v147, v162
	;; [unrolled: 1-line block ×3, first 2 shown]
	v_pk_mul_f32 v[98:99], v[98:99], s[4:5] op_sel_hi:[1,0]
	v_dot4c_i32_i8_e32 v3, v149, v163
	v_pk_fma_f32 v[170:171], v[168:169], v[170:171], v[98:99] neg_lo:[0,0,1] neg_hi:[0,0,1]
	v_dot4c_i32_i8_e32 v3, v150, v167
	v_pk_fma_f32 v[42:43], v[90:91], v[170:171], v[42:43] op_sel_hi:[0,1,1]
	v_dot4c_i32_i8_e32 v172, v150, v7
	v_and_b32_e32 v6, 0xf0f0f0f, v6
	v_cvt_f32_i32_e32 v171, v3
	v_mov_b32_e32 v3, 0
	v_dot4c_i32_i8_e32 v3, v145, v160
	v_dot4c_i32_i8_e32 v3, v146, v164
	;; [unrolled: 1-line block ×3, first 2 shown]
	v_cvt_f32_i32_e32 v170, v172
	v_dot4c_i32_i8_e32 v3, v152, v165
	v_dot4c_i32_i8_e32 v3, v155, v162
	;; [unrolled: 1-line block ×4, first 2 shown]
	v_pk_fma_f32 v[170:171], v[168:169], v[170:171], v[98:99] neg_lo:[0,0,1] neg_hi:[0,0,1]
	v_dot4c_i32_i8_e32 v3, v158, v167
	v_pk_fma_f32 v[36:37], v[92:93], v[170:171], v[36:37] op_sel_hi:[0,1,1]
	v_dot4c_i32_i8_e32 v173, v158, v7
	v_dot4c_i32_i8_e32 v159, v6, v7
	v_cvt_f32_i32_e32 v171, v3
	v_mov_b32_e32 v3, 0
	v_dot4c_i32_i8_e32 v3, v153, v160
	v_dot4c_i32_i8_e32 v3, v154, v164
	v_dot4c_i32_i8_e32 v3, v0, v161
	v_dot4c_i32_i8_e32 v3, v4, v165
	v_dot4c_i32_i8_e32 v3, v1, v162
	v_dot4c_i32_i8_e32 v3, v5, v166
	v_dot4c_i32_i8_e32 v3, v2, v163
	v_dot4c_i32_i8_e32 v3, v6, v167
	v_cvt_f32_i32_e32 v170, v173
	v_cvt_f32_i32_e32 v160, v159
	v_mov_b32_e32 v7, 0
	v_cvt_f32_i32_e32 v161, v3
	v_pk_fma_f32 v[170:171], v[168:169], v[170:171], v[98:99] neg_lo:[0,0,1] neg_hi:[0,0,1]
	v_mov_b32_e32 v3, 0
	v_mov_b32_e32 v159, 0
	v_pk_fma_f32 v[98:99], v[168:169], v[160:161], v[98:99] neg_lo:[0,0,1] neg_hi:[0,0,1]
	v_pk_fma_f32 v[32:33], v[96:97], v[98:99], v[32:33] op_sel_hi:[0,1,1]
	ds_read_b128 v[160:163], v127 offset:2048
	ds_read_b128 v[164:167], v127 offset:2064
	ds_read2_b32 v[98:99], v126 offset0:64 offset1:96
	v_mov_b32_e32 v172, 0
	v_pk_fma_f32 v[34:35], v[94:95], v[170:171], v[34:35] op_sel_hi:[0,1,1]
	s_waitcnt lgkmcnt(2)
	v_dot4c_i32_i8_e32 v3, v133, v160
	v_dot4c_i32_i8_e32 v7, v135, v160
	;; [unrolled: 1-line block ×4, first 2 shown]
	s_waitcnt lgkmcnt(1)
	v_dot4c_i32_i8_e32 v3, v134, v164
	v_dot4c_i32_i8_e32 v7, v137, v164
	;; [unrolled: 1-line block ×28, first 2 shown]
	ds_read_b128 v[160:163], v127 offset:3072
	ds_read_b128 v[164:167], v127 offset:3088
	v_mov_b32_e32 v170, 0
	s_waitcnt lgkmcnt(2)
	v_cvt_f32_f16_e32 v169, v99
	v_cvt_f32_f16_e32 v168, v98
	s_waitcnt lgkmcnt(1)
	v_dot4c_i32_i8_e32 v170, v133, v160
	s_waitcnt lgkmcnt(0)
	v_dot4c_i32_i8_e32 v170, v134, v164
	v_dot4c_i32_i8_e32 v170, v136, v161
	;; [unrolled: 1-line block ×7, first 2 shown]
	v_cvt_f32_f16_sdwa v99, v99 dst_sel:DWORD dst_unused:UNUSED_PAD src0_sel:WORD_1
	v_cvt_f32_f16_sdwa v98, v98 dst_sel:DWORD dst_unused:UNUSED_PAD src0_sel:WORD_1
	s_add_i32 s1, s1, 4
	v_cvt_f32_i32_e32 v171, v170
	v_cvt_f32_i32_e32 v170, v3
	v_mov_b32_e32 v3, 0
	v_dot4c_i32_i8_e32 v3, v135, v160
	v_dot4c_i32_i8_e32 v3, v137, v164
	;; [unrolled: 1-line block ×6, first 2 shown]
	v_pk_mul_f32 v[98:99], v[98:99], s[4:5] op_sel_hi:[1,0]
	v_dot4c_i32_i8_e32 v3, v149, v163
	v_pk_fma_f32 v[170:171], v[170:171], v[168:169], v[98:99] neg_lo:[0,0,1] neg_hi:[0,0,1]
	v_dot4c_i32_i8_e32 v3, v150, v167
	v_pk_fma_f32 v[30:31], v[90:91], v[170:171], v[30:31] op_sel_hi:[0,1,1]
	v_cvt_f32_i32_e32 v170, v7
	v_mov_b32_e32 v7, 0
	v_cvt_f32_i32_e32 v171, v3
	v_mov_b32_e32 v3, 0
	v_dot4c_i32_i8_e32 v3, v145, v160
	v_dot4c_i32_i8_e32 v3, v146, v164
	;; [unrolled: 1-line block ×7, first 2 shown]
	v_pk_fma_f32 v[170:171], v[170:171], v[168:169], v[98:99] neg_lo:[0,0,1] neg_hi:[0,0,1]
	v_dot4c_i32_i8_e32 v3, v158, v167
	v_pk_fma_f32 v[28:29], v[92:93], v[170:171], v[28:29] op_sel_hi:[0,1,1]
	v_cvt_f32_i32_e32 v170, v159
	v_mov_b32_e32 v159, 0
	v_cvt_f32_i32_e32 v171, v3
	v_mov_b32_e32 v3, 0
	v_dot4c_i32_i8_e32 v3, v153, v160
	v_dot4c_i32_i8_e32 v3, v154, v164
	;; [unrolled: 1-line block ×8, first 2 shown]
	v_cvt_f32_i32_e32 v160, v172
	v_pk_fma_f32 v[170:171], v[170:171], v[168:169], v[98:99] neg_lo:[0,0,1] neg_hi:[0,0,1]
	v_mov_b32_e32 v172, 0
	v_cvt_f32_i32_e32 v161, v3
	v_mov_b32_e32 v3, 0
	v_pk_fma_f32 v[26:27], v[94:95], v[170:171], v[26:27] op_sel_hi:[0,1,1]
	v_mov_b32_e32 v170, 0
	v_pk_fma_f32 v[98:99], v[160:161], v[168:169], v[98:99] neg_lo:[0,0,1] neg_hi:[0,0,1]
	v_pk_fma_f32 v[24:25], v[96:97], v[98:99], v[24:25] op_sel_hi:[0,1,1]
	ds_read_b128 v[160:163], v127 offset:4096
	ds_read_b128 v[164:167], v127 offset:4112
	ds_read2_b32 v[98:99], v126 offset0:128 offset1:160
	v_add_u32_e32 v132, 4, v132
	v_add_u32_e32 v131, 4, v131
	s_waitcnt lgkmcnt(2)
	v_dot4c_i32_i8_e32 v3, v133, v160
	v_dot4c_i32_i8_e32 v7, v135, v160
	;; [unrolled: 1-line block ×4, first 2 shown]
	s_waitcnt lgkmcnt(1)
	v_dot4c_i32_i8_e32 v3, v134, v164
	v_dot4c_i32_i8_e32 v7, v137, v164
	;; [unrolled: 1-line block ×28, first 2 shown]
	ds_read_b128 v[160:163], v127 offset:5120
	ds_read_b128 v[164:167], v127 offset:5136
	s_waitcnt lgkmcnt(2)
	v_cvt_f32_f16_e32 v169, v99
	v_cvt_f32_f16_e32 v168, v98
	v_cvt_f32_f16_sdwa v99, v99 dst_sel:DWORD dst_unused:UNUSED_PAD src0_sel:WORD_1
	s_waitcnt lgkmcnt(1)
	v_dot4c_i32_i8_e32 v170, v133, v160
	s_waitcnt lgkmcnt(0)
	v_dot4c_i32_i8_e32 v170, v134, v164
	v_dot4c_i32_i8_e32 v170, v136, v161
	;; [unrolled: 1-line block ×7, first 2 shown]
	v_cvt_f32_f16_sdwa v98, v98 dst_sel:DWORD dst_unused:UNUSED_PAD src0_sel:WORD_1
	v_add_u32_e32 v130, 4, v130
	v_add_u32_e32 v129, 4, v129
	v_cvt_f32_i32_e32 v171, v170
	v_cvt_f32_i32_e32 v170, v3
	v_mov_b32_e32 v3, 0
	v_dot4c_i32_i8_e32 v3, v135, v160
	v_dot4c_i32_i8_e32 v3, v137, v164
	;; [unrolled: 1-line block ×6, first 2 shown]
	v_pk_mul_f32 v[98:99], v[98:99], s[4:5] op_sel_hi:[1,0]
	v_dot4c_i32_i8_e32 v3, v149, v163
	v_pk_fma_f32 v[170:171], v[170:171], v[168:169], v[98:99] neg_lo:[0,0,1] neg_hi:[0,0,1]
	v_dot4c_i32_i8_e32 v3, v150, v167
	v_pk_fma_f32 v[22:23], v[90:91], v[170:171], v[22:23] op_sel_hi:[0,1,1]
	v_cvt_f32_i32_e32 v170, v7
	v_mov_b32_e32 v7, 0
	v_cvt_f32_i32_e32 v171, v3
	v_mov_b32_e32 v3, 0
	v_dot4c_i32_i8_e32 v3, v145, v160
	v_dot4c_i32_i8_e32 v3, v146, v164
	;; [unrolled: 1-line block ×7, first 2 shown]
	v_pk_fma_f32 v[170:171], v[170:171], v[168:169], v[98:99] neg_lo:[0,0,1] neg_hi:[0,0,1]
	v_dot4c_i32_i8_e32 v3, v158, v167
	v_pk_fma_f32 v[20:21], v[92:93], v[170:171], v[20:21] op_sel_hi:[0,1,1]
	v_cvt_f32_i32_e32 v170, v159
	v_mov_b32_e32 v159, 0
	v_cvt_f32_i32_e32 v171, v3
	v_mov_b32_e32 v3, 0
	v_dot4c_i32_i8_e32 v3, v153, v160
	v_dot4c_i32_i8_e32 v3, v154, v164
	;; [unrolled: 1-line block ×8, first 2 shown]
	v_cvt_f32_i32_e32 v160, v172
	v_pk_fma_f32 v[170:171], v[170:171], v[168:169], v[98:99] neg_lo:[0,0,1] neg_hi:[0,0,1]
	v_pk_fma_f32 v[18:19], v[94:95], v[170:171], v[18:19] op_sel_hi:[0,1,1]
	v_cvt_f32_i32_e32 v161, v3
	v_mov_b32_e32 v3, 0
	v_add_u32_e32 v128, 16, v128
	s_cmp_lt_u32 s1, 28
	v_pk_fma_f32 v[98:99], v[160:161], v[168:169], v[98:99] neg_lo:[0,0,1] neg_hi:[0,0,1]
	v_pk_fma_f32 v[16:17], v[96:97], v[98:99], v[16:17] op_sel_hi:[0,1,1]
	ds_read_b128 v[160:163], v127 offset:6144
	ds_read_b128 v[164:167], v127 offset:6160
	ds_read2_b32 v[98:99], v126 offset0:192 offset1:224
	v_mov_b32_e32 v168, 0
	v_mov_b32_e32 v169, 0
	s_waitcnt lgkmcnt(2)
	v_dot4c_i32_i8_e32 v3, v133, v160
	v_dot4c_i32_i8_e32 v7, v135, v160
	;; [unrolled: 1-line block ×4, first 2 shown]
	s_waitcnt lgkmcnt(1)
	v_dot4c_i32_i8_e32 v3, v134, v164
	v_dot4c_i32_i8_e32 v7, v137, v164
	;; [unrolled: 1-line block ×28, first 2 shown]
	ds_read_b128 v[160:163], v127 offset:7168
	ds_read_b128 v[164:167], v127 offset:7184
	v_add_u32_e32 v127, 32, v127
	v_add_u32_e32 v126, 4, v126
	s_waitcnt lgkmcnt(1)
	v_dot4c_i32_i8_e32 v169, v133, v160
	s_waitcnt lgkmcnt(0)
	v_dot4c_i32_i8_e32 v169, v134, v164
	v_dot4c_i32_i8_e32 v169, v136, v161
	v_dot4c_i32_i8_e32 v169, v138, v165
	v_dot4c_i32_i8_e32 v169, v139, v162
	v_dot4c_i32_i8_e32 v169, v140, v166
	v_cvt_f32_i32_e32 v140, v3
	v_mov_b32_e32 v3, 0
	v_dot4c_i32_i8_e32 v3, v135, v160
	v_dot4c_i32_i8_e32 v3, v137, v164
	;; [unrolled: 1-line block ×8, first 2 shown]
	v_cvt_f32_f16_e32 v139, v99
	v_cvt_f32_f16_e32 v138, v98
	v_cvt_f32_f16_sdwa v99, v99 dst_sel:DWORD dst_unused:UNUSED_PAD src0_sel:WORD_1
	v_cvt_f32_i32_e32 v135, v3
	v_mov_b32_e32 v3, 0
	v_dot4c_i32_i8_e32 v3, v145, v160
	v_dot4c_i32_i8_e32 v3, v146, v164
	v_cvt_f32_f16_sdwa v98, v98 dst_sel:DWORD dst_unused:UNUSED_PAD src0_sel:WORD_1
	v_dot4c_i32_i8_e32 v3, v151, v161
	v_cvt_f32_i32_e32 v134, v7
	v_dot4c_i32_i8_e32 v3, v152, v165
	v_dot4c_i32_i8_e32 v3, v155, v162
	;; [unrolled: 1-line block ×3, first 2 shown]
	v_pk_mul_f32 v[98:99], v[98:99], s[4:5] op_sel_hi:[1,0]
	v_dot4c_i32_i8_e32 v3, v157, v163
	v_pk_fma_f32 v[134:135], v[134:135], v[138:139], v[98:99] neg_lo:[0,0,1] neg_hi:[0,0,1]
	v_dot4c_i32_i8_e32 v3, v158, v167
	v_pk_fma_f32 v[12:13], v[92:93], v[134:135], v[12:13] op_sel_hi:[0,1,1]
	v_dot4c_i32_i8_e32 v169, v141, v163
	v_dot4c_i32_i8_e32 v169, v143, v167
	v_cvt_f32_i32_e32 v135, v3
	v_mov_b32_e32 v3, 0
	v_dot4c_i32_i8_e32 v3, v153, v160
	v_dot4c_i32_i8_e32 v3, v154, v164
	;; [unrolled: 1-line block ×8, first 2 shown]
	v_cvt_f32_i32_e32 v141, v169
	v_cvt_f32_i32_e32 v134, v159
	;; [unrolled: 1-line block ×4, first 2 shown]
	v_pk_fma_f32 v[140:141], v[140:141], v[138:139], v[98:99] neg_lo:[0,0,1] neg_hi:[0,0,1]
	v_pk_fma_f32 v[134:135], v[134:135], v[138:139], v[98:99] neg_lo:[0,0,1] neg_hi:[0,0,1]
	v_pk_fma_f32 v[14:15], v[90:91], v[140:141], v[14:15] op_sel_hi:[0,1,1]
	v_pk_fma_f32 v[0:1], v[0:1], v[138:139], v[98:99] neg_lo:[0,0,1] neg_hi:[0,0,1]
	v_pk_fma_f32 v[10:11], v[94:95], v[134:135], v[10:11] op_sel_hi:[0,1,1]
	v_pk_fma_f32 v[8:9], v[96:97], v[0:1], v[8:9] op_sel_hi:[0,1,1]
	s_cbranch_scc1 .LBB137_10
; %bb.11:                               ;   in Loop: Header=BB137_6 Depth=1
	s_barrier
	s_branch .LBB137_5
.LBB137_12:
	v_mov_b32_e32 v1, v41
.LBB137_13:
	v_cmp_gt_u32_e32 vcc, s8, v45
	s_and_saveexec_b64 s[0:1], vcc
	s_cbranch_execz .LBB137_64
; %bb.14:
	v_add_u32_e32 v0, s6, v39
	v_mul_lo_u32 v5, v45, s10
	v_cmp_gt_u32_e32 vcc, s10, v0
	s_and_saveexec_b64 s[2:3], vcc
	s_cbranch_execz .LBB137_16
; %bb.15:
	v_add_u32_e32 v2, v0, v5
	v_mov_b32_e32 v3, 0
	v_cvt_f16_f32_e32 v6, v42
	v_lshlrev_b64 v[2:3], 1, v[2:3]
	s_waitcnt lgkmcnt(0)
	v_mov_b32_e32 v4, s13
	v_add_co_u32_e64 v2, s[0:1], s12, v2
	v_addc_co_u32_e64 v3, s[0:1], v4, v3, s[0:1]
	global_store_short v[2:3], v6, off
.LBB137_16:
	s_or_b64 exec, exec, s[2:3]
	v_add_u32_e32 v2, 32, v0
	v_cmp_gt_u32_e64 s[0:1], s10, v2
	s_and_saveexec_b64 s[4:5], s[0:1]
	s_cbranch_execz .LBB137_18
; %bb.17:
	v_add_u32_e32 v6, v2, v5
	v_mov_b32_e32 v7, 0
	v_cvt_f16_f32_e32 v4, v36
	v_lshlrev_b64 v[6:7], 1, v[6:7]
	s_waitcnt lgkmcnt(0)
	v_mov_b32_e32 v3, s13
	v_add_co_u32_e64 v6, s[2:3], s12, v6
	v_addc_co_u32_e64 v7, s[2:3], v3, v7, s[2:3]
	global_store_short v[6:7], v4, off
.LBB137_18:
	s_or_b64 exec, exec, s[4:5]
	v_add_u32_e32 v3, 64, v0
	v_cmp_gt_u32_e64 s[2:3], s10, v3
	s_and_saveexec_b64 s[6:7], s[2:3]
	;; [unrolled: 16-line block ×3, first 2 shown]
	s_cbranch_execz .LBB137_22
; %bb.21:
	v_add_u32_e32 v6, v4, v5
	v_mov_b32_e32 v7, 0
	v_cvt_f16_f32_e32 v32, v32
	v_lshlrev_b64 v[6:7], 1, v[6:7]
	s_waitcnt lgkmcnt(0)
	v_mov_b32_e32 v5, s13
	v_add_co_u32_e64 v6, s[6:7], s12, v6
	v_addc_co_u32_e64 v7, s[6:7], v5, v7, s[6:7]
	global_store_short v[6:7], v32, off
.LBB137_22:
	s_or_b64 exec, exec, s[14:15]
	v_add3_u32 v5, v1, s11, 8
	v_cmp_gt_u32_e64 s[6:7], s8, v5
	s_and_b64 exec, exec, s[6:7]
	s_cbranch_execz .LBB137_64
; %bb.23:
	v_mul_lo_u32 v5, v5, s10
	s_and_saveexec_b64 s[14:15], vcc
	s_cbranch_execnz .LBB137_65
; %bb.24:
	s_or_b64 exec, exec, s[14:15]
	s_and_saveexec_b64 s[14:15], s[0:1]
	s_cbranch_execnz .LBB137_66
.LBB137_25:
	s_or_b64 exec, exec, s[14:15]
	s_and_saveexec_b64 s[14:15], s[2:3]
	s_cbranch_execnz .LBB137_67
.LBB137_26:
	s_or_b64 exec, exec, s[14:15]
	s_and_saveexec_b64 s[14:15], s[4:5]
	s_cbranch_execz .LBB137_28
.LBB137_27:
	v_add_u32_e32 v6, v5, v4
	v_mov_b32_e32 v7, 0
	v_cvt_f16_f32_e32 v32, v33
	v_lshlrev_b64 v[6:7], 1, v[6:7]
	s_waitcnt lgkmcnt(0)
	v_mov_b32_e32 v5, s13
	v_add_co_u32_e64 v6, s[6:7], s12, v6
	v_addc_co_u32_e64 v7, s[6:7], v5, v7, s[6:7]
	global_store_short v[6:7], v32, off
.LBB137_28:
	s_or_b64 exec, exec, s[14:15]
	v_add3_u32 v5, v1, s11, 16
	v_cmp_gt_u32_e64 s[6:7], s8, v5
	s_and_b64 exec, exec, s[6:7]
	s_cbranch_execz .LBB137_64
; %bb.29:
	v_mul_lo_u32 v5, v5, s10
	s_and_saveexec_b64 s[14:15], vcc
	s_cbranch_execnz .LBB137_68
; %bb.30:
	s_or_b64 exec, exec, s[14:15]
	s_and_saveexec_b64 s[14:15], s[0:1]
	s_cbranch_execnz .LBB137_69
.LBB137_31:
	s_or_b64 exec, exec, s[14:15]
	s_and_saveexec_b64 s[14:15], s[2:3]
	s_cbranch_execnz .LBB137_70
.LBB137_32:
	s_or_b64 exec, exec, s[14:15]
	s_and_saveexec_b64 s[14:15], s[4:5]
	s_cbranch_execz .LBB137_34
.LBB137_33:
	v_add_u32_e32 v6, v5, v4
	v_mov_b32_e32 v7, 0
	v_cvt_f16_f32_e32 v24, v24
	v_lshlrev_b64 v[6:7], 1, v[6:7]
	s_waitcnt lgkmcnt(0)
	v_mov_b32_e32 v5, s13
	v_add_co_u32_e64 v6, s[6:7], s12, v6
	v_addc_co_u32_e64 v7, s[6:7], v5, v7, s[6:7]
	global_store_short v[6:7], v24, off
.LBB137_34:
	s_or_b64 exec, exec, s[14:15]
	v_add3_u32 v5, v1, s11, 24
	v_cmp_gt_u32_e64 s[6:7], s8, v5
	s_and_b64 exec, exec, s[6:7]
	s_cbranch_execz .LBB137_64
; %bb.35:
	v_mul_lo_u32 v5, v5, s10
	s_and_saveexec_b64 s[14:15], vcc
	s_cbranch_execnz .LBB137_71
; %bb.36:
	s_or_b64 exec, exec, s[14:15]
	s_and_saveexec_b64 s[14:15], s[0:1]
	s_cbranch_execnz .LBB137_72
.LBB137_37:
	s_or_b64 exec, exec, s[14:15]
	s_and_saveexec_b64 s[14:15], s[2:3]
	s_cbranch_execnz .LBB137_73
.LBB137_38:
	s_or_b64 exec, exec, s[14:15]
	s_and_saveexec_b64 s[14:15], s[4:5]
	s_cbranch_execz .LBB137_40
.LBB137_39:
	v_add_u32_e32 v6, v5, v4
	v_mov_b32_e32 v7, 0
	v_cvt_f16_f32_e32 v24, v25
	v_lshlrev_b64 v[6:7], 1, v[6:7]
	s_waitcnt lgkmcnt(0)
	v_mov_b32_e32 v5, s13
	v_add_co_u32_e64 v6, s[6:7], s12, v6
	v_addc_co_u32_e64 v7, s[6:7], v5, v7, s[6:7]
	global_store_short v[6:7], v24, off
.LBB137_40:
	s_or_b64 exec, exec, s[14:15]
	v_add3_u32 v5, v1, s11, 32
	v_cmp_gt_u32_e64 s[6:7], s8, v5
	s_and_b64 exec, exec, s[6:7]
	s_cbranch_execz .LBB137_64
; %bb.41:
	v_mul_lo_u32 v5, v5, s10
	s_and_saveexec_b64 s[14:15], vcc
	s_cbranch_execnz .LBB137_74
; %bb.42:
	s_or_b64 exec, exec, s[14:15]
	s_and_saveexec_b64 s[14:15], s[0:1]
	s_cbranch_execnz .LBB137_75
.LBB137_43:
	s_or_b64 exec, exec, s[14:15]
	s_and_saveexec_b64 s[14:15], s[2:3]
	s_cbranch_execnz .LBB137_76
.LBB137_44:
	s_or_b64 exec, exec, s[14:15]
	s_and_saveexec_b64 s[14:15], s[4:5]
	s_cbranch_execz .LBB137_46
.LBB137_45:
	v_add_u32_e32 v6, v5, v4
	v_mov_b32_e32 v7, 0
	v_cvt_f16_f32_e32 v16, v16
	v_lshlrev_b64 v[6:7], 1, v[6:7]
	s_waitcnt lgkmcnt(0)
	v_mov_b32_e32 v5, s13
	v_add_co_u32_e64 v6, s[6:7], s12, v6
	v_addc_co_u32_e64 v7, s[6:7], v5, v7, s[6:7]
	global_store_short v[6:7], v16, off
.LBB137_46:
	s_or_b64 exec, exec, s[14:15]
	v_add3_u32 v5, v1, s11, 40
	v_cmp_gt_u32_e64 s[6:7], s8, v5
	s_and_b64 exec, exec, s[6:7]
	s_cbranch_execz .LBB137_64
; %bb.47:
	v_mul_lo_u32 v5, v5, s10
	s_and_saveexec_b64 s[14:15], vcc
	s_cbranch_execnz .LBB137_77
; %bb.48:
	s_or_b64 exec, exec, s[14:15]
	s_and_saveexec_b64 s[14:15], s[0:1]
	s_cbranch_execnz .LBB137_78
.LBB137_49:
	s_or_b64 exec, exec, s[14:15]
	s_and_saveexec_b64 s[14:15], s[2:3]
	s_cbranch_execnz .LBB137_79
.LBB137_50:
	s_or_b64 exec, exec, s[14:15]
	s_and_saveexec_b64 s[14:15], s[4:5]
	s_cbranch_execz .LBB137_52
.LBB137_51:
	v_add_u32_e32 v6, v5, v4
	v_mov_b32_e32 v7, 0
	v_cvt_f16_f32_e32 v16, v17
	v_lshlrev_b64 v[6:7], 1, v[6:7]
	s_waitcnt lgkmcnt(0)
	v_mov_b32_e32 v5, s13
	v_add_co_u32_e64 v6, s[6:7], s12, v6
	v_addc_co_u32_e64 v7, s[6:7], v5, v7, s[6:7]
	global_store_short v[6:7], v16, off
.LBB137_52:
	s_or_b64 exec, exec, s[14:15]
	v_add3_u32 v5, v1, s11, 48
	v_cmp_gt_u32_e64 s[6:7], s8, v5
	s_and_b64 exec, exec, s[6:7]
	s_cbranch_execz .LBB137_64
; %bb.53:
	v_mul_lo_u32 v5, v5, s10
	s_and_saveexec_b64 s[14:15], vcc
	s_cbranch_execnz .LBB137_80
; %bb.54:
	s_or_b64 exec, exec, s[14:15]
	s_and_saveexec_b64 s[14:15], s[0:1]
	s_cbranch_execnz .LBB137_81
.LBB137_55:
	s_or_b64 exec, exec, s[14:15]
	s_and_saveexec_b64 s[14:15], s[2:3]
	s_cbranch_execnz .LBB137_82
.LBB137_56:
	s_or_b64 exec, exec, s[14:15]
	s_and_saveexec_b64 s[14:15], s[4:5]
	s_cbranch_execz .LBB137_58
.LBB137_57:
	v_add_u32_e32 v6, v5, v4
	v_mov_b32_e32 v7, 0
	v_cvt_f16_f32_e32 v8, v8
	v_lshlrev_b64 v[6:7], 1, v[6:7]
	s_waitcnt lgkmcnt(0)
	v_mov_b32_e32 v5, s13
	v_add_co_u32_e64 v6, s[6:7], s12, v6
	v_addc_co_u32_e64 v7, s[6:7], v5, v7, s[6:7]
	global_store_short v[6:7], v8, off
.LBB137_58:
	s_or_b64 exec, exec, s[14:15]
	v_add3_u32 v1, v1, s11, 56
	v_cmp_gt_u32_e64 s[6:7], s8, v1
	s_and_b64 exec, exec, s[6:7]
	s_cbranch_execz .LBB137_64
; %bb.59:
	v_mul_lo_u32 v1, v1, s10
	s_and_saveexec_b64 s[6:7], vcc
	s_cbranch_execnz .LBB137_83
; %bb.60:
	s_or_b64 exec, exec, s[6:7]
	s_and_saveexec_b64 s[6:7], s[0:1]
	s_cbranch_execnz .LBB137_84
.LBB137_61:
	s_or_b64 exec, exec, s[6:7]
	s_and_saveexec_b64 s[0:1], s[2:3]
	s_cbranch_execnz .LBB137_85
.LBB137_62:
	s_or_b64 exec, exec, s[0:1]
	s_and_b64 exec, exec, s[4:5]
	s_cbranch_execz .LBB137_64
.LBB137_63:
	v_add_u32_e32 v0, v1, v4
	v_mov_b32_e32 v1, 0
	v_cvt_f16_f32_e32 v3, v9
	v_lshlrev_b64 v[0:1], 1, v[0:1]
	s_waitcnt lgkmcnt(0)
	v_mov_b32_e32 v2, s13
	v_add_co_u32_e32 v0, vcc, s12, v0
	v_addc_co_u32_e32 v1, vcc, v2, v1, vcc
	global_store_short v[0:1], v3, off
.LBB137_64:
	s_endpgm
.LBB137_65:
	v_add_u32_e32 v6, v5, v0
	v_mov_b32_e32 v7, 0
	v_cvt_f16_f32_e32 v34, v43
	v_lshlrev_b64 v[6:7], 1, v[6:7]
	s_waitcnt lgkmcnt(0)
	v_mov_b32_e32 v32, s13
	v_add_co_u32_e64 v6, s[6:7], s12, v6
	v_addc_co_u32_e64 v7, s[6:7], v32, v7, s[6:7]
	global_store_short v[6:7], v34, off
	s_or_b64 exec, exec, s[14:15]
	s_and_saveexec_b64 s[14:15], s[0:1]
	s_cbranch_execz .LBB137_25
.LBB137_66:
	v_add_u32_e32 v6, v5, v2
	v_mov_b32_e32 v7, 0
	v_cvt_f16_f32_e32 v34, v37
	v_lshlrev_b64 v[6:7], 1, v[6:7]
	s_waitcnt lgkmcnt(0)
	v_mov_b32_e32 v32, s13
	v_add_co_u32_e64 v6, s[6:7], s12, v6
	v_addc_co_u32_e64 v7, s[6:7], v32, v7, s[6:7]
	global_store_short v[6:7], v34, off
	s_or_b64 exec, exec, s[14:15]
	s_and_saveexec_b64 s[14:15], s[2:3]
	s_cbranch_execz .LBB137_26
.LBB137_67:
	v_add_u32_e32 v6, v5, v3
	v_mov_b32_e32 v7, 0
	v_cvt_f16_f32_e32 v34, v35
	v_lshlrev_b64 v[6:7], 1, v[6:7]
	s_waitcnt lgkmcnt(0)
	v_mov_b32_e32 v32, s13
	v_add_co_u32_e64 v6, s[6:7], s12, v6
	v_addc_co_u32_e64 v7, s[6:7], v32, v7, s[6:7]
	global_store_short v[6:7], v34, off
	s_or_b64 exec, exec, s[14:15]
	s_and_saveexec_b64 s[14:15], s[4:5]
	s_cbranch_execnz .LBB137_27
	s_branch .LBB137_28
.LBB137_68:
	v_add_u32_e32 v6, v5, v0
	v_mov_b32_e32 v7, 0
	v_cvt_f16_f32_e32 v30, v30
	v_lshlrev_b64 v[6:7], 1, v[6:7]
	s_waitcnt lgkmcnt(0)
	v_mov_b32_e32 v32, s13
	v_add_co_u32_e64 v6, s[6:7], s12, v6
	v_addc_co_u32_e64 v7, s[6:7], v32, v7, s[6:7]
	global_store_short v[6:7], v30, off
	s_or_b64 exec, exec, s[14:15]
	s_and_saveexec_b64 s[14:15], s[0:1]
	s_cbranch_execz .LBB137_31
.LBB137_69:
	v_add_u32_e32 v6, v5, v2
	v_mov_b32_e32 v7, 0
	v_cvt_f16_f32_e32 v28, v28
	v_lshlrev_b64 v[6:7], 1, v[6:7]
	s_waitcnt lgkmcnt(0)
	v_mov_b32_e32 v30, s13
	v_add_co_u32_e64 v6, s[6:7], s12, v6
	v_addc_co_u32_e64 v7, s[6:7], v30, v7, s[6:7]
	global_store_short v[6:7], v28, off
	s_or_b64 exec, exec, s[14:15]
	s_and_saveexec_b64 s[14:15], s[2:3]
	s_cbranch_execz .LBB137_32
.LBB137_70:
	v_add_u32_e32 v6, v5, v3
	v_mov_b32_e32 v7, 0
	v_cvt_f16_f32_e32 v26, v26
	v_lshlrev_b64 v[6:7], 1, v[6:7]
	s_waitcnt lgkmcnt(0)
	v_mov_b32_e32 v28, s13
	v_add_co_u32_e64 v6, s[6:7], s12, v6
	v_addc_co_u32_e64 v7, s[6:7], v28, v7, s[6:7]
	global_store_short v[6:7], v26, off
	s_or_b64 exec, exec, s[14:15]
	s_and_saveexec_b64 s[14:15], s[4:5]
	s_cbranch_execnz .LBB137_33
	s_branch .LBB137_34
.LBB137_71:
	v_add_u32_e32 v6, v5, v0
	v_mov_b32_e32 v7, 0
	v_cvt_f16_f32_e32 v26, v31
	v_lshlrev_b64 v[6:7], 1, v[6:7]
	s_waitcnt lgkmcnt(0)
	v_mov_b32_e32 v24, s13
	v_add_co_u32_e64 v6, s[6:7], s12, v6
	v_addc_co_u32_e64 v7, s[6:7], v24, v7, s[6:7]
	global_store_short v[6:7], v26, off
	s_or_b64 exec, exec, s[14:15]
	s_and_saveexec_b64 s[14:15], s[0:1]
	s_cbranch_execz .LBB137_37
.LBB137_72:
	v_add_u32_e32 v6, v5, v2
	v_mov_b32_e32 v7, 0
	v_cvt_f16_f32_e32 v26, v29
	v_lshlrev_b64 v[6:7], 1, v[6:7]
	s_waitcnt lgkmcnt(0)
	v_mov_b32_e32 v24, s13
	v_add_co_u32_e64 v6, s[6:7], s12, v6
	v_addc_co_u32_e64 v7, s[6:7], v24, v7, s[6:7]
	global_store_short v[6:7], v26, off
	s_or_b64 exec, exec, s[14:15]
	s_and_saveexec_b64 s[14:15], s[2:3]
	s_cbranch_execz .LBB137_38
.LBB137_73:
	v_add_u32_e32 v6, v5, v3
	v_mov_b32_e32 v7, 0
	v_cvt_f16_f32_e32 v26, v27
	v_lshlrev_b64 v[6:7], 1, v[6:7]
	s_waitcnt lgkmcnt(0)
	v_mov_b32_e32 v24, s13
	v_add_co_u32_e64 v6, s[6:7], s12, v6
	v_addc_co_u32_e64 v7, s[6:7], v24, v7, s[6:7]
	global_store_short v[6:7], v26, off
	s_or_b64 exec, exec, s[14:15]
	s_and_saveexec_b64 s[14:15], s[4:5]
	s_cbranch_execnz .LBB137_39
	s_branch .LBB137_40
.LBB137_74:
	v_add_u32_e32 v6, v5, v0
	v_mov_b32_e32 v7, 0
	v_cvt_f16_f32_e32 v22, v22
	v_lshlrev_b64 v[6:7], 1, v[6:7]
	s_waitcnt lgkmcnt(0)
	v_mov_b32_e32 v24, s13
	v_add_co_u32_e64 v6, s[6:7], s12, v6
	v_addc_co_u32_e64 v7, s[6:7], v24, v7, s[6:7]
	global_store_short v[6:7], v22, off
	s_or_b64 exec, exec, s[14:15]
	s_and_saveexec_b64 s[14:15], s[0:1]
	s_cbranch_execz .LBB137_43
.LBB137_75:
	v_add_u32_e32 v6, v5, v2
	v_mov_b32_e32 v7, 0
	v_cvt_f16_f32_e32 v20, v20
	v_lshlrev_b64 v[6:7], 1, v[6:7]
	s_waitcnt lgkmcnt(0)
	v_mov_b32_e32 v22, s13
	v_add_co_u32_e64 v6, s[6:7], s12, v6
	v_addc_co_u32_e64 v7, s[6:7], v22, v7, s[6:7]
	global_store_short v[6:7], v20, off
	s_or_b64 exec, exec, s[14:15]
	s_and_saveexec_b64 s[14:15], s[2:3]
	s_cbranch_execz .LBB137_44
.LBB137_76:
	v_add_u32_e32 v6, v5, v3
	v_mov_b32_e32 v7, 0
	v_cvt_f16_f32_e32 v18, v18
	v_lshlrev_b64 v[6:7], 1, v[6:7]
	s_waitcnt lgkmcnt(0)
	v_mov_b32_e32 v20, s13
	v_add_co_u32_e64 v6, s[6:7], s12, v6
	v_addc_co_u32_e64 v7, s[6:7], v20, v7, s[6:7]
	global_store_short v[6:7], v18, off
	s_or_b64 exec, exec, s[14:15]
	s_and_saveexec_b64 s[14:15], s[4:5]
	s_cbranch_execnz .LBB137_45
	s_branch .LBB137_46
.LBB137_77:
	v_add_u32_e32 v6, v5, v0
	v_mov_b32_e32 v7, 0
	v_cvt_f16_f32_e32 v18, v23
	v_lshlrev_b64 v[6:7], 1, v[6:7]
	s_waitcnt lgkmcnt(0)
	v_mov_b32_e32 v16, s13
	v_add_co_u32_e64 v6, s[6:7], s12, v6
	v_addc_co_u32_e64 v7, s[6:7], v16, v7, s[6:7]
	global_store_short v[6:7], v18, off
	s_or_b64 exec, exec, s[14:15]
	s_and_saveexec_b64 s[14:15], s[0:1]
	s_cbranch_execz .LBB137_49
.LBB137_78:
	v_add_u32_e32 v6, v5, v2
	v_mov_b32_e32 v7, 0
	v_cvt_f16_f32_e32 v18, v21
	v_lshlrev_b64 v[6:7], 1, v[6:7]
	s_waitcnt lgkmcnt(0)
	v_mov_b32_e32 v16, s13
	v_add_co_u32_e64 v6, s[6:7], s12, v6
	v_addc_co_u32_e64 v7, s[6:7], v16, v7, s[6:7]
	global_store_short v[6:7], v18, off
	s_or_b64 exec, exec, s[14:15]
	s_and_saveexec_b64 s[14:15], s[2:3]
	s_cbranch_execz .LBB137_50
.LBB137_79:
	v_add_u32_e32 v6, v5, v3
	v_mov_b32_e32 v7, 0
	v_cvt_f16_f32_e32 v18, v19
	v_lshlrev_b64 v[6:7], 1, v[6:7]
	s_waitcnt lgkmcnt(0)
	v_mov_b32_e32 v16, s13
	v_add_co_u32_e64 v6, s[6:7], s12, v6
	v_addc_co_u32_e64 v7, s[6:7], v16, v7, s[6:7]
	global_store_short v[6:7], v18, off
	s_or_b64 exec, exec, s[14:15]
	s_and_saveexec_b64 s[14:15], s[4:5]
	s_cbranch_execnz .LBB137_51
	s_branch .LBB137_52
.LBB137_80:
	v_add_u32_e32 v6, v5, v0
	v_mov_b32_e32 v7, 0
	v_cvt_f16_f32_e32 v14, v14
	v_lshlrev_b64 v[6:7], 1, v[6:7]
	s_waitcnt lgkmcnt(0)
	v_mov_b32_e32 v16, s13
	v_add_co_u32_e64 v6, s[6:7], s12, v6
	v_addc_co_u32_e64 v7, s[6:7], v16, v7, s[6:7]
	global_store_short v[6:7], v14, off
	s_or_b64 exec, exec, s[14:15]
	s_and_saveexec_b64 s[14:15], s[0:1]
	s_cbranch_execz .LBB137_55
.LBB137_81:
	v_add_u32_e32 v6, v5, v2
	v_mov_b32_e32 v7, 0
	v_cvt_f16_f32_e32 v12, v12
	v_lshlrev_b64 v[6:7], 1, v[6:7]
	s_waitcnt lgkmcnt(0)
	v_mov_b32_e32 v14, s13
	v_add_co_u32_e64 v6, s[6:7], s12, v6
	v_addc_co_u32_e64 v7, s[6:7], v14, v7, s[6:7]
	global_store_short v[6:7], v12, off
	s_or_b64 exec, exec, s[14:15]
	s_and_saveexec_b64 s[14:15], s[2:3]
	s_cbranch_execz .LBB137_56
.LBB137_82:
	v_add_u32_e32 v6, v5, v3
	v_mov_b32_e32 v7, 0
	v_cvt_f16_f32_e32 v10, v10
	v_lshlrev_b64 v[6:7], 1, v[6:7]
	s_waitcnt lgkmcnt(0)
	v_mov_b32_e32 v12, s13
	v_add_co_u32_e64 v6, s[6:7], s12, v6
	v_addc_co_u32_e64 v7, s[6:7], v12, v7, s[6:7]
	global_store_short v[6:7], v10, off
	s_or_b64 exec, exec, s[14:15]
	s_and_saveexec_b64 s[14:15], s[4:5]
	s_cbranch_execnz .LBB137_57
	s_branch .LBB137_58
.LBB137_83:
	v_add_u32_e32 v6, v1, v0
	v_mov_b32_e32 v7, 0
	v_cvt_f16_f32_e32 v5, v15
	v_lshlrev_b64 v[6:7], 1, v[6:7]
	s_waitcnt lgkmcnt(0)
	v_mov_b32_e32 v0, s13
	v_add_co_u32_e32 v6, vcc, s12, v6
	v_addc_co_u32_e32 v7, vcc, v0, v7, vcc
	global_store_short v[6:7], v5, off
	s_or_b64 exec, exec, s[6:7]
	s_and_saveexec_b64 s[6:7], s[0:1]
	s_cbranch_execz .LBB137_61
.LBB137_84:
	v_add_u32_e32 v6, v1, v2
	v_mov_b32_e32 v7, 0
	v_cvt_f16_f32_e32 v2, v13
	v_lshlrev_b64 v[6:7], 1, v[6:7]
	s_waitcnt lgkmcnt(0)
	v_mov_b32_e32 v0, s13
	v_add_co_u32_e32 v6, vcc, s12, v6
	v_addc_co_u32_e32 v7, vcc, v0, v7, vcc
	global_store_short v[6:7], v2, off
	s_or_b64 exec, exec, s[6:7]
	s_and_saveexec_b64 s[0:1], s[2:3]
	s_cbranch_execz .LBB137_62
.LBB137_85:
	v_add_u32_e32 v2, v1, v3
	v_mov_b32_e32 v3, 0
	v_cvt_f16_f32_e32 v5, v11
	v_lshlrev_b64 v[2:3], 1, v[2:3]
	s_waitcnt lgkmcnt(0)
	v_mov_b32_e32 v0, s13
	v_add_co_u32_e32 v2, vcc, s12, v2
	v_addc_co_u32_e32 v3, vcc, v0, v3, vcc
	global_store_short v[2:3], v5, off
	s_or_b64 exec, exec, s[0:1]
	s_and_b64 exec, exec, s[4:5]
	s_cbranch_execnz .LBB137_63
	s_branch .LBB137_64
	.section	.rodata,"a",@progbits
	.p2align	6, 0x0
	.amdhsa_kernel _ZL12mul_mat_q4_0IN3c104HalfELb0EEvPKvS3_PT_iiiii
		.amdhsa_group_segment_fixed_size 30336
		.amdhsa_private_segment_fixed_size 0
		.amdhsa_kernarg_size 44
		.amdhsa_user_sgpr_count 6
		.amdhsa_user_sgpr_private_segment_buffer 1
		.amdhsa_user_sgpr_dispatch_ptr 0
		.amdhsa_user_sgpr_queue_ptr 0
		.amdhsa_user_sgpr_kernarg_segment_ptr 1
		.amdhsa_user_sgpr_dispatch_id 0
		.amdhsa_user_sgpr_flat_scratch_init 0
		.amdhsa_user_sgpr_kernarg_preload_length 0
		.amdhsa_user_sgpr_kernarg_preload_offset 0
		.amdhsa_user_sgpr_private_segment_size 0
		.amdhsa_uses_dynamic_stack 0
		.amdhsa_system_sgpr_private_segment_wavefront_offset 0
		.amdhsa_system_sgpr_workgroup_id_x 1
		.amdhsa_system_sgpr_workgroup_id_y 1
		.amdhsa_system_sgpr_workgroup_id_z 0
		.amdhsa_system_sgpr_workgroup_info 0
		.amdhsa_system_vgpr_workitem_id 1
		.amdhsa_next_free_vgpr 175
		.amdhsa_next_free_sgpr 18
		.amdhsa_accum_offset 176
		.amdhsa_reserve_vcc 1
		.amdhsa_reserve_flat_scratch 0
		.amdhsa_float_round_mode_32 0
		.amdhsa_float_round_mode_16_64 0
		.amdhsa_float_denorm_mode_32 3
		.amdhsa_float_denorm_mode_16_64 3
		.amdhsa_dx10_clamp 1
		.amdhsa_ieee_mode 1
		.amdhsa_fp16_overflow 0
		.amdhsa_tg_split 0
		.amdhsa_exception_fp_ieee_invalid_op 0
		.amdhsa_exception_fp_denorm_src 0
		.amdhsa_exception_fp_ieee_div_zero 0
		.amdhsa_exception_fp_ieee_overflow 0
		.amdhsa_exception_fp_ieee_underflow 0
		.amdhsa_exception_fp_ieee_inexact 0
		.amdhsa_exception_int_div_zero 0
	.end_amdhsa_kernel
	.section	.text._ZL12mul_mat_q4_0IN3c104HalfELb0EEvPKvS3_PT_iiiii,"axG",@progbits,_ZL12mul_mat_q4_0IN3c104HalfELb0EEvPKvS3_PT_iiiii,comdat
.Lfunc_end137:
	.size	_ZL12mul_mat_q4_0IN3c104HalfELb0EEvPKvS3_PT_iiiii, .Lfunc_end137-_ZL12mul_mat_q4_0IN3c104HalfELb0EEvPKvS3_PT_iiiii
                                        ; -- End function
	.section	.AMDGPU.csdata,"",@progbits
; Kernel info:
; codeLenInByte = 10184
; NumSgprs: 22
; NumVgprs: 175
; NumAgprs: 0
; TotalNumVgprs: 175
; ScratchSize: 0
; MemoryBound: 0
; FloatMode: 240
; IeeeMode: 1
; LDSByteSize: 30336 bytes/workgroup (compile time only)
; SGPRBlocks: 2
; VGPRBlocks: 21
; NumSGPRsForWavesPerEU: 22
; NumVGPRsForWavesPerEU: 175
; AccumOffset: 176
; Occupancy: 2
; WaveLimiterHint : 0
; COMPUTE_PGM_RSRC2:SCRATCH_EN: 0
; COMPUTE_PGM_RSRC2:USER_SGPR: 6
; COMPUTE_PGM_RSRC2:TRAP_HANDLER: 0
; COMPUTE_PGM_RSRC2:TGID_X_EN: 1
; COMPUTE_PGM_RSRC2:TGID_Y_EN: 1
; COMPUTE_PGM_RSRC2:TGID_Z_EN: 0
; COMPUTE_PGM_RSRC2:TIDIG_COMP_CNT: 1
; COMPUTE_PGM_RSRC3_GFX90A:ACCUM_OFFSET: 43
; COMPUTE_PGM_RSRC3_GFX90A:TG_SPLIT: 0
	.section	.text._ZL12mul_mat_q4_0IN3c104HalfELb1EEvPKvS3_PT_iiiii,"axG",@progbits,_ZL12mul_mat_q4_0IN3c104HalfELb1EEvPKvS3_PT_iiiii,comdat
	.globl	_ZL12mul_mat_q4_0IN3c104HalfELb1EEvPKvS3_PT_iiiii ; -- Begin function _ZL12mul_mat_q4_0IN3c104HalfELb1EEvPKvS3_PT_iiiii
	.p2align	8
	.type	_ZL12mul_mat_q4_0IN3c104HalfELb1EEvPKvS3_PT_iiiii,@function
_ZL12mul_mat_q4_0IN3c104HalfELb1EEvPKvS3_PT_iiiii: ; @_ZL12mul_mat_q4_0IN3c104HalfELb1EEvPKvS3_PT_iiiii
; %bb.0:
	s_load_dwordx4 s[8:11], s[4:5], 0x18
	s_load_dword s14, s[4:5], 0x28
	s_lshl_b32 s15, s7, 6
	v_bfe_u32 v37, v0, 10, 10
	s_waitcnt lgkmcnt(0)
	s_cmp_gt_i32 s8, 31
	s_cbranch_scc1 .LBB138_2
; %bb.1:
	v_bfe_u32 v1, v0, 10, 10
	s_mov_b32 s0, 0
	v_and_b32_e32 v33, 0x3ff, v0
	v_add_u32_e32 v39, s15, v1
	s_mov_b32 s1, s0
	s_mov_b64 s[2:3], 0
	s_branch .LBB138_3
.LBB138_2:
	s_mov_b64 s[2:3], -1
                                        ; implicit-def: $sgpr0_sgpr1
                                        ; implicit-def: $vgpr1
                                        ; implicit-def: $vgpr33
                                        ; implicit-def: $vgpr39
.LBB138_3:
	s_load_dwordx2 s[12:13], s[4:5], 0x10
	s_lshl_b32 s6, s6, 7
	s_andn2_b64 vcc, exec, s[2:3]
	v_pk_mov_b32 v[8:9], s[0:1], s[0:1] op_sel:[0,1]
	v_pk_mov_b32 v[16:17], s[0:1], s[0:1] op_sel:[0,1]
	;; [unrolled: 1-line block ×16, first 2 shown]
	s_cbranch_vccnz .LBB138_13
; %bb.4:
	s_load_dwordx4 s[0:3], s[4:5], 0x0
	s_ashr_i32 s4, s8, 31
	s_lshr_b32 s4, s4, 27
	s_add_i32 s4, s8, s4
	s_ashr_i32 s5, s4, 5
	s_ashr_i32 s4, s11, 31
	s_lshr_b32 s4, s4, 27
	s_add_i32 s4, s11, s4
	s_mul_i32 s7, s5, s6
	s_ashr_i32 s4, s4, 5
	s_mul_hi_i32 s8, s7, 18
	s_mul_i32 s7, s7, 18
	s_waitcnt lgkmcnt(0)
	s_add_u32 s7, s0, s7
	s_addc_u32 s8, s1, s8
	s_not_b32 s0, s6
	s_add_i32 s9, s0, s9
	v_and_b32_e32 v33, 0x3ff, v0
	v_lshlrev_b32_e32 v0, 2, v33
	v_min_i32_e32 v1, s9, v37
	s_movk_i32 s1, 0x84
	v_add_u32_e32 v4, 8, v37
	v_mul_lo_u32 v38, v1, s5
	v_mad_u64_u32 v[40:41], s[16:17], v1, s1, v[0:1]
	v_min_i32_e32 v1, s9, v4
	v_add_u32_e32 v5, 16, v37
	v_mul_lo_u32 v42, v1, s5
	v_mad_u64_u32 v[44:45], s[16:17], v1, s1, v[0:1]
	v_min_i32_e32 v1, s9, v5
	;; [unrolled: 4-line block ×7, first 2 shown]
	v_mul_lo_u32 v68, v1, s5
	v_mad_u64_u32 v[72:73], s[16:17], v1, s1, v[0:1]
	v_add_u32_e32 v1, 64, v37
	v_min_i32_e32 v1, s9, v1
	v_mul_lo_u32 v74, v1, s5
	v_mad_u64_u32 v[76:77], s[16:17], v1, s1, v[0:1]
	v_add_u32_e32 v1, 0x48, v37
	v_min_i32_e32 v1, s9, v1
	v_mul_lo_u32 v78, v1, s5
	v_mad_u64_u32 v[80:81], s[16:17], v1, s1, v[0:1]
	v_add_u32_e32 v1, 0x50, v37
	v_min_i32_e32 v1, s9, v1
	v_mul_lo_u32 v82, v1, s5
	v_mad_u64_u32 v[86:87], s[16:17], v1, s1, v[0:1]
	v_add_u32_e32 v1, 0x58, v37
	v_min_i32_e32 v1, s9, v1
	v_mul_lo_u32 v88, v1, s5
	v_mad_u64_u32 v[90:91], s[16:17], v1, s1, v[0:1]
	v_add_u32_e32 v1, 0x60, v37
	v_min_i32_e32 v1, s9, v1
	v_mul_lo_u32 v92, v1, s5
	v_mad_u64_u32 v[94:95], s[16:17], v1, s1, v[0:1]
	v_add_u32_e32 v1, 0x68, v37
	v_min_i32_e32 v1, s9, v1
	v_mul_lo_u32 v96, v1, s5
	v_mad_u64_u32 v[98:99], s[16:17], v1, s1, v[0:1]
	v_add_u32_e32 v1, 0x70, v37
	v_min_i32_e32 v1, s9, v1
	v_mul_lo_u32 v100, v1, s5
	v_mad_u64_u32 v[102:103], s[16:17], v1, s1, v[0:1]
	v_add_u32_e32 v1, 0x78, v37
	v_min_i32_e32 v1, s9, v1
	v_lshrrev_b32_e32 v41, 3, v33
	v_mul_lo_u32 v104, v1, s5
	v_mad_u64_u32 v[106:107], s[16:17], v1, s1, v[0:1]
	v_lshl_add_u32 v1, v37, 2, v41
	v_min_i32_e32 v2, s9, v1
	v_ashrrev_i32_e32 v3, 31, v2
	v_lshrrev_b32_e32 v3, 30, v3
	v_and_b32_e32 v108, 7, v33
	v_mul_lo_u32 v110, v2, s5
	v_add_u32_e32 v3, v2, v3
	v_lshlrev_b32_e32 v13, 5, v2
	v_add_u32_e32 v2, 32, v1
	v_and_b32_e32 v3, -4, v3
	v_lshlrev_b32_e32 v11, 2, v108
	s_movk_i32 s11, 0x6200
	v_min_i32_e32 v2, s9, v2
	v_add3_u32 v12, v3, v11, s11
	v_ashrrev_i32_e32 v3, 31, v2
	v_lshrrev_b32_e32 v3, 30, v3
	v_mul_lo_u32 v112, v2, s5
	v_add_u32_e32 v3, v2, v3
	v_lshlrev_b32_e32 v15, 5, v2
	v_add_u32_e32 v2, 64, v1
	v_and_b32_e32 v3, -4, v3
	v_min_i32_e32 v2, s9, v2
	v_add3_u32 v14, v3, v11, s11
	v_ashrrev_i32_e32 v3, 31, v2
	v_add_u32_e32 v1, 0x60, v1
	v_lshrrev_b32_e32 v3, 30, v3
	v_min_i32_e32 v1, s9, v1
	v_mul_lo_u32 v114, v2, s5
	v_add_u32_e32 v3, v2, v3
	v_lshlrev_b32_e32 v17, 5, v2
	v_ashrrev_i32_e32 v2, 31, v1
	v_lshrrev_b32_e32 v32, 2, v33
	v_and_b32_e32 v36, 12, v0
	v_lshrrev_b32_e32 v2, 30, v2
	v_and_b32_e32 v0, 28, v0
	v_mul_lo_u32 v116, v1, s5
	v_add_u32_e32 v2, v1, v2
	v_lshlrev_b32_e32 v18, 5, v1
	v_mov_b32_e32 v1, s3
	v_add_co_u32_e32 v118, vcc, s2, v0
	v_lshl_add_u32 v0, v37, 3, v32
	v_addc_co_u32_e32 v119, vcc, 0, v1, vcc
	v_and_b32_e32 v1, 63, v0
	s_add_i32 s9, s10, -1
	v_or_b32_e32 v20, s15, v1
	v_and_b32_e32 v0, 3, v33
	v_min_i32_e32 v20, s9, v20
	v_mad_u64_u32 v[120:121], s[16:17], v20, s4, v[0:1]
	v_lshlrev_b32_e32 v0, 2, v0
	v_and_b32_e32 v3, -4, v3
	v_and_b32_e32 v2, -4, v2
	v_add_u32_e32 v39, s15, v37
	v_lshl_or_b32 v0, v1, 4, v0
	v_add3_u32 v16, v3, v11, s11
	v_add3_u32 v11, v2, v11, s11
	v_cvt_f64_i32_e32 v[2:3], s9
	v_add_u32_e32 v43, 0x7280, v0
	v_cvt_f64_u32_e32 v[0:1], v39
	v_and_b32_e32 v19, 31, v33
	v_min_f64 v[0:1], v[0:1], v[2:3]
	v_cvt_i32_f64_e32 v0, v[0:1]
	v_lshlrev_b32_e32 v19, 2, v19
	v_lshlrev_b32_e32 v20, 7, v37
	v_mul_lo_u32 v45, s4, v0
	v_or_b32_e32 v0, v20, v19
	v_add_u32_e32 v47, 0x4200, v0
	v_add_u32_e32 v0, 8, v39
	v_cvt_f64_u32_e32 v[0:1], v0
	v_min_f64 v[0:1], v[0:1], v[2:3]
	v_cvt_i32_f64_e32 v0, v[0:1]
	v_mul_lo_u32 v49, s4, v0
	v_lshl_or_b32 v0, v4, 7, v19
	v_add_u32_e32 v53, 0x4200, v0
	v_add_u32_e32 v0, 16, v39
	v_cvt_f64_u32_e32 v[0:1], v0
	v_min_f64 v[0:1], v[0:1], v[2:3]
	v_cvt_i32_f64_e32 v0, v[0:1]
	v_mul_lo_u32 v55, s4, v0
	v_lshl_or_b32 v0, v5, 7, v19
	;; [unrolled: 7-line block ×7, first 2 shown]
	v_add_u32_e32 v79, 0x4200, v0
	v_add_u32_e32 v0, 32, v33
	;; [unrolled: 1-line block ×4, first 2 shown]
	s_mov_b32 s0, 0
	v_lshlrev_b32_e32 v3, 5, v33
	v_lshrrev_b32_e32 v83, 3, v0
	v_and_b32_e32 v2, 0x1fc, v2
	v_and_b32_e32 v1, 0x1fc, v1
	;; [unrolled: 1-line block ×4, first 2 shown]
	v_add_u32_e32 v2, v3, v2
	v_add_u32_e32 v1, v3, v1
	;; [unrolled: 1-line block ×4, first 2 shown]
	v_mov_b32_e32 v4, 0x7280
	v_mad_u32_u24 v107, v33, s1, 64
	s_mov_b32 s1, s0
	v_mul_u32_u24_e32 v81, 0x84, v33
	v_add_u32_e32 v87, 0x6e00, v2
	v_add_u32_e32 v89, 0x6a00, v1
	v_add_u32_e32 v91, 0x6600, v0
	v_add_u32_e32 v93, 0x6200, v3
	v_add_u32_e32 v95, 0x4200, v20
	v_lshl_add_u32 v97, v37, 4, v4
	v_add_u32_e32 v99, 0x6e10, v2
	v_add_u32_e32 v101, 0x6a10, v1
	;; [unrolled: 1-line block ×4, first 2 shown]
	v_pk_mov_b32 v[84:85], s[0:1], s[0:1] op_sel:[0,1]
	v_add_u32_e32 v109, v12, v13
	v_add_u32_e32 v111, v14, v15
	;; [unrolled: 1-line block ×4, first 2 shown]
	s_mov_b32 s4, 0x41000000
	v_pk_mov_b32 v[30:31], s[0:1], s[0:1] op_sel:[0,1]
	v_pk_mov_b32 v[22:23], s[0:1], s[0:1] op_sel:[0,1]
	v_pk_mov_b32 v[14:15], s[0:1], s[0:1] op_sel:[0,1]
	v_pk_mov_b32 v[70:71], s[0:1], s[0:1] op_sel:[0,1]
	v_pk_mov_b32 v[28:29], s[0:1], s[0:1] op_sel:[0,1]
	v_pk_mov_b32 v[20:21], s[0:1], s[0:1] op_sel:[0,1]
	v_pk_mov_b32 v[12:13], s[0:1], s[0:1] op_sel:[0,1]
	v_pk_mov_b32 v[50:51], s[0:1], s[0:1] op_sel:[0,1]
	v_pk_mov_b32 v[26:27], s[0:1], s[0:1] op_sel:[0,1]
	v_pk_mov_b32 v[18:19], s[0:1], s[0:1] op_sel:[0,1]
	v_pk_mov_b32 v[10:11], s[0:1], s[0:1] op_sel:[0,1]
	v_pk_mov_b32 v[34:35], s[0:1], s[0:1] op_sel:[0,1]
	v_pk_mov_b32 v[24:25], s[0:1], s[0:1] op_sel:[0,1]
	v_pk_mov_b32 v[16:17], s[0:1], s[0:1] op_sel:[0,1]
	v_pk_mov_b32 v[8:9], s[0:1], s[0:1] op_sel:[0,1]
	s_branch .LBB138_6
.LBB138_5:                              ;   in Loop: Header=BB138_6 Depth=1
	s_add_i32 s0, s0, 8
	s_cmp_ge_i32 s0, s5
	s_cbranch_scc1 .LBB138_12
.LBB138_6:                              ; =>This Loop Header: Depth=1
                                        ;     Child Loop BB138_7 Depth 2
                                        ;     Child Loop BB138_10 Depth 2
	s_mul_i32 s9, s0, 18
	s_mul_hi_u32 s1, s0, 18
	s_add_u32 s16, s7, s9
	s_addc_u32 s17, s8, s1
	v_mad_u64_u32 v[0:1], s[18:19], v32, 18, s[16:17]
	v_add_co_u32_e32 v0, vcc, v0, v36
	v_addc_co_u32_e32 v1, vcc, 0, v1, vcc
	v_add_co_u32_e32 v0, vcc, 2, v0
	v_addc_co_u32_e32 v1, vcc, 0, v1, vcc
	v_mad_i64_i32 v[2:3], s[18:19], v38, 18, v[0:1]
	v_mad_i64_i32 v[4:5], s[18:19], v42, 18, v[0:1]
	;; [unrolled: 1-line block ×8, first 2 shown]
	global_load_dword v121, v[2:3], off
	global_load_dword v132, v[4:5], off
	;; [unrolled: 1-line block ×6, first 2 shown]
                                        ; kill: killed $vgpr126_vgpr127
                                        ; kill: killed $vgpr124_vgpr125
	global_load_dword v137, v[128:129], off
	global_load_dword v138, v[130:131], off
	v_mad_i64_i32 v[2:3], s[18:19], v74, 18, v[0:1]
	v_mad_i64_i32 v[4:5], s[18:19], v78, 18, v[0:1]
	;; [unrolled: 1-line block ×8, first 2 shown]
	global_load_dword v130, v[2:3], off
	global_load_dword v131, v[4:5], off
	;; [unrolled: 1-line block ×8, first 2 shown]
	v_mad_u64_u32 v[0:1], s[16:17], v108, 18, s[16:17]
	v_mad_i64_i32 v[2:3], s[16:17], v110, 18, v[0:1]
	v_mad_i64_i32 v[4:5], s[16:17], v112, 18, v[0:1]
	;; [unrolled: 1-line block ×4, first 2 shown]
	v_add_u32_e32 v128, s0, v41
	global_load_ushort v145, v[2:3], off
	global_load_ushort v146, v[4:5], off
	;; [unrolled: 1-line block ×4, first 2 shown]
	v_add_u32_e32 v0, v128, v45
	v_add_u32_e32 v2, v128, v49
	;; [unrolled: 1-line block ×5, first 2 shown]
	v_mad_i64_i32 v[0:1], s[16:17], v0, 36, v[118:119]
	v_mad_i64_i32 v[2:3], s[16:17], v2, 36, v[118:119]
	;; [unrolled: 1-line block ×5, first 2 shown]
	v_add_u32_e32 v124, v128, v67
	v_add_u32_e32 v126, v128, v73
	v_add_u32_e32 v128, v128, v77
	v_mad_i64_i32 v[124:125], s[16:17], v124, 36, v[118:119]
	v_mad_i64_i32 v[126:127], s[16:17], v126, 36, v[118:119]
	;; [unrolled: 1-line block ×3, first 2 shown]
	global_load_dword v149, v[0:1], off offset:4
	s_nop 0
	global_load_dword v2, v[2:3], off offset:4
	s_nop 0
	;; [unrolled: 2-line block ×3, first 2 shown]
	global_load_dword v4, v[6:7], off offset:4
	global_load_dword v5, v[122:123], off offset:4
	s_nop 0
	global_load_dword v6, v[124:125], off offset:4
	global_load_dword v7, v[126:127], off offset:4
	;; [unrolled: 1-line block ×3, first 2 shown]
	v_add_u32_e32 v117, s0, v120
	v_mad_u64_u32 v[0:1], s[16:17], v117, 36, s[2:3]
	global_load_dword v0, v[0:1], off
	s_mov_b32 s1, -4
	s_waitcnt vmcnt(28)
	ds_write_b32 v40, v121
	s_waitcnt vmcnt(27)
	ds_write_b32 v44, v132
	;; [unrolled: 2-line block ×16, first 2 shown]
	v_mov_b32_e32 v125, v81
	v_mov_b32_e32 v127, v93
	;; [unrolled: 1-line block ×5, first 2 shown]
	s_waitcnt vmcnt(12)
	v_cvt_f32_f16_e32 v1, v145
	s_waitcnt vmcnt(11)
	v_cvt_f32_f16_e32 v121, v146
	;; [unrolled: 2-line block ×4, first 2 shown]
	ds_write_b32 v109, v1
	ds_write_b32 v111, v121
	;; [unrolled: 1-line block ×4, first 2 shown]
	s_waitcnt vmcnt(8)
	ds_write_b32 v47, v149
	s_waitcnt vmcnt(7)
	ds_write_b32 v53, v2
	;; [unrolled: 2-line block ×9, first 2 shown]
	v_mov_b32_e32 v121, v97
	v_mov_b32_e32 v123, v95
	s_waitcnt lgkmcnt(0)
	s_barrier
.LBB138_7:                              ;   Parent Loop BB138_6 Depth=1
                                        ; =>  This Inner Loop Header: Depth=2
	ds_read_b128 v[0:3], v123
	ds_read_b128 v[4:7], v123 offset:16
	ds_read2_b32 v[130:131], v121 offset1:32
	ds_read_b32 v122, v127
	ds_read2_b32 v[138:139], v125 offset1:1
	ds_read2_b32 v[142:143], v125 offset0:2 offset1:3
	v_add_u32_e32 v126, 0x1080, v125
	v_add_u32_e32 v128, 0x2100, v125
	v_mov_b32_e32 v170, 0
	s_waitcnt lgkmcnt(1)
	v_lshrrev_b32_e32 v124, 4, v138
	v_and_b32_e32 v135, 0xf0f0f0f, v124
	v_lshrrev_b32_e32 v124, 4, v139
	v_and_b32_e32 v137, 0xf0f0f0f, v139
	v_and_b32_e32 v139, 0xf0f0f0f, v124
	s_waitcnt lgkmcnt(0)
	v_lshrrev_b32_e32 v124, 4, v142
	v_and_b32_e32 v141, 0xf0f0f0f, v124
	v_lshrrev_b32_e32 v124, 4, v143
	v_and_b32_e32 v144, 0xf0f0f0f, v124
	ds_read_b32 v124, v129
	ds_read2_b32 v[146:147], v126 offset1:1
	v_and_b32_e32 v134, 0xf0f0f0f, v138
	v_and_b32_e32 v140, 0xf0f0f0f, v142
	;; [unrolled: 1-line block ×3, first 2 shown]
	v_mov_b32_e32 v172, 0
	s_waitcnt lgkmcnt(0)
	v_lshrrev_b32_e32 v126, 4, v146
	v_and_b32_e32 v138, 0xf0f0f0f, v126
	v_lshrrev_b32_e32 v126, 4, v147
	v_and_b32_e32 v145, 0xf0f0f0f, v126
	v_add_u32_e32 v126, 0x1088, v125
	v_and_b32_e32 v136, 0xf0f0f0f, v146
	v_and_b32_e32 v143, 0xf0f0f0f, v147
	ds_read2_b32 v[146:147], v126 offset1:1
	v_mov_b32_e32 v173, 0
	v_mov_b32_e32 v174, 0
	v_dot4c_i32_i8_e32 v170, v134, v0
	v_dot4c_i32_i8_e32 v172, v136, v0
	s_waitcnt lgkmcnt(0)
	v_lshrrev_b32_e32 v126, 4, v146
	v_and_b32_e32 v149, 0xf0f0f0f, v126
	v_lshrrev_b32_e32 v126, 4, v147
	v_and_b32_e32 v151, 0xf0f0f0f, v126
	ds_read_b32 v126, v132
	ds_read2_b32 v[152:153], v128 offset1:1
	v_and_b32_e32 v150, 0xf0f0f0f, v147
	v_and_b32_e32 v148, 0xf0f0f0f, v146
	v_dot4c_i32_i8_e32 v170, v135, v4
	v_dot4c_i32_i8_e32 v172, v138, v4
	s_waitcnt lgkmcnt(0)
	v_lshrrev_b32_e32 v128, 4, v152
	v_and_b32_e32 v147, 0xf0f0f0f, v128
	v_lshrrev_b32_e32 v128, 4, v153
	v_and_b32_e32 v146, 0xf0f0f0f, v152
	v_and_b32_e32 v152, 0xf0f0f0f, v153
	;; [unrolled: 1-line block ×3, first 2 shown]
	v_add_u32_e32 v128, 0x2108, v125
	ds_read2_b32 v[154:155], v128 offset1:1
	v_dot4c_i32_i8_e32 v173, v146, v0
	v_dot4c_i32_i8_e32 v173, v147, v4
	;; [unrolled: 1-line block ×4, first 2 shown]
	s_waitcnt lgkmcnt(0)
	v_lshrrev_b32_e32 v128, 4, v154
	v_and_b32_e32 v157, 0xf0f0f0f, v128
	v_lshrrev_b32_e32 v128, 4, v155
	v_and_b32_e32 v156, 0xf0f0f0f, v154
	v_and_b32_e32 v159, 0xf0f0f0f, v128
	v_add_u32_e32 v154, 0x3180, v125
	ds_read_b32 v128, v133
	ds_read2_b32 v[160:161], v154 offset1:1
	v_and_b32_e32 v158, 0xf0f0f0f, v155
	v_dot4c_i32_i8_e32 v173, v152, v1
	v_dot4c_i32_i8_e32 v170, v139, v5
	;; [unrolled: 1-line block ×3, first 2 shown]
	s_waitcnt lgkmcnt(0)
	v_and_b32_e32 v154, 0xf0f0f0f, v160
	v_lshrrev_b32_e32 v155, 4, v160
	v_and_b32_e32 v155, 0xf0f0f0f, v155
	v_dot4c_i32_i8_e32 v174, v154, v0
	v_dot4c_i32_i8_e32 v174, v155, v4
	v_and_b32_e32 v0, 0xf0f0f0f, v161
	v_dot4c_i32_i8_e32 v174, v0, v1
	v_add_u32_e32 v1, 0x3188, v125
	v_lshrrev_b32_e32 v4, 4, v161
	ds_read2_b32 v[160:161], v1 offset1:1
	v_and_b32_e32 v4, 0xf0f0f0f, v4
	v_dot4c_i32_i8_e32 v173, v153, v5
	v_dot4c_i32_i8_e32 v174, v4, v5
	;; [unrolled: 1-line block ×3, first 2 shown]
	s_waitcnt lgkmcnt(0)
	v_and_b32_e32 v1, 0xf0f0f0f, v160
	v_lshrrev_b32_e32 v5, 4, v160
	v_dot4c_i32_i8_e32 v172, v148, v2
	v_dot4c_i32_i8_e32 v173, v156, v2
	v_and_b32_e32 v5, 0xf0f0f0f, v5
	v_dot4c_i32_i8_e32 v174, v1, v2
	v_dot4c_i32_i8_e32 v170, v141, v6
	;; [unrolled: 1-line block ×5, first 2 shown]
	v_and_b32_e32 v2, 0xf0f0f0f, v161
	v_lshrrev_b32_e32 v6, 4, v161
	ds_read_b128 v[160:163], v123 offset:1024
	ds_read_b128 v[164:167], v123 offset:1040
	v_dot4c_i32_i8_e32 v170, v142, v3
	v_dot4c_i32_i8_e32 v172, v150, v3
	;; [unrolled: 1-line block ×4, first 2 shown]
	v_mov_b32_e32 v3, 0
	s_waitcnt lgkmcnt(1)
	v_dot4c_i32_i8_e32 v3, v134, v160
	s_waitcnt lgkmcnt(0)
	v_dot4c_i32_i8_e32 v3, v135, v164
	v_dot4c_i32_i8_e32 v3, v137, v161
	v_dot4c_i32_i8_e32 v3, v139, v165
	v_dot4c_i32_i8_e32 v3, v140, v162
	v_dot4c_i32_i8_e32 v3, v141, v166
	v_dot4c_i32_i8_e32 v3, v142, v163
	v_dot4c_i32_i8_e32 v3, v144, v167
	v_dot4c_i32_i8_e32 v170, v144, v7
	v_cvt_f32_f16_e32 v169, v131
	v_cvt_f32_f16_e32 v168, v130
	v_cvt_f32_i32_e32 v171, v3
	v_mov_b32_e32 v3, 0
	v_dot4c_i32_i8_e32 v3, v136, v160
	v_dot4c_i32_i8_e32 v3, v138, v164
	v_cvt_f32_f16_sdwa v131, v131 dst_sel:DWORD dst_unused:UNUSED_PAD src0_sel:WORD_1
	v_cvt_f32_f16_sdwa v130, v130 dst_sel:DWORD dst_unused:UNUSED_PAD src0_sel:WORD_1
	v_dot4c_i32_i8_e32 v3, v143, v161
	v_cvt_f32_i32_e32 v170, v170
	v_dot4c_i32_i8_e32 v3, v145, v165
	v_dot4c_i32_i8_e32 v3, v148, v162
	;; [unrolled: 1-line block ×3, first 2 shown]
	v_pk_mul_f32 v[130:131], v[130:131], s[4:5] op_sel_hi:[1,0]
	v_dot4c_i32_i8_e32 v3, v150, v163
	v_pk_fma_f32 v[170:171], v[168:169], v[170:171], v[130:131] neg_lo:[0,0,1] neg_hi:[0,0,1]
	v_dot4c_i32_i8_e32 v3, v151, v167
	v_pk_fma_f32 v[84:85], v[122:123], v[170:171], v[84:85] op_sel_hi:[0,1,1]
	v_dot4c_i32_i8_e32 v172, v151, v7
	v_and_b32_e32 v6, 0xf0f0f0f, v6
	v_cvt_f32_i32_e32 v171, v3
	v_mov_b32_e32 v3, 0
	v_dot4c_i32_i8_e32 v3, v146, v160
	v_dot4c_i32_i8_e32 v3, v147, v164
	;; [unrolled: 1-line block ×3, first 2 shown]
	v_cvt_f32_i32_e32 v170, v172
	v_dot4c_i32_i8_e32 v3, v153, v165
	v_dot4c_i32_i8_e32 v3, v156, v162
	;; [unrolled: 1-line block ×4, first 2 shown]
	v_pk_fma_f32 v[170:171], v[168:169], v[170:171], v[130:131] neg_lo:[0,0,1] neg_hi:[0,0,1]
	v_dot4c_i32_i8_e32 v3, v159, v167
	v_pk_fma_f32 v[70:71], v[124:125], v[170:171], v[70:71] op_sel_hi:[0,1,1]
	v_dot4c_i32_i8_e32 v173, v159, v7
	v_dot4c_i32_i8_e32 v174, v6, v7
	v_cvt_f32_i32_e32 v171, v3
	v_mov_b32_e32 v3, 0
	v_dot4c_i32_i8_e32 v3, v154, v160
	v_dot4c_i32_i8_e32 v3, v155, v164
	;; [unrolled: 1-line block ×8, first 2 shown]
	v_cvt_f32_i32_e32 v170, v173
	v_cvt_f32_i32_e32 v160, v174
	v_mov_b32_e32 v7, 0
	v_cvt_f32_i32_e32 v161, v3
	v_pk_fma_f32 v[170:171], v[168:169], v[170:171], v[130:131] neg_lo:[0,0,1] neg_hi:[0,0,1]
	v_mov_b32_e32 v3, 0
	v_mov_b32_e32 v172, 0
	v_pk_fma_f32 v[130:131], v[168:169], v[160:161], v[130:131] neg_lo:[0,0,1] neg_hi:[0,0,1]
	v_pk_fma_f32 v[34:35], v[128:129], v[130:131], v[34:35] op_sel_hi:[0,1,1]
	ds_read_b128 v[160:163], v123 offset:2048
	ds_read_b128 v[164:167], v123 offset:2064
	ds_read2_b32 v[130:131], v121 offset0:64 offset1:96
	v_mov_b32_e32 v173, 0
	v_pk_fma_f32 v[50:51], v[126:127], v[170:171], v[50:51] op_sel_hi:[0,1,1]
	s_waitcnt lgkmcnt(2)
	v_dot4c_i32_i8_e32 v3, v134, v160
	v_dot4c_i32_i8_e32 v7, v136, v160
	;; [unrolled: 1-line block ×4, first 2 shown]
	s_waitcnt lgkmcnt(1)
	v_dot4c_i32_i8_e32 v3, v135, v164
	v_dot4c_i32_i8_e32 v7, v138, v164
	v_dot4c_i32_i8_e32 v172, v147, v164
	v_dot4c_i32_i8_e32 v173, v155, v164
	v_dot4c_i32_i8_e32 v3, v137, v161
	v_dot4c_i32_i8_e32 v7, v143, v161
	v_dot4c_i32_i8_e32 v172, v152, v161
	v_dot4c_i32_i8_e32 v173, v0, v161
	v_dot4c_i32_i8_e32 v3, v139, v165
	v_dot4c_i32_i8_e32 v7, v145, v165
	v_dot4c_i32_i8_e32 v172, v153, v165
	v_dot4c_i32_i8_e32 v173, v4, v165
	v_dot4c_i32_i8_e32 v3, v140, v162
	v_dot4c_i32_i8_e32 v7, v148, v162
	v_dot4c_i32_i8_e32 v172, v156, v162
	v_dot4c_i32_i8_e32 v173, v1, v162
	v_dot4c_i32_i8_e32 v3, v141, v166
	v_dot4c_i32_i8_e32 v7, v149, v166
	v_dot4c_i32_i8_e32 v172, v157, v166
	v_dot4c_i32_i8_e32 v173, v5, v166
	v_dot4c_i32_i8_e32 v3, v142, v163
	v_dot4c_i32_i8_e32 v7, v150, v163
	v_dot4c_i32_i8_e32 v172, v158, v163
	v_dot4c_i32_i8_e32 v173, v2, v163
	v_dot4c_i32_i8_e32 v3, v144, v167
	v_dot4c_i32_i8_e32 v7, v151, v167
	v_dot4c_i32_i8_e32 v172, v159, v167
	v_dot4c_i32_i8_e32 v173, v6, v167
	ds_read_b128 v[160:163], v123 offset:3072
	ds_read_b128 v[164:167], v123 offset:3088
	v_mov_b32_e32 v170, 0
	s_waitcnt lgkmcnt(2)
	v_cvt_f32_f16_e32 v169, v131
	v_cvt_f32_f16_e32 v168, v130
	s_waitcnt lgkmcnt(1)
	v_dot4c_i32_i8_e32 v170, v134, v160
	s_waitcnt lgkmcnt(0)
	v_dot4c_i32_i8_e32 v170, v135, v164
	v_dot4c_i32_i8_e32 v170, v137, v161
	;; [unrolled: 1-line block ×7, first 2 shown]
	v_cvt_f32_f16_sdwa v131, v131 dst_sel:DWORD dst_unused:UNUSED_PAD src0_sel:WORD_1
	v_cvt_f32_f16_sdwa v130, v130 dst_sel:DWORD dst_unused:UNUSED_PAD src0_sel:WORD_1
	s_add_i32 s1, s1, 4
	v_cvt_f32_i32_e32 v171, v170
	v_cvt_f32_i32_e32 v170, v3
	v_mov_b32_e32 v3, 0
	v_dot4c_i32_i8_e32 v3, v136, v160
	v_dot4c_i32_i8_e32 v3, v138, v164
	v_dot4c_i32_i8_e32 v3, v143, v161
	v_dot4c_i32_i8_e32 v3, v145, v165
	v_dot4c_i32_i8_e32 v3, v148, v162
	v_dot4c_i32_i8_e32 v3, v149, v166
	v_pk_mul_f32 v[130:131], v[130:131], s[4:5] op_sel_hi:[1,0]
	v_dot4c_i32_i8_e32 v3, v150, v163
	v_pk_fma_f32 v[170:171], v[170:171], v[168:169], v[130:131] neg_lo:[0,0,1] neg_hi:[0,0,1]
	v_dot4c_i32_i8_e32 v3, v151, v167
	v_pk_fma_f32 v[30:31], v[122:123], v[170:171], v[30:31] op_sel_hi:[0,1,1]
	v_cvt_f32_i32_e32 v170, v7
	v_mov_b32_e32 v7, 0
	v_cvt_f32_i32_e32 v171, v3
	v_mov_b32_e32 v3, 0
	v_dot4c_i32_i8_e32 v3, v146, v160
	v_dot4c_i32_i8_e32 v3, v147, v164
	;; [unrolled: 1-line block ×7, first 2 shown]
	v_pk_fma_f32 v[170:171], v[170:171], v[168:169], v[130:131] neg_lo:[0,0,1] neg_hi:[0,0,1]
	v_dot4c_i32_i8_e32 v3, v159, v167
	v_pk_fma_f32 v[28:29], v[124:125], v[170:171], v[28:29] op_sel_hi:[0,1,1]
	v_cvt_f32_i32_e32 v170, v172
	v_mov_b32_e32 v172, 0
	v_cvt_f32_i32_e32 v171, v3
	v_mov_b32_e32 v3, 0
	v_dot4c_i32_i8_e32 v3, v154, v160
	v_dot4c_i32_i8_e32 v3, v155, v164
	;; [unrolled: 1-line block ×8, first 2 shown]
	v_cvt_f32_i32_e32 v160, v173
	v_pk_fma_f32 v[170:171], v[170:171], v[168:169], v[130:131] neg_lo:[0,0,1] neg_hi:[0,0,1]
	v_mov_b32_e32 v173, 0
	v_cvt_f32_i32_e32 v161, v3
	v_mov_b32_e32 v3, 0
	v_pk_fma_f32 v[26:27], v[126:127], v[170:171], v[26:27] op_sel_hi:[0,1,1]
	v_mov_b32_e32 v170, 0
	v_pk_fma_f32 v[130:131], v[160:161], v[168:169], v[130:131] neg_lo:[0,0,1] neg_hi:[0,0,1]
	v_pk_fma_f32 v[24:25], v[128:129], v[130:131], v[24:25] op_sel_hi:[0,1,1]
	ds_read_b128 v[160:163], v123 offset:4096
	ds_read_b128 v[164:167], v123 offset:4112
	ds_read2_b32 v[130:131], v121 offset0:128 offset1:160
	v_add_u32_e32 v133, 4, v133
	v_add_u32_e32 v132, 4, v132
	s_waitcnt lgkmcnt(2)
	v_dot4c_i32_i8_e32 v3, v134, v160
	v_dot4c_i32_i8_e32 v7, v136, v160
	;; [unrolled: 1-line block ×4, first 2 shown]
	s_waitcnt lgkmcnt(1)
	v_dot4c_i32_i8_e32 v3, v135, v164
	v_dot4c_i32_i8_e32 v7, v138, v164
	;; [unrolled: 1-line block ×28, first 2 shown]
	ds_read_b128 v[160:163], v123 offset:5120
	ds_read_b128 v[164:167], v123 offset:5136
	s_waitcnt lgkmcnt(2)
	v_cvt_f32_f16_e32 v169, v131
	v_cvt_f32_f16_e32 v168, v130
	v_cvt_f32_f16_sdwa v131, v131 dst_sel:DWORD dst_unused:UNUSED_PAD src0_sel:WORD_1
	s_waitcnt lgkmcnt(1)
	v_dot4c_i32_i8_e32 v170, v134, v160
	s_waitcnt lgkmcnt(0)
	v_dot4c_i32_i8_e32 v170, v135, v164
	v_dot4c_i32_i8_e32 v170, v137, v161
	;; [unrolled: 1-line block ×7, first 2 shown]
	v_cvt_f32_f16_sdwa v130, v130 dst_sel:DWORD dst_unused:UNUSED_PAD src0_sel:WORD_1
	s_cmp_lt_u32 s1, 12
	v_pk_mul_f32 v[130:131], v[130:131], s[4:5] op_sel_hi:[1,0]
	v_cvt_f32_i32_e32 v171, v170
	v_cvt_f32_i32_e32 v170, v3
	v_mov_b32_e32 v3, 0
	v_dot4c_i32_i8_e32 v3, v136, v160
	v_dot4c_i32_i8_e32 v3, v138, v164
	;; [unrolled: 1-line block ×7, first 2 shown]
	v_pk_fma_f32 v[170:171], v[170:171], v[168:169], v[130:131] neg_lo:[0,0,1] neg_hi:[0,0,1]
	v_dot4c_i32_i8_e32 v3, v151, v167
	v_pk_fma_f32 v[22:23], v[122:123], v[170:171], v[22:23] op_sel_hi:[0,1,1]
	v_cvt_f32_i32_e32 v170, v7
	v_mov_b32_e32 v7, 0
	v_cvt_f32_i32_e32 v171, v3
	v_mov_b32_e32 v3, 0
	v_dot4c_i32_i8_e32 v3, v146, v160
	v_dot4c_i32_i8_e32 v3, v147, v164
	;; [unrolled: 1-line block ×7, first 2 shown]
	v_pk_fma_f32 v[170:171], v[170:171], v[168:169], v[130:131] neg_lo:[0,0,1] neg_hi:[0,0,1]
	v_dot4c_i32_i8_e32 v3, v159, v167
	v_pk_fma_f32 v[20:21], v[124:125], v[170:171], v[20:21] op_sel_hi:[0,1,1]
	v_cvt_f32_i32_e32 v170, v172
	s_nop 0
	v_cvt_f32_i32_e32 v171, v3
	v_mov_b32_e32 v3, 0
	v_dot4c_i32_i8_e32 v3, v154, v160
	v_dot4c_i32_i8_e32 v3, v155, v164
	v_dot4c_i32_i8_e32 v3, v0, v161
	v_dot4c_i32_i8_e32 v3, v4, v165
	v_dot4c_i32_i8_e32 v3, v1, v162
	v_dot4c_i32_i8_e32 v3, v5, v166
	v_dot4c_i32_i8_e32 v3, v2, v163
	v_dot4c_i32_i8_e32 v3, v6, v167
	v_cvt_f32_i32_e32 v160, v173
	v_pk_fma_f32 v[170:171], v[170:171], v[168:169], v[130:131] neg_lo:[0,0,1] neg_hi:[0,0,1]
	v_pk_fma_f32 v[18:19], v[126:127], v[170:171], v[18:19] op_sel_hi:[0,1,1]
	v_cvt_f32_i32_e32 v161, v3
	v_mov_b32_e32 v3, 0
	v_mov_b32_e32 v170, 0
	v_pk_fma_f32 v[130:131], v[160:161], v[168:169], v[130:131] neg_lo:[0,0,1] neg_hi:[0,0,1]
	v_pk_fma_f32 v[16:17], v[128:129], v[130:131], v[16:17] op_sel_hi:[0,1,1]
	ds_read_b128 v[160:163], v123 offset:6144
	ds_read_b128 v[164:167], v123 offset:6160
	ds_read2_b32 v[130:131], v121 offset0:192 offset1:224
	v_mov_b32_e32 v168, 0
	v_mov_b32_e32 v169, 0
	s_waitcnt lgkmcnt(2)
	v_dot4c_i32_i8_e32 v3, v134, v160
	v_dot4c_i32_i8_e32 v7, v136, v160
	;; [unrolled: 1-line block ×4, first 2 shown]
	s_waitcnt lgkmcnt(1)
	v_dot4c_i32_i8_e32 v3, v135, v164
	v_dot4c_i32_i8_e32 v7, v138, v164
	;; [unrolled: 1-line block ×28, first 2 shown]
	ds_read_b128 v[160:163], v123 offset:7168
	ds_read_b128 v[164:167], v123 offset:7184
	v_add_u32_e32 v121, 4, v121
	s_waitcnt lgkmcnt(1)
	v_dot4c_i32_i8_e32 v170, v134, v160
	s_waitcnt lgkmcnt(0)
	v_dot4c_i32_i8_e32 v170, v135, v164
	v_dot4c_i32_i8_e32 v170, v137, v161
	;; [unrolled: 1-line block ×4, first 2 shown]
	v_cvt_f32_i32_e32 v140, v3
	v_mov_b32_e32 v3, 0
	v_dot4c_i32_i8_e32 v3, v136, v160
	v_dot4c_i32_i8_e32 v3, v138, v164
	;; [unrolled: 1-line block ×8, first 2 shown]
	v_cvt_f32_f16_e32 v135, v131
	v_cvt_f32_f16_e32 v134, v130
	v_cvt_f32_f16_sdwa v131, v131 dst_sel:DWORD dst_unused:UNUSED_PAD src0_sel:WORD_1
	v_cvt_f32_i32_e32 v137, v3
	v_mov_b32_e32 v3, 0
	v_dot4c_i32_i8_e32 v3, v146, v160
	v_dot4c_i32_i8_e32 v3, v147, v164
	v_cvt_f32_f16_sdwa v130, v130 dst_sel:DWORD dst_unused:UNUSED_PAD src0_sel:WORD_1
	v_dot4c_i32_i8_e32 v3, v152, v161
	v_cvt_f32_i32_e32 v136, v7
	v_dot4c_i32_i8_e32 v3, v153, v165
	v_dot4c_i32_i8_e32 v3, v156, v162
	;; [unrolled: 1-line block ×3, first 2 shown]
	v_pk_mul_f32 v[130:131], v[130:131], s[4:5] op_sel_hi:[1,0]
	v_dot4c_i32_i8_e32 v3, v158, v163
	v_pk_fma_f32 v[136:137], v[136:137], v[134:135], v[130:131] neg_lo:[0,0,1] neg_hi:[0,0,1]
	v_dot4c_i32_i8_e32 v3, v159, v167
	v_pk_fma_f32 v[12:13], v[124:125], v[136:137], v[12:13] op_sel_hi:[0,1,1]
	v_dot4c_i32_i8_e32 v170, v141, v166
	v_dot4c_i32_i8_e32 v170, v142, v163
	v_cvt_f32_i32_e32 v137, v3
	v_mov_b32_e32 v3, 0
	v_dot4c_i32_i8_e32 v3, v154, v160
	v_dot4c_i32_i8_e32 v3, v155, v164
	;; [unrolled: 1-line block ×9, first 2 shown]
	v_cvt_f32_i32_e32 v136, v168
	v_cvt_f32_i32_e32 v0, v169
	;; [unrolled: 1-line block ×4, first 2 shown]
	v_pk_fma_f32 v[136:137], v[136:137], v[134:135], v[130:131] neg_lo:[0,0,1] neg_hi:[0,0,1]
	v_pk_fma_f32 v[10:11], v[126:127], v[136:137], v[10:11] op_sel_hi:[0,1,1]
	v_pk_fma_f32 v[140:141], v[140:141], v[134:135], v[130:131] neg_lo:[0,0,1] neg_hi:[0,0,1]
	v_pk_fma_f32 v[0:1], v[0:1], v[134:135], v[130:131] neg_lo:[0,0,1] neg_hi:[0,0,1]
	v_pk_fma_f32 v[14:15], v[122:123], v[140:141], v[14:15] op_sel_hi:[0,1,1]
	v_pk_fma_f32 v[8:9], v[128:129], v[0:1], v[8:9] op_sel_hi:[0,1,1]
	v_add_u32_e32 v129, 4, v129
	v_add_u32_e32 v127, 4, v127
	;; [unrolled: 1-line block ×4, first 2 shown]
	s_cbranch_scc1 .LBB138_7
; %bb.8:                                ;   in Loop: Header=BB138_6 Depth=1
	s_or_b32 s1, s0, 4
	s_cmp_ge_i32 s1, s5
	s_barrier
	s_cbranch_scc1 .LBB138_5
; %bb.9:                                ;   in Loop: Header=BB138_6 Depth=1
	v_add_u32_e32 v121, s0, v83
	v_add_u32_e32 v0, v121, v45
	;; [unrolled: 1-line block ×6, first 2 shown]
	v_mad_i64_i32 v[0:1], s[16:17], v0, 36, v[118:119]
	v_mad_i64_i32 v[2:3], s[16:17], v2, 36, v[118:119]
	;; [unrolled: 1-line block ×5, first 2 shown]
	v_add_u32_e32 v124, v121, v67
	v_add_u32_e32 v126, v121, v73
	;; [unrolled: 1-line block ×3, first 2 shown]
	v_mad_i64_i32 v[124:125], s[16:17], v124, 36, v[118:119]
	v_mad_i64_i32 v[126:127], s[16:17], v126, 36, v[118:119]
	;; [unrolled: 1-line block ×3, first 2 shown]
	global_load_dword v130, v[0:1], off offset:4
	s_nop 0
	global_load_dword v2, v[2:3], off offset:4
	s_nop 0
	;; [unrolled: 2-line block ×3, first 2 shown]
	global_load_dword v4, v[6:7], off offset:4
	global_load_dword v5, v[122:123], off offset:4
                                        ; kill: killed $vgpr122_vgpr123
                                        ; kill: killed $vgpr6_vgpr7
	s_nop 0
	global_load_dword v6, v[124:125], off offset:4
	global_load_dword v7, v[126:127], off offset:4
	;; [unrolled: 1-line block ×3, first 2 shown]
	v_add_u32_e32 v0, 4, v117
	v_mad_u64_u32 v[0:1], s[16:17], v0, 36, s[2:3]
	global_load_dword v0, v[0:1], off
	s_mov_b32 s1, 12
	v_mov_b32_e32 v117, v97
	v_mov_b32_e32 v121, v95
	;; [unrolled: 1-line block ×7, first 2 shown]
	s_waitcnt vmcnt(8)
	ds_write_b32 v47, v130
	s_waitcnt vmcnt(7)
	ds_write_b32 v53, v2
	;; [unrolled: 2-line block ×9, first 2 shown]
	s_waitcnt lgkmcnt(0)
	s_barrier
.LBB138_10:                             ;   Parent Loop BB138_6 Depth=1
                                        ; =>  This Inner Loop Header: Depth=2
	ds_read_b128 v[0:3], v121
	ds_read_b128 v[4:7], v121 offset:16
	ds_read2_b32 v[130:131], v117 offset1:32
	ds_read_b32 v122, v125
	ds_read2_b32 v[134:135], v123 offset1:1
	ds_read2_b32 v[142:143], v123 offset0:2 offset1:3
	v_add_u32_e32 v126, 0x1080, v123
	v_add_u32_e32 v128, 0x2100, v123
	v_mov_b32_e32 v170, 0
	s_waitcnt lgkmcnt(1)
	v_lshrrev_b32_e32 v124, 4, v134
	v_and_b32_e32 v133, 0xf0f0f0f, v134
	v_and_b32_e32 v134, 0xf0f0f0f, v124
	v_lshrrev_b32_e32 v124, 4, v135
	v_and_b32_e32 v138, 0xf0f0f0f, v124
	s_waitcnt lgkmcnt(0)
	v_lshrrev_b32_e32 v124, 4, v142
	v_and_b32_e32 v140, 0xf0f0f0f, v124
	v_lshrrev_b32_e32 v124, 4, v143
	v_and_b32_e32 v141, 0xf0f0f0f, v143
	v_and_b32_e32 v143, 0xf0f0f0f, v124
	ds_read_b32 v124, v127
	ds_read2_b32 v[144:145], v126 offset1:1
	v_and_b32_e32 v136, 0xf0f0f0f, v135
	v_and_b32_e32 v139, 0xf0f0f0f, v142
	v_mov_b32_e32 v172, 0
	v_mov_b32_e32 v173, 0
	s_waitcnt lgkmcnt(0)
	v_lshrrev_b32_e32 v126, 4, v144
	v_and_b32_e32 v137, 0xf0f0f0f, v126
	v_lshrrev_b32_e32 v126, 4, v145
	v_and_b32_e32 v135, 0xf0f0f0f, v144
	v_and_b32_e32 v144, 0xf0f0f0f, v126
	v_add_u32_e32 v126, 0x1088, v123
	ds_read2_b32 v[150:151], v126 offset1:1
	v_and_b32_e32 v142, 0xf0f0f0f, v145
	v_dot4c_i32_i8_e32 v170, v133, v0
	v_dot4c_i32_i8_e32 v172, v135, v0
	;; [unrolled: 1-line block ×3, first 2 shown]
	s_waitcnt lgkmcnt(0)
	v_lshrrev_b32_e32 v126, 4, v150
	v_and_b32_e32 v148, 0xf0f0f0f, v126
	v_lshrrev_b32_e32 v126, 4, v151
	v_and_b32_e32 v147, 0xf0f0f0f, v150
	v_and_b32_e32 v150, 0xf0f0f0f, v126
	ds_read_b32 v126, v129
	ds_read2_b32 v[152:153], v128 offset1:1
	v_and_b32_e32 v149, 0xf0f0f0f, v151
	v_dot4c_i32_i8_e32 v172, v137, v4
	v_dot4c_i32_i8_e32 v170, v136, v1
	;; [unrolled: 1-line block ×3, first 2 shown]
	s_waitcnt lgkmcnt(0)
	v_lshrrev_b32_e32 v128, 4, v152
	v_and_b32_e32 v146, 0xf0f0f0f, v128
	v_lshrrev_b32_e32 v128, 4, v153
	v_and_b32_e32 v145, 0xf0f0f0f, v152
	v_and_b32_e32 v152, 0xf0f0f0f, v128
	v_add_u32_e32 v128, 0x2108, v123
	ds_read2_b32 v[158:159], v128 offset1:1
	v_and_b32_e32 v151, 0xf0f0f0f, v153
	v_add_u32_e32 v153, 0x3180, v123
	v_dot4c_i32_i8_e32 v173, v145, v0
	v_dot4c_i32_i8_e32 v173, v146, v4
	s_waitcnt lgkmcnt(0)
	v_lshrrev_b32_e32 v128, 4, v158
	v_and_b32_e32 v156, 0xf0f0f0f, v128
	v_lshrrev_b32_e32 v128, 4, v159
	v_and_b32_e32 v155, 0xf0f0f0f, v158
	v_and_b32_e32 v158, 0xf0f0f0f, v128
	ds_read_b32 v128, v132
	ds_read2_b32 v[160:161], v153 offset1:1
	v_and_b32_e32 v157, 0xf0f0f0f, v159
	v_mov_b32_e32 v159, 0
	v_dot4c_i32_i8_e32 v173, v151, v1
	v_dot4c_i32_i8_e32 v170, v138, v5
	s_waitcnt lgkmcnt(0)
	v_and_b32_e32 v153, 0xf0f0f0f, v160
	v_lshrrev_b32_e32 v154, 4, v160
	v_and_b32_e32 v154, 0xf0f0f0f, v154
	v_dot4c_i32_i8_e32 v159, v153, v0
	v_dot4c_i32_i8_e32 v159, v154, v4
	v_and_b32_e32 v0, 0xf0f0f0f, v161
	v_dot4c_i32_i8_e32 v159, v0, v1
	v_add_u32_e32 v1, 0x3188, v123
	v_lshrrev_b32_e32 v4, 4, v161
	ds_read2_b32 v[160:161], v1 offset1:1
	v_and_b32_e32 v4, 0xf0f0f0f, v4
	v_dot4c_i32_i8_e32 v172, v144, v5
	v_dot4c_i32_i8_e32 v173, v152, v5
	;; [unrolled: 1-line block ×3, first 2 shown]
	s_waitcnt lgkmcnt(0)
	v_and_b32_e32 v1, 0xf0f0f0f, v160
	v_lshrrev_b32_e32 v5, 4, v160
	v_dot4c_i32_i8_e32 v170, v139, v2
	v_dot4c_i32_i8_e32 v172, v147, v2
	;; [unrolled: 1-line block ×3, first 2 shown]
	v_and_b32_e32 v5, 0xf0f0f0f, v5
	v_dot4c_i32_i8_e32 v159, v1, v2
	v_dot4c_i32_i8_e32 v170, v140, v6
	;; [unrolled: 1-line block ×5, first 2 shown]
	v_and_b32_e32 v2, 0xf0f0f0f, v161
	v_lshrrev_b32_e32 v6, 4, v161
	ds_read_b128 v[160:163], v121 offset:1024
	ds_read_b128 v[164:167], v121 offset:1040
	v_dot4c_i32_i8_e32 v170, v141, v3
	v_dot4c_i32_i8_e32 v172, v149, v3
	;; [unrolled: 1-line block ×4, first 2 shown]
	v_mov_b32_e32 v3, 0
	s_waitcnt lgkmcnt(1)
	v_dot4c_i32_i8_e32 v3, v133, v160
	s_waitcnt lgkmcnt(0)
	v_dot4c_i32_i8_e32 v3, v134, v164
	v_dot4c_i32_i8_e32 v3, v136, v161
	v_dot4c_i32_i8_e32 v3, v138, v165
	v_dot4c_i32_i8_e32 v3, v139, v162
	v_dot4c_i32_i8_e32 v3, v140, v166
	v_dot4c_i32_i8_e32 v3, v141, v163
	v_dot4c_i32_i8_e32 v3, v143, v167
	v_dot4c_i32_i8_e32 v170, v143, v7
	v_cvt_f32_f16_e32 v169, v131
	v_cvt_f32_f16_e32 v168, v130
	v_cvt_f32_i32_e32 v171, v3
	v_mov_b32_e32 v3, 0
	v_dot4c_i32_i8_e32 v3, v135, v160
	v_dot4c_i32_i8_e32 v3, v137, v164
	v_cvt_f32_f16_sdwa v131, v131 dst_sel:DWORD dst_unused:UNUSED_PAD src0_sel:WORD_1
	v_cvt_f32_f16_sdwa v130, v130 dst_sel:DWORD dst_unused:UNUSED_PAD src0_sel:WORD_1
	v_dot4c_i32_i8_e32 v3, v142, v161
	v_cvt_f32_i32_e32 v170, v170
	v_dot4c_i32_i8_e32 v3, v144, v165
	v_dot4c_i32_i8_e32 v3, v147, v162
	;; [unrolled: 1-line block ×3, first 2 shown]
	v_pk_mul_f32 v[130:131], v[130:131], s[4:5] op_sel_hi:[1,0]
	v_dot4c_i32_i8_e32 v3, v149, v163
	v_pk_fma_f32 v[170:171], v[168:169], v[170:171], v[130:131] neg_lo:[0,0,1] neg_hi:[0,0,1]
	v_dot4c_i32_i8_e32 v3, v150, v167
	v_pk_fma_f32 v[84:85], v[122:123], v[170:171], v[84:85] op_sel_hi:[0,1,1]
	v_dot4c_i32_i8_e32 v172, v150, v7
	v_and_b32_e32 v6, 0xf0f0f0f, v6
	v_cvt_f32_i32_e32 v171, v3
	v_mov_b32_e32 v3, 0
	v_dot4c_i32_i8_e32 v3, v145, v160
	v_dot4c_i32_i8_e32 v3, v146, v164
	;; [unrolled: 1-line block ×3, first 2 shown]
	v_cvt_f32_i32_e32 v170, v172
	v_dot4c_i32_i8_e32 v3, v152, v165
	v_dot4c_i32_i8_e32 v3, v155, v162
	;; [unrolled: 1-line block ×4, first 2 shown]
	v_pk_fma_f32 v[170:171], v[168:169], v[170:171], v[130:131] neg_lo:[0,0,1] neg_hi:[0,0,1]
	v_dot4c_i32_i8_e32 v3, v158, v167
	v_pk_fma_f32 v[70:71], v[124:125], v[170:171], v[70:71] op_sel_hi:[0,1,1]
	v_dot4c_i32_i8_e32 v173, v158, v7
	v_dot4c_i32_i8_e32 v159, v6, v7
	v_cvt_f32_i32_e32 v171, v3
	v_mov_b32_e32 v3, 0
	v_dot4c_i32_i8_e32 v3, v153, v160
	v_dot4c_i32_i8_e32 v3, v154, v164
	;; [unrolled: 1-line block ×8, first 2 shown]
	v_cvt_f32_i32_e32 v170, v173
	v_cvt_f32_i32_e32 v160, v159
	v_mov_b32_e32 v7, 0
	v_cvt_f32_i32_e32 v161, v3
	v_pk_fma_f32 v[170:171], v[168:169], v[170:171], v[130:131] neg_lo:[0,0,1] neg_hi:[0,0,1]
	v_mov_b32_e32 v3, 0
	v_mov_b32_e32 v159, 0
	v_pk_fma_f32 v[130:131], v[168:169], v[160:161], v[130:131] neg_lo:[0,0,1] neg_hi:[0,0,1]
	v_pk_fma_f32 v[34:35], v[128:129], v[130:131], v[34:35] op_sel_hi:[0,1,1]
	ds_read_b128 v[160:163], v121 offset:2048
	ds_read_b128 v[164:167], v121 offset:2064
	ds_read2_b32 v[130:131], v117 offset0:64 offset1:96
	v_mov_b32_e32 v172, 0
	v_pk_fma_f32 v[50:51], v[126:127], v[170:171], v[50:51] op_sel_hi:[0,1,1]
	s_waitcnt lgkmcnt(2)
	v_dot4c_i32_i8_e32 v3, v133, v160
	v_dot4c_i32_i8_e32 v7, v135, v160
	;; [unrolled: 1-line block ×4, first 2 shown]
	s_waitcnt lgkmcnt(1)
	v_dot4c_i32_i8_e32 v3, v134, v164
	v_dot4c_i32_i8_e32 v7, v137, v164
	;; [unrolled: 1-line block ×28, first 2 shown]
	ds_read_b128 v[160:163], v121 offset:3072
	ds_read_b128 v[164:167], v121 offset:3088
	v_mov_b32_e32 v170, 0
	s_waitcnt lgkmcnt(2)
	v_cvt_f32_f16_e32 v169, v131
	v_cvt_f32_f16_e32 v168, v130
	s_waitcnt lgkmcnt(1)
	v_dot4c_i32_i8_e32 v170, v133, v160
	s_waitcnt lgkmcnt(0)
	v_dot4c_i32_i8_e32 v170, v134, v164
	v_dot4c_i32_i8_e32 v170, v136, v161
	;; [unrolled: 1-line block ×7, first 2 shown]
	v_cvt_f32_f16_sdwa v131, v131 dst_sel:DWORD dst_unused:UNUSED_PAD src0_sel:WORD_1
	v_cvt_f32_f16_sdwa v130, v130 dst_sel:DWORD dst_unused:UNUSED_PAD src0_sel:WORD_1
	s_add_i32 s1, s1, 4
	v_cvt_f32_i32_e32 v171, v170
	v_cvt_f32_i32_e32 v170, v3
	v_mov_b32_e32 v3, 0
	v_dot4c_i32_i8_e32 v3, v135, v160
	v_dot4c_i32_i8_e32 v3, v137, v164
	;; [unrolled: 1-line block ×6, first 2 shown]
	v_pk_mul_f32 v[130:131], v[130:131], s[4:5] op_sel_hi:[1,0]
	v_dot4c_i32_i8_e32 v3, v149, v163
	v_pk_fma_f32 v[170:171], v[170:171], v[168:169], v[130:131] neg_lo:[0,0,1] neg_hi:[0,0,1]
	v_dot4c_i32_i8_e32 v3, v150, v167
	v_pk_fma_f32 v[30:31], v[122:123], v[170:171], v[30:31] op_sel_hi:[0,1,1]
	v_cvt_f32_i32_e32 v170, v7
	v_mov_b32_e32 v7, 0
	v_cvt_f32_i32_e32 v171, v3
	v_mov_b32_e32 v3, 0
	v_dot4c_i32_i8_e32 v3, v145, v160
	v_dot4c_i32_i8_e32 v3, v146, v164
	;; [unrolled: 1-line block ×7, first 2 shown]
	v_pk_fma_f32 v[170:171], v[170:171], v[168:169], v[130:131] neg_lo:[0,0,1] neg_hi:[0,0,1]
	v_dot4c_i32_i8_e32 v3, v158, v167
	v_pk_fma_f32 v[28:29], v[124:125], v[170:171], v[28:29] op_sel_hi:[0,1,1]
	v_cvt_f32_i32_e32 v170, v159
	v_mov_b32_e32 v159, 0
	v_cvt_f32_i32_e32 v171, v3
	v_mov_b32_e32 v3, 0
	v_dot4c_i32_i8_e32 v3, v153, v160
	v_dot4c_i32_i8_e32 v3, v154, v164
	;; [unrolled: 1-line block ×8, first 2 shown]
	v_cvt_f32_i32_e32 v160, v172
	v_pk_fma_f32 v[170:171], v[170:171], v[168:169], v[130:131] neg_lo:[0,0,1] neg_hi:[0,0,1]
	v_mov_b32_e32 v172, 0
	v_cvt_f32_i32_e32 v161, v3
	v_mov_b32_e32 v3, 0
	v_pk_fma_f32 v[26:27], v[126:127], v[170:171], v[26:27] op_sel_hi:[0,1,1]
	v_mov_b32_e32 v170, 0
	v_pk_fma_f32 v[130:131], v[160:161], v[168:169], v[130:131] neg_lo:[0,0,1] neg_hi:[0,0,1]
	v_pk_fma_f32 v[24:25], v[128:129], v[130:131], v[24:25] op_sel_hi:[0,1,1]
	ds_read_b128 v[160:163], v121 offset:4096
	ds_read_b128 v[164:167], v121 offset:4112
	ds_read2_b32 v[130:131], v117 offset0:128 offset1:160
	v_add_u32_e32 v132, 4, v132
	s_cmp_lt_u32 s1, 28
	s_waitcnt lgkmcnt(2)
	v_dot4c_i32_i8_e32 v3, v133, v160
	v_dot4c_i32_i8_e32 v7, v135, v160
	;; [unrolled: 1-line block ×4, first 2 shown]
	s_waitcnt lgkmcnt(1)
	v_dot4c_i32_i8_e32 v3, v134, v164
	v_dot4c_i32_i8_e32 v7, v137, v164
	v_dot4c_i32_i8_e32 v159, v146, v164
	v_dot4c_i32_i8_e32 v172, v154, v164
	v_dot4c_i32_i8_e32 v3, v136, v161
	v_dot4c_i32_i8_e32 v7, v142, v161
	v_dot4c_i32_i8_e32 v159, v151, v161
	v_dot4c_i32_i8_e32 v172, v0, v161
	v_dot4c_i32_i8_e32 v3, v138, v165
	v_dot4c_i32_i8_e32 v7, v144, v165
	v_dot4c_i32_i8_e32 v159, v152, v165
	v_dot4c_i32_i8_e32 v172, v4, v165
	v_dot4c_i32_i8_e32 v3, v139, v162
	v_dot4c_i32_i8_e32 v7, v147, v162
	v_dot4c_i32_i8_e32 v159, v155, v162
	v_dot4c_i32_i8_e32 v172, v1, v162
	v_dot4c_i32_i8_e32 v3, v140, v166
	v_dot4c_i32_i8_e32 v7, v148, v166
	v_dot4c_i32_i8_e32 v159, v156, v166
	v_dot4c_i32_i8_e32 v172, v5, v166
	v_dot4c_i32_i8_e32 v3, v141, v163
	v_dot4c_i32_i8_e32 v7, v149, v163
	v_dot4c_i32_i8_e32 v159, v157, v163
	v_dot4c_i32_i8_e32 v172, v2, v163
	v_dot4c_i32_i8_e32 v3, v143, v167
	v_dot4c_i32_i8_e32 v7, v150, v167
	v_dot4c_i32_i8_e32 v159, v158, v167
	v_dot4c_i32_i8_e32 v172, v6, v167
	ds_read_b128 v[160:163], v121 offset:5120
	ds_read_b128 v[164:167], v121 offset:5136
	s_waitcnt lgkmcnt(2)
	v_cvt_f32_f16_e32 v169, v131
	v_cvt_f32_f16_e32 v168, v130
	v_cvt_f32_f16_sdwa v131, v131 dst_sel:DWORD dst_unused:UNUSED_PAD src0_sel:WORD_1
	s_waitcnt lgkmcnt(1)
	v_dot4c_i32_i8_e32 v170, v133, v160
	s_waitcnt lgkmcnt(0)
	v_dot4c_i32_i8_e32 v170, v134, v164
	v_dot4c_i32_i8_e32 v170, v136, v161
	;; [unrolled: 1-line block ×7, first 2 shown]
	v_cvt_f32_f16_sdwa v130, v130 dst_sel:DWORD dst_unused:UNUSED_PAD src0_sel:WORD_1
	v_pk_mul_f32 v[130:131], v[130:131], s[4:5] op_sel_hi:[1,0]
	s_nop 0
	v_cvt_f32_i32_e32 v171, v170
	v_cvt_f32_i32_e32 v170, v3
	v_mov_b32_e32 v3, 0
	v_dot4c_i32_i8_e32 v3, v135, v160
	v_dot4c_i32_i8_e32 v3, v137, v164
	;; [unrolled: 1-line block ×7, first 2 shown]
	v_pk_fma_f32 v[170:171], v[170:171], v[168:169], v[130:131] neg_lo:[0,0,1] neg_hi:[0,0,1]
	v_dot4c_i32_i8_e32 v3, v150, v167
	v_pk_fma_f32 v[22:23], v[122:123], v[170:171], v[22:23] op_sel_hi:[0,1,1]
	v_cvt_f32_i32_e32 v170, v7
	v_mov_b32_e32 v7, 0
	v_cvt_f32_i32_e32 v171, v3
	v_mov_b32_e32 v3, 0
	v_dot4c_i32_i8_e32 v3, v145, v160
	v_dot4c_i32_i8_e32 v3, v146, v164
	;; [unrolled: 1-line block ×7, first 2 shown]
	v_pk_fma_f32 v[170:171], v[170:171], v[168:169], v[130:131] neg_lo:[0,0,1] neg_hi:[0,0,1]
	v_dot4c_i32_i8_e32 v3, v158, v167
	v_pk_fma_f32 v[20:21], v[124:125], v[170:171], v[20:21] op_sel_hi:[0,1,1]
	v_cvt_f32_i32_e32 v170, v159
	v_mov_b32_e32 v159, 0
	v_cvt_f32_i32_e32 v171, v3
	v_mov_b32_e32 v3, 0
	v_dot4c_i32_i8_e32 v3, v153, v160
	v_dot4c_i32_i8_e32 v3, v154, v164
	;; [unrolled: 1-line block ×8, first 2 shown]
	v_cvt_f32_i32_e32 v160, v172
	v_pk_fma_f32 v[170:171], v[170:171], v[168:169], v[130:131] neg_lo:[0,0,1] neg_hi:[0,0,1]
	v_pk_fma_f32 v[18:19], v[126:127], v[170:171], v[18:19] op_sel_hi:[0,1,1]
	v_cvt_f32_i32_e32 v161, v3
	v_mov_b32_e32 v3, 0
	v_pk_fma_f32 v[130:131], v[160:161], v[168:169], v[130:131] neg_lo:[0,0,1] neg_hi:[0,0,1]
	v_pk_fma_f32 v[16:17], v[128:129], v[130:131], v[16:17] op_sel_hi:[0,1,1]
	ds_read_b128 v[160:163], v121 offset:6144
	ds_read_b128 v[164:167], v121 offset:6160
	ds_read2_b32 v[130:131], v117 offset0:192 offset1:224
	v_mov_b32_e32 v168, 0
	v_mov_b32_e32 v169, 0
	s_waitcnt lgkmcnt(2)
	v_dot4c_i32_i8_e32 v3, v133, v160
	v_dot4c_i32_i8_e32 v7, v135, v160
	;; [unrolled: 1-line block ×4, first 2 shown]
	s_waitcnt lgkmcnt(1)
	v_dot4c_i32_i8_e32 v3, v134, v164
	v_dot4c_i32_i8_e32 v7, v137, v164
	;; [unrolled: 1-line block ×28, first 2 shown]
	ds_read_b128 v[160:163], v121 offset:7168
	ds_read_b128 v[164:167], v121 offset:7184
	v_add_u32_e32 v121, 32, v121
	v_add_u32_e32 v117, 4, v117
	s_waitcnt lgkmcnt(1)
	v_dot4c_i32_i8_e32 v169, v133, v160
	s_waitcnt lgkmcnt(0)
	v_dot4c_i32_i8_e32 v169, v134, v164
	v_dot4c_i32_i8_e32 v169, v136, v161
	;; [unrolled: 1-line block ×5, first 2 shown]
	v_cvt_f32_i32_e32 v140, v3
	v_mov_b32_e32 v3, 0
	v_dot4c_i32_i8_e32 v3, v135, v160
	v_dot4c_i32_i8_e32 v3, v137, v164
	;; [unrolled: 1-line block ×8, first 2 shown]
	v_cvt_f32_f16_e32 v139, v131
	v_cvt_f32_f16_e32 v138, v130
	v_cvt_f32_f16_sdwa v131, v131 dst_sel:DWORD dst_unused:UNUSED_PAD src0_sel:WORD_1
	v_cvt_f32_i32_e32 v135, v3
	v_mov_b32_e32 v3, 0
	v_dot4c_i32_i8_e32 v3, v145, v160
	v_dot4c_i32_i8_e32 v3, v146, v164
	v_cvt_f32_f16_sdwa v130, v130 dst_sel:DWORD dst_unused:UNUSED_PAD src0_sel:WORD_1
	v_dot4c_i32_i8_e32 v3, v151, v161
	v_cvt_f32_i32_e32 v134, v7
	v_dot4c_i32_i8_e32 v3, v152, v165
	v_dot4c_i32_i8_e32 v3, v155, v162
	v_dot4c_i32_i8_e32 v3, v156, v166
	v_pk_mul_f32 v[130:131], v[130:131], s[4:5] op_sel_hi:[1,0]
	v_dot4c_i32_i8_e32 v3, v157, v163
	v_pk_fma_f32 v[134:135], v[134:135], v[138:139], v[130:131] neg_lo:[0,0,1] neg_hi:[0,0,1]
	v_dot4c_i32_i8_e32 v3, v158, v167
	v_pk_fma_f32 v[12:13], v[124:125], v[134:135], v[12:13] op_sel_hi:[0,1,1]
	v_dot4c_i32_i8_e32 v169, v141, v163
	v_dot4c_i32_i8_e32 v169, v143, v167
	v_cvt_f32_i32_e32 v135, v3
	v_mov_b32_e32 v3, 0
	v_dot4c_i32_i8_e32 v3, v153, v160
	v_dot4c_i32_i8_e32 v3, v154, v164
	;; [unrolled: 1-line block ×8, first 2 shown]
	v_cvt_f32_i32_e32 v141, v169
	v_cvt_f32_i32_e32 v134, v159
	v_cvt_f32_i32_e32 v0, v168
	v_cvt_f32_i32_e32 v1, v3
	v_pk_fma_f32 v[140:141], v[140:141], v[138:139], v[130:131] neg_lo:[0,0,1] neg_hi:[0,0,1]
	v_pk_fma_f32 v[134:135], v[134:135], v[138:139], v[130:131] neg_lo:[0,0,1] neg_hi:[0,0,1]
	v_pk_fma_f32 v[14:15], v[122:123], v[140:141], v[14:15] op_sel_hi:[0,1,1]
	v_pk_fma_f32 v[0:1], v[0:1], v[138:139], v[130:131] neg_lo:[0,0,1] neg_hi:[0,0,1]
	v_pk_fma_f32 v[10:11], v[126:127], v[134:135], v[10:11] op_sel_hi:[0,1,1]
	v_pk_fma_f32 v[8:9], v[128:129], v[0:1], v[8:9] op_sel_hi:[0,1,1]
	v_add_u32_e32 v129, 4, v129
	v_add_u32_e32 v127, 4, v127
	v_add_u32_e32 v125, 4, v125
	v_add_u32_e32 v123, 16, v123
	s_cbranch_scc1 .LBB138_10
; %bb.11:                               ;   in Loop: Header=BB138_6 Depth=1
	s_barrier
	s_branch .LBB138_5
.LBB138_12:
	v_mov_b32_e32 v1, v37
.LBB138_13:
	v_cmp_gt_u32_e32 vcc, s10, v39
	s_and_saveexec_b64 s[0:1], vcc
	s_cbranch_execz .LBB138_64
; %bb.14:
	v_add_u32_e32 v0, s6, v33
	v_mul_lo_u32 v5, v39, s14
	v_cmp_gt_u32_e32 vcc, s14, v0
	s_and_saveexec_b64 s[2:3], vcc
	s_cbranch_execz .LBB138_16
; %bb.15:
	v_add_u32_e32 v2, v0, v5
	v_mov_b32_e32 v3, 0
	v_cvt_f16_f32_e32 v6, v84
	v_lshlrev_b64 v[2:3], 1, v[2:3]
	s_waitcnt lgkmcnt(0)
	v_mov_b32_e32 v4, s13
	v_add_co_u32_e64 v2, s[0:1], s12, v2
	v_addc_co_u32_e64 v3, s[0:1], v4, v3, s[0:1]
	global_store_short v[2:3], v6, off
.LBB138_16:
	s_or_b64 exec, exec, s[2:3]
	v_add_u32_e32 v2, 32, v0
	v_cmp_gt_u32_e64 s[0:1], s14, v2
	s_and_saveexec_b64 s[4:5], s[0:1]
	s_cbranch_execz .LBB138_18
; %bb.17:
	v_add_u32_e32 v6, v2, v5
	v_mov_b32_e32 v7, 0
	v_cvt_f16_f32_e32 v4, v70
	v_lshlrev_b64 v[6:7], 1, v[6:7]
	s_waitcnt lgkmcnt(0)
	v_mov_b32_e32 v3, s13
	v_add_co_u32_e64 v6, s[2:3], s12, v6
	v_addc_co_u32_e64 v7, s[2:3], v3, v7, s[2:3]
	global_store_short v[6:7], v4, off
.LBB138_18:
	s_or_b64 exec, exec, s[4:5]
	v_add_u32_e32 v3, 64, v0
	v_cmp_gt_u32_e64 s[2:3], s14, v3
	s_and_saveexec_b64 s[6:7], s[2:3]
	;; [unrolled: 16-line block ×3, first 2 shown]
	s_cbranch_execz .LBB138_22
; %bb.21:
	v_add_u32_e32 v6, v4, v5
	v_mov_b32_e32 v7, 0
	v_cvt_f16_f32_e32 v32, v34
	v_lshlrev_b64 v[6:7], 1, v[6:7]
	s_waitcnt lgkmcnt(0)
	v_mov_b32_e32 v5, s13
	v_add_co_u32_e64 v6, s[6:7], s12, v6
	v_addc_co_u32_e64 v7, s[6:7], v5, v7, s[6:7]
	global_store_short v[6:7], v32, off
.LBB138_22:
	s_or_b64 exec, exec, s[8:9]
	v_add3_u32 v5, v1, s15, 8
	v_cmp_gt_u32_e64 s[6:7], s10, v5
	s_and_b64 exec, exec, s[6:7]
	s_cbranch_execz .LBB138_64
; %bb.23:
	v_mul_lo_u32 v5, v5, s14
	s_and_saveexec_b64 s[8:9], vcc
	s_cbranch_execnz .LBB138_65
; %bb.24:
	s_or_b64 exec, exec, s[8:9]
	s_and_saveexec_b64 s[8:9], s[0:1]
	s_cbranch_execnz .LBB138_66
.LBB138_25:
	s_or_b64 exec, exec, s[8:9]
	s_and_saveexec_b64 s[8:9], s[2:3]
	s_cbranch_execnz .LBB138_67
.LBB138_26:
	s_or_b64 exec, exec, s[8:9]
	s_and_saveexec_b64 s[8:9], s[4:5]
	s_cbranch_execz .LBB138_28
.LBB138_27:
	v_add_u32_e32 v6, v5, v4
	v_mov_b32_e32 v7, 0
	v_cvt_f16_f32_e32 v32, v35
	v_lshlrev_b64 v[6:7], 1, v[6:7]
	s_waitcnt lgkmcnt(0)
	v_mov_b32_e32 v5, s13
	v_add_co_u32_e64 v6, s[6:7], s12, v6
	v_addc_co_u32_e64 v7, s[6:7], v5, v7, s[6:7]
	global_store_short v[6:7], v32, off
.LBB138_28:
	s_or_b64 exec, exec, s[8:9]
	v_add3_u32 v5, v1, s15, 16
	v_cmp_gt_u32_e64 s[6:7], s10, v5
	s_and_b64 exec, exec, s[6:7]
	s_cbranch_execz .LBB138_64
; %bb.29:
	v_mul_lo_u32 v5, v5, s14
	s_and_saveexec_b64 s[8:9], vcc
	s_cbranch_execnz .LBB138_68
; %bb.30:
	s_or_b64 exec, exec, s[8:9]
	s_and_saveexec_b64 s[8:9], s[0:1]
	s_cbranch_execnz .LBB138_69
.LBB138_31:
	s_or_b64 exec, exec, s[8:9]
	s_and_saveexec_b64 s[8:9], s[2:3]
	s_cbranch_execnz .LBB138_70
.LBB138_32:
	s_or_b64 exec, exec, s[8:9]
	s_and_saveexec_b64 s[8:9], s[4:5]
	s_cbranch_execz .LBB138_34
.LBB138_33:
	v_add_u32_e32 v6, v5, v4
	v_mov_b32_e32 v7, 0
	v_cvt_f16_f32_e32 v24, v24
	v_lshlrev_b64 v[6:7], 1, v[6:7]
	s_waitcnt lgkmcnt(0)
	v_mov_b32_e32 v5, s13
	v_add_co_u32_e64 v6, s[6:7], s12, v6
	v_addc_co_u32_e64 v7, s[6:7], v5, v7, s[6:7]
	global_store_short v[6:7], v24, off
.LBB138_34:
	s_or_b64 exec, exec, s[8:9]
	v_add3_u32 v5, v1, s15, 24
	v_cmp_gt_u32_e64 s[6:7], s10, v5
	s_and_b64 exec, exec, s[6:7]
	s_cbranch_execz .LBB138_64
; %bb.35:
	v_mul_lo_u32 v5, v5, s14
	s_and_saveexec_b64 s[8:9], vcc
	s_cbranch_execnz .LBB138_71
; %bb.36:
	s_or_b64 exec, exec, s[8:9]
	s_and_saveexec_b64 s[8:9], s[0:1]
	s_cbranch_execnz .LBB138_72
.LBB138_37:
	s_or_b64 exec, exec, s[8:9]
	s_and_saveexec_b64 s[8:9], s[2:3]
	s_cbranch_execnz .LBB138_73
.LBB138_38:
	s_or_b64 exec, exec, s[8:9]
	s_and_saveexec_b64 s[8:9], s[4:5]
	s_cbranch_execz .LBB138_40
.LBB138_39:
	v_add_u32_e32 v6, v5, v4
	v_mov_b32_e32 v7, 0
	v_cvt_f16_f32_e32 v24, v25
	v_lshlrev_b64 v[6:7], 1, v[6:7]
	s_waitcnt lgkmcnt(0)
	v_mov_b32_e32 v5, s13
	v_add_co_u32_e64 v6, s[6:7], s12, v6
	v_addc_co_u32_e64 v7, s[6:7], v5, v7, s[6:7]
	global_store_short v[6:7], v24, off
.LBB138_40:
	s_or_b64 exec, exec, s[8:9]
	v_add3_u32 v5, v1, s15, 32
	v_cmp_gt_u32_e64 s[6:7], s10, v5
	s_and_b64 exec, exec, s[6:7]
	s_cbranch_execz .LBB138_64
; %bb.41:
	v_mul_lo_u32 v5, v5, s14
	s_and_saveexec_b64 s[8:9], vcc
	s_cbranch_execnz .LBB138_74
; %bb.42:
	s_or_b64 exec, exec, s[8:9]
	s_and_saveexec_b64 s[8:9], s[0:1]
	s_cbranch_execnz .LBB138_75
.LBB138_43:
	s_or_b64 exec, exec, s[8:9]
	s_and_saveexec_b64 s[8:9], s[2:3]
	s_cbranch_execnz .LBB138_76
.LBB138_44:
	s_or_b64 exec, exec, s[8:9]
	s_and_saveexec_b64 s[8:9], s[4:5]
	s_cbranch_execz .LBB138_46
.LBB138_45:
	v_add_u32_e32 v6, v5, v4
	v_mov_b32_e32 v7, 0
	v_cvt_f16_f32_e32 v16, v16
	v_lshlrev_b64 v[6:7], 1, v[6:7]
	s_waitcnt lgkmcnt(0)
	v_mov_b32_e32 v5, s13
	v_add_co_u32_e64 v6, s[6:7], s12, v6
	v_addc_co_u32_e64 v7, s[6:7], v5, v7, s[6:7]
	global_store_short v[6:7], v16, off
.LBB138_46:
	s_or_b64 exec, exec, s[8:9]
	v_add3_u32 v5, v1, s15, 40
	v_cmp_gt_u32_e64 s[6:7], s10, v5
	s_and_b64 exec, exec, s[6:7]
	s_cbranch_execz .LBB138_64
; %bb.47:
	v_mul_lo_u32 v5, v5, s14
	s_and_saveexec_b64 s[8:9], vcc
	s_cbranch_execnz .LBB138_77
; %bb.48:
	s_or_b64 exec, exec, s[8:9]
	s_and_saveexec_b64 s[8:9], s[0:1]
	s_cbranch_execnz .LBB138_78
.LBB138_49:
	s_or_b64 exec, exec, s[8:9]
	s_and_saveexec_b64 s[8:9], s[2:3]
	s_cbranch_execnz .LBB138_79
.LBB138_50:
	s_or_b64 exec, exec, s[8:9]
	s_and_saveexec_b64 s[8:9], s[4:5]
	s_cbranch_execz .LBB138_52
.LBB138_51:
	v_add_u32_e32 v6, v5, v4
	v_mov_b32_e32 v7, 0
	v_cvt_f16_f32_e32 v16, v17
	v_lshlrev_b64 v[6:7], 1, v[6:7]
	s_waitcnt lgkmcnt(0)
	v_mov_b32_e32 v5, s13
	v_add_co_u32_e64 v6, s[6:7], s12, v6
	v_addc_co_u32_e64 v7, s[6:7], v5, v7, s[6:7]
	global_store_short v[6:7], v16, off
.LBB138_52:
	s_or_b64 exec, exec, s[8:9]
	v_add3_u32 v5, v1, s15, 48
	v_cmp_gt_u32_e64 s[6:7], s10, v5
	s_and_b64 exec, exec, s[6:7]
	s_cbranch_execz .LBB138_64
; %bb.53:
	v_mul_lo_u32 v5, v5, s14
	s_and_saveexec_b64 s[8:9], vcc
	s_cbranch_execnz .LBB138_80
; %bb.54:
	s_or_b64 exec, exec, s[8:9]
	s_and_saveexec_b64 s[8:9], s[0:1]
	s_cbranch_execnz .LBB138_81
.LBB138_55:
	s_or_b64 exec, exec, s[8:9]
	s_and_saveexec_b64 s[8:9], s[2:3]
	s_cbranch_execnz .LBB138_82
.LBB138_56:
	s_or_b64 exec, exec, s[8:9]
	s_and_saveexec_b64 s[8:9], s[4:5]
	s_cbranch_execz .LBB138_58
.LBB138_57:
	v_add_u32_e32 v6, v5, v4
	v_mov_b32_e32 v7, 0
	v_cvt_f16_f32_e32 v8, v8
	v_lshlrev_b64 v[6:7], 1, v[6:7]
	s_waitcnt lgkmcnt(0)
	v_mov_b32_e32 v5, s13
	v_add_co_u32_e64 v6, s[6:7], s12, v6
	v_addc_co_u32_e64 v7, s[6:7], v5, v7, s[6:7]
	global_store_short v[6:7], v8, off
.LBB138_58:
	s_or_b64 exec, exec, s[8:9]
	v_add3_u32 v1, v1, s15, 56
	v_cmp_gt_u32_e64 s[6:7], s10, v1
	s_and_b64 exec, exec, s[6:7]
	s_cbranch_execz .LBB138_64
; %bb.59:
	v_mul_lo_u32 v1, v1, s14
	s_and_saveexec_b64 s[6:7], vcc
	s_cbranch_execnz .LBB138_83
; %bb.60:
	s_or_b64 exec, exec, s[6:7]
	s_and_saveexec_b64 s[6:7], s[0:1]
	s_cbranch_execnz .LBB138_84
.LBB138_61:
	s_or_b64 exec, exec, s[6:7]
	s_and_saveexec_b64 s[0:1], s[2:3]
	s_cbranch_execnz .LBB138_85
.LBB138_62:
	s_or_b64 exec, exec, s[0:1]
	s_and_b64 exec, exec, s[4:5]
	s_cbranch_execz .LBB138_64
.LBB138_63:
	v_add_u32_e32 v0, v1, v4
	v_mov_b32_e32 v1, 0
	v_cvt_f16_f32_e32 v3, v9
	v_lshlrev_b64 v[0:1], 1, v[0:1]
	s_waitcnt lgkmcnt(0)
	v_mov_b32_e32 v2, s13
	v_add_co_u32_e32 v0, vcc, s12, v0
	v_addc_co_u32_e32 v1, vcc, v2, v1, vcc
	global_store_short v[0:1], v3, off
.LBB138_64:
	s_endpgm
.LBB138_65:
	v_add_u32_e32 v6, v5, v0
	v_mov_b32_e32 v7, 0
	v_cvt_f16_f32_e32 v33, v85
	v_lshlrev_b64 v[6:7], 1, v[6:7]
	s_waitcnt lgkmcnt(0)
	v_mov_b32_e32 v32, s13
	v_add_co_u32_e64 v6, s[6:7], s12, v6
	v_addc_co_u32_e64 v7, s[6:7], v32, v7, s[6:7]
	global_store_short v[6:7], v33, off
	s_or_b64 exec, exec, s[8:9]
	s_and_saveexec_b64 s[8:9], s[0:1]
	s_cbranch_execz .LBB138_25
.LBB138_66:
	v_add_u32_e32 v6, v5, v2
	v_mov_b32_e32 v7, 0
	v_cvt_f16_f32_e32 v33, v71
	v_lshlrev_b64 v[6:7], 1, v[6:7]
	s_waitcnt lgkmcnt(0)
	v_mov_b32_e32 v32, s13
	v_add_co_u32_e64 v6, s[6:7], s12, v6
	v_addc_co_u32_e64 v7, s[6:7], v32, v7, s[6:7]
	global_store_short v[6:7], v33, off
	s_or_b64 exec, exec, s[8:9]
	s_and_saveexec_b64 s[8:9], s[2:3]
	s_cbranch_execz .LBB138_26
.LBB138_67:
	v_add_u32_e32 v6, v5, v3
	v_mov_b32_e32 v7, 0
	v_cvt_f16_f32_e32 v33, v51
	v_lshlrev_b64 v[6:7], 1, v[6:7]
	s_waitcnt lgkmcnt(0)
	v_mov_b32_e32 v32, s13
	v_add_co_u32_e64 v6, s[6:7], s12, v6
	v_addc_co_u32_e64 v7, s[6:7], v32, v7, s[6:7]
	global_store_short v[6:7], v33, off
	s_or_b64 exec, exec, s[8:9]
	s_and_saveexec_b64 s[8:9], s[4:5]
	s_cbranch_execnz .LBB138_27
	s_branch .LBB138_28
.LBB138_68:
	v_add_u32_e32 v6, v5, v0
	v_mov_b32_e32 v7, 0
	v_cvt_f16_f32_e32 v30, v30
	v_lshlrev_b64 v[6:7], 1, v[6:7]
	s_waitcnt lgkmcnt(0)
	v_mov_b32_e32 v32, s13
	v_add_co_u32_e64 v6, s[6:7], s12, v6
	v_addc_co_u32_e64 v7, s[6:7], v32, v7, s[6:7]
	global_store_short v[6:7], v30, off
	s_or_b64 exec, exec, s[8:9]
	s_and_saveexec_b64 s[8:9], s[0:1]
	s_cbranch_execz .LBB138_31
.LBB138_69:
	v_add_u32_e32 v6, v5, v2
	v_mov_b32_e32 v7, 0
	v_cvt_f16_f32_e32 v28, v28
	v_lshlrev_b64 v[6:7], 1, v[6:7]
	s_waitcnt lgkmcnt(0)
	v_mov_b32_e32 v30, s13
	v_add_co_u32_e64 v6, s[6:7], s12, v6
	v_addc_co_u32_e64 v7, s[6:7], v30, v7, s[6:7]
	global_store_short v[6:7], v28, off
	s_or_b64 exec, exec, s[8:9]
	s_and_saveexec_b64 s[8:9], s[2:3]
	s_cbranch_execz .LBB138_32
.LBB138_70:
	v_add_u32_e32 v6, v5, v3
	v_mov_b32_e32 v7, 0
	v_cvt_f16_f32_e32 v26, v26
	v_lshlrev_b64 v[6:7], 1, v[6:7]
	s_waitcnt lgkmcnt(0)
	v_mov_b32_e32 v28, s13
	v_add_co_u32_e64 v6, s[6:7], s12, v6
	v_addc_co_u32_e64 v7, s[6:7], v28, v7, s[6:7]
	global_store_short v[6:7], v26, off
	s_or_b64 exec, exec, s[8:9]
	s_and_saveexec_b64 s[8:9], s[4:5]
	s_cbranch_execnz .LBB138_33
	s_branch .LBB138_34
.LBB138_71:
	v_add_u32_e32 v6, v5, v0
	v_mov_b32_e32 v7, 0
	v_cvt_f16_f32_e32 v26, v31
	v_lshlrev_b64 v[6:7], 1, v[6:7]
	s_waitcnt lgkmcnt(0)
	v_mov_b32_e32 v24, s13
	v_add_co_u32_e64 v6, s[6:7], s12, v6
	v_addc_co_u32_e64 v7, s[6:7], v24, v7, s[6:7]
	global_store_short v[6:7], v26, off
	s_or_b64 exec, exec, s[8:9]
	s_and_saveexec_b64 s[8:9], s[0:1]
	s_cbranch_execz .LBB138_37
.LBB138_72:
	v_add_u32_e32 v6, v5, v2
	v_mov_b32_e32 v7, 0
	v_cvt_f16_f32_e32 v26, v29
	v_lshlrev_b64 v[6:7], 1, v[6:7]
	s_waitcnt lgkmcnt(0)
	v_mov_b32_e32 v24, s13
	v_add_co_u32_e64 v6, s[6:7], s12, v6
	v_addc_co_u32_e64 v7, s[6:7], v24, v7, s[6:7]
	global_store_short v[6:7], v26, off
	s_or_b64 exec, exec, s[8:9]
	s_and_saveexec_b64 s[8:9], s[2:3]
	s_cbranch_execz .LBB138_38
.LBB138_73:
	v_add_u32_e32 v6, v5, v3
	v_mov_b32_e32 v7, 0
	v_cvt_f16_f32_e32 v26, v27
	v_lshlrev_b64 v[6:7], 1, v[6:7]
	s_waitcnt lgkmcnt(0)
	v_mov_b32_e32 v24, s13
	v_add_co_u32_e64 v6, s[6:7], s12, v6
	v_addc_co_u32_e64 v7, s[6:7], v24, v7, s[6:7]
	global_store_short v[6:7], v26, off
	s_or_b64 exec, exec, s[8:9]
	s_and_saveexec_b64 s[8:9], s[4:5]
	s_cbranch_execnz .LBB138_39
	s_branch .LBB138_40
.LBB138_74:
	v_add_u32_e32 v6, v5, v0
	v_mov_b32_e32 v7, 0
	v_cvt_f16_f32_e32 v22, v22
	v_lshlrev_b64 v[6:7], 1, v[6:7]
	s_waitcnt lgkmcnt(0)
	v_mov_b32_e32 v24, s13
	v_add_co_u32_e64 v6, s[6:7], s12, v6
	v_addc_co_u32_e64 v7, s[6:7], v24, v7, s[6:7]
	global_store_short v[6:7], v22, off
	s_or_b64 exec, exec, s[8:9]
	s_and_saveexec_b64 s[8:9], s[0:1]
	s_cbranch_execz .LBB138_43
.LBB138_75:
	v_add_u32_e32 v6, v5, v2
	v_mov_b32_e32 v7, 0
	v_cvt_f16_f32_e32 v20, v20
	v_lshlrev_b64 v[6:7], 1, v[6:7]
	s_waitcnt lgkmcnt(0)
	v_mov_b32_e32 v22, s13
	v_add_co_u32_e64 v6, s[6:7], s12, v6
	v_addc_co_u32_e64 v7, s[6:7], v22, v7, s[6:7]
	global_store_short v[6:7], v20, off
	s_or_b64 exec, exec, s[8:9]
	s_and_saveexec_b64 s[8:9], s[2:3]
	s_cbranch_execz .LBB138_44
.LBB138_76:
	v_add_u32_e32 v6, v5, v3
	v_mov_b32_e32 v7, 0
	v_cvt_f16_f32_e32 v18, v18
	v_lshlrev_b64 v[6:7], 1, v[6:7]
	s_waitcnt lgkmcnt(0)
	v_mov_b32_e32 v20, s13
	v_add_co_u32_e64 v6, s[6:7], s12, v6
	v_addc_co_u32_e64 v7, s[6:7], v20, v7, s[6:7]
	global_store_short v[6:7], v18, off
	s_or_b64 exec, exec, s[8:9]
	s_and_saveexec_b64 s[8:9], s[4:5]
	s_cbranch_execnz .LBB138_45
	s_branch .LBB138_46
.LBB138_77:
	v_add_u32_e32 v6, v5, v0
	v_mov_b32_e32 v7, 0
	v_cvt_f16_f32_e32 v18, v23
	v_lshlrev_b64 v[6:7], 1, v[6:7]
	s_waitcnt lgkmcnt(0)
	v_mov_b32_e32 v16, s13
	v_add_co_u32_e64 v6, s[6:7], s12, v6
	v_addc_co_u32_e64 v7, s[6:7], v16, v7, s[6:7]
	global_store_short v[6:7], v18, off
	s_or_b64 exec, exec, s[8:9]
	s_and_saveexec_b64 s[8:9], s[0:1]
	s_cbranch_execz .LBB138_49
.LBB138_78:
	v_add_u32_e32 v6, v5, v2
	v_mov_b32_e32 v7, 0
	v_cvt_f16_f32_e32 v18, v21
	v_lshlrev_b64 v[6:7], 1, v[6:7]
	s_waitcnt lgkmcnt(0)
	v_mov_b32_e32 v16, s13
	v_add_co_u32_e64 v6, s[6:7], s12, v6
	v_addc_co_u32_e64 v7, s[6:7], v16, v7, s[6:7]
	global_store_short v[6:7], v18, off
	s_or_b64 exec, exec, s[8:9]
	s_and_saveexec_b64 s[8:9], s[2:3]
	s_cbranch_execz .LBB138_50
.LBB138_79:
	v_add_u32_e32 v6, v5, v3
	v_mov_b32_e32 v7, 0
	v_cvt_f16_f32_e32 v18, v19
	v_lshlrev_b64 v[6:7], 1, v[6:7]
	s_waitcnt lgkmcnt(0)
	v_mov_b32_e32 v16, s13
	v_add_co_u32_e64 v6, s[6:7], s12, v6
	v_addc_co_u32_e64 v7, s[6:7], v16, v7, s[6:7]
	global_store_short v[6:7], v18, off
	s_or_b64 exec, exec, s[8:9]
	s_and_saveexec_b64 s[8:9], s[4:5]
	s_cbranch_execnz .LBB138_51
	s_branch .LBB138_52
.LBB138_80:
	v_add_u32_e32 v6, v5, v0
	v_mov_b32_e32 v7, 0
	v_cvt_f16_f32_e32 v14, v14
	v_lshlrev_b64 v[6:7], 1, v[6:7]
	s_waitcnt lgkmcnt(0)
	v_mov_b32_e32 v16, s13
	v_add_co_u32_e64 v6, s[6:7], s12, v6
	v_addc_co_u32_e64 v7, s[6:7], v16, v7, s[6:7]
	global_store_short v[6:7], v14, off
	s_or_b64 exec, exec, s[8:9]
	s_and_saveexec_b64 s[8:9], s[0:1]
	s_cbranch_execz .LBB138_55
.LBB138_81:
	v_add_u32_e32 v6, v5, v2
	v_mov_b32_e32 v7, 0
	v_cvt_f16_f32_e32 v12, v12
	v_lshlrev_b64 v[6:7], 1, v[6:7]
	s_waitcnt lgkmcnt(0)
	v_mov_b32_e32 v14, s13
	v_add_co_u32_e64 v6, s[6:7], s12, v6
	v_addc_co_u32_e64 v7, s[6:7], v14, v7, s[6:7]
	global_store_short v[6:7], v12, off
	s_or_b64 exec, exec, s[8:9]
	s_and_saveexec_b64 s[8:9], s[2:3]
	s_cbranch_execz .LBB138_56
.LBB138_82:
	v_add_u32_e32 v6, v5, v3
	v_mov_b32_e32 v7, 0
	v_cvt_f16_f32_e32 v10, v10
	v_lshlrev_b64 v[6:7], 1, v[6:7]
	s_waitcnt lgkmcnt(0)
	v_mov_b32_e32 v12, s13
	v_add_co_u32_e64 v6, s[6:7], s12, v6
	v_addc_co_u32_e64 v7, s[6:7], v12, v7, s[6:7]
	global_store_short v[6:7], v10, off
	s_or_b64 exec, exec, s[8:9]
	s_and_saveexec_b64 s[8:9], s[4:5]
	s_cbranch_execnz .LBB138_57
	s_branch .LBB138_58
.LBB138_83:
	v_add_u32_e32 v6, v1, v0
	v_mov_b32_e32 v7, 0
	v_cvt_f16_f32_e32 v5, v15
	v_lshlrev_b64 v[6:7], 1, v[6:7]
	s_waitcnt lgkmcnt(0)
	v_mov_b32_e32 v0, s13
	v_add_co_u32_e32 v6, vcc, s12, v6
	v_addc_co_u32_e32 v7, vcc, v0, v7, vcc
	global_store_short v[6:7], v5, off
	s_or_b64 exec, exec, s[6:7]
	s_and_saveexec_b64 s[6:7], s[0:1]
	s_cbranch_execz .LBB138_61
.LBB138_84:
	v_add_u32_e32 v6, v1, v2
	v_mov_b32_e32 v7, 0
	v_cvt_f16_f32_e32 v2, v13
	v_lshlrev_b64 v[6:7], 1, v[6:7]
	s_waitcnt lgkmcnt(0)
	v_mov_b32_e32 v0, s13
	v_add_co_u32_e32 v6, vcc, s12, v6
	v_addc_co_u32_e32 v7, vcc, v0, v7, vcc
	global_store_short v[6:7], v2, off
	s_or_b64 exec, exec, s[6:7]
	s_and_saveexec_b64 s[0:1], s[2:3]
	s_cbranch_execz .LBB138_62
.LBB138_85:
	v_add_u32_e32 v2, v1, v3
	v_mov_b32_e32 v3, 0
	v_cvt_f16_f32_e32 v5, v11
	v_lshlrev_b64 v[2:3], 1, v[2:3]
	s_waitcnt lgkmcnt(0)
	v_mov_b32_e32 v0, s13
	v_add_co_u32_e32 v2, vcc, s12, v2
	v_addc_co_u32_e32 v3, vcc, v0, v3, vcc
	global_store_short v[2:3], v5, off
	s_or_b64 exec, exec, s[0:1]
	s_and_b64 exec, exec, s[4:5]
	s_cbranch_execnz .LBB138_63
	s_branch .LBB138_64
	.section	.rodata,"a",@progbits
	.p2align	6, 0x0
	.amdhsa_kernel _ZL12mul_mat_q4_0IN3c104HalfELb1EEvPKvS3_PT_iiiii
		.amdhsa_group_segment_fixed_size 30336
		.amdhsa_private_segment_fixed_size 0
		.amdhsa_kernarg_size 44
		.amdhsa_user_sgpr_count 6
		.amdhsa_user_sgpr_private_segment_buffer 1
		.amdhsa_user_sgpr_dispatch_ptr 0
		.amdhsa_user_sgpr_queue_ptr 0
		.amdhsa_user_sgpr_kernarg_segment_ptr 1
		.amdhsa_user_sgpr_dispatch_id 0
		.amdhsa_user_sgpr_flat_scratch_init 0
		.amdhsa_user_sgpr_kernarg_preload_length 0
		.amdhsa_user_sgpr_kernarg_preload_offset 0
		.amdhsa_user_sgpr_private_segment_size 0
		.amdhsa_uses_dynamic_stack 0
		.amdhsa_system_sgpr_private_segment_wavefront_offset 0
		.amdhsa_system_sgpr_workgroup_id_x 1
		.amdhsa_system_sgpr_workgroup_id_y 1
		.amdhsa_system_sgpr_workgroup_id_z 0
		.amdhsa_system_sgpr_workgroup_info 0
		.amdhsa_system_vgpr_workitem_id 1
		.amdhsa_next_free_vgpr 175
		.amdhsa_next_free_sgpr 20
		.amdhsa_accum_offset 176
		.amdhsa_reserve_vcc 1
		.amdhsa_reserve_flat_scratch 0
		.amdhsa_float_round_mode_32 0
		.amdhsa_float_round_mode_16_64 0
		.amdhsa_float_denorm_mode_32 3
		.amdhsa_float_denorm_mode_16_64 3
		.amdhsa_dx10_clamp 1
		.amdhsa_ieee_mode 1
		.amdhsa_fp16_overflow 0
		.amdhsa_tg_split 0
		.amdhsa_exception_fp_ieee_invalid_op 0
		.amdhsa_exception_fp_denorm_src 0
		.amdhsa_exception_fp_ieee_div_zero 0
		.amdhsa_exception_fp_ieee_overflow 0
		.amdhsa_exception_fp_ieee_underflow 0
		.amdhsa_exception_fp_ieee_inexact 0
		.amdhsa_exception_int_div_zero 0
	.end_amdhsa_kernel
	.section	.text._ZL12mul_mat_q4_0IN3c104HalfELb1EEvPKvS3_PT_iiiii,"axG",@progbits,_ZL12mul_mat_q4_0IN3c104HalfELb1EEvPKvS3_PT_iiiii,comdat
.Lfunc_end138:
	.size	_ZL12mul_mat_q4_0IN3c104HalfELb1EEvPKvS3_PT_iiiii, .Lfunc_end138-_ZL12mul_mat_q4_0IN3c104HalfELb1EEvPKvS3_PT_iiiii
                                        ; -- End function
	.section	.AMDGPU.csdata,"",@progbits
; Kernel info:
; codeLenInByte = 10512
; NumSgprs: 24
; NumVgprs: 175
; NumAgprs: 0
; TotalNumVgprs: 175
; ScratchSize: 0
; MemoryBound: 0
; FloatMode: 240
; IeeeMode: 1
; LDSByteSize: 30336 bytes/workgroup (compile time only)
; SGPRBlocks: 2
; VGPRBlocks: 21
; NumSGPRsForWavesPerEU: 24
; NumVGPRsForWavesPerEU: 175
; AccumOffset: 176
; Occupancy: 2
; WaveLimiterHint : 0
; COMPUTE_PGM_RSRC2:SCRATCH_EN: 0
; COMPUTE_PGM_RSRC2:USER_SGPR: 6
; COMPUTE_PGM_RSRC2:TRAP_HANDLER: 0
; COMPUTE_PGM_RSRC2:TGID_X_EN: 1
; COMPUTE_PGM_RSRC2:TGID_Y_EN: 1
; COMPUTE_PGM_RSRC2:TGID_Z_EN: 0
; COMPUTE_PGM_RSRC2:TIDIG_COMP_CNT: 1
; COMPUTE_PGM_RSRC3_GFX90A:ACCUM_OFFSET: 43
; COMPUTE_PGM_RSRC3_GFX90A:TG_SPLIT: 0
	.section	.text._ZL12mul_mat_q4_1IN3c104HalfELb0EEvPKvS3_PT_iiiii,"axG",@progbits,_ZL12mul_mat_q4_1IN3c104HalfELb0EEvPKvS3_PT_iiiii,comdat
	.globl	_ZL12mul_mat_q4_1IN3c104HalfELb0EEvPKvS3_PT_iiiii ; -- Begin function _ZL12mul_mat_q4_1IN3c104HalfELb0EEvPKvS3_PT_iiiii
	.p2align	8
	.type	_ZL12mul_mat_q4_1IN3c104HalfELb0EEvPKvS3_PT_iiiii,@function
_ZL12mul_mat_q4_1IN3c104HalfELb0EEvPKvS3_PT_iiiii: ; @_ZL12mul_mat_q4_1IN3c104HalfELb0EEvPKvS3_PT_iiiii
; %bb.0:
	s_load_dword s14, s[4:5], 0x18
	s_load_dwordx4 s[8:11], s[4:5], 0x20
	s_waitcnt lgkmcnt(0)
	s_lshl_b32 s11, s7, 6
	v_bfe_u32 v61, v0, 10, 10
	s_cmp_gt_i32 s14, 31
	s_cbranch_scc1 .LBB139_2
; %bb.1:
	v_bfe_u32 v1, v0, 10, 10
	v_and_b32_e32 v60, 0x3ff, v0
	v_add_u32_e32 v65, s11, v1
	s_mov_b64 s[0:1], 0
	s_mov_b32 s2, 0
	s_branch .LBB139_3
.LBB139_2:
	s_mov_b64 s[0:1], -1
                                        ; implicit-def: $sgpr2
                                        ; implicit-def: $vgpr1
                                        ; implicit-def: $vgpr60
                                        ; implicit-def: $vgpr65
.LBB139_3:
	s_load_dwordx2 s[12:13], s[4:5], 0x10
	s_lshl_b32 s6, s6, 7
	s_andn2_b64 vcc, exec, s[0:1]
	v_mov_b32_e32 v9, s2
	v_mov_b32_e32 v17, s2
	;; [unrolled: 1-line block ×32, first 2 shown]
	s_cbranch_vccnz .LBB139_13
; %bb.4:
	s_load_dwordx4 s[0:3], s[4:5], 0x0
	s_ashr_i32 s4, s14, 31
	s_lshr_b32 s4, s4, 27
	s_ashr_i32 s5, s9, 31
	s_add_i32 s7, s14, s4
	s_lshr_b32 s5, s5, 27
	s_ashr_i32 s4, s7, 5
	s_add_i32 s5, s9, s5
	s_ashr_i32 s9, s5, 5
	s_mul_i32 s5, s4, s6
	s_mul_hi_i32 s14, s5, 20
	s_mul_i32 s5, s5, 20
	s_waitcnt lgkmcnt(0)
	s_add_u32 s0, s0, s5
	s_addc_u32 s1, s1, s14
	v_mul_lo_u32 v12, s4, v61
	s_lshl_b32 s14, s4, 3
	v_add_u32_e32 v14, s14, v12
	v_add_u32_e32 v16, s14, v14
	v_add_u32_e32 v18, s14, v16
	v_add_u32_e32 v20, s14, v18
	v_add_u32_e32 v22, s14, v20
	v_add_u32_e32 v24, s14, v22
	v_add_u32_e32 v26, s14, v24
	v_add_u32_e32 v28, s14, v26
	v_add_u32_e32 v30, s14, v28
	v_add_u32_e32 v32, s14, v30
	v_add_u32_e32 v34, s14, v32
	v_and_b32_e32 v60, 0x3ff, v0
	v_add_u32_e32 v36, s14, v34
	v_add_u32_e32 v38, s14, v36
	v_lshrrev_b32_e32 v87, 3, v60
	v_add_u32_e32 v40, s14, v38
	v_and_b32_e32 v44, 7, v60
	v_lshl_add_u32 v0, v61, 2, v87
	v_add_u32_e32 v42, s14, v40
	v_and_b32_e32 v1, 0x7fc, v0
	v_lshlrev_b32_e32 v3, 2, v44
	s_movk_i32 s14, 0x6200
	v_add3_u32 v4, v1, v3, s14
	v_add_u32_e32 v1, 32, v0
	v_lshlrev_b32_e32 v2, 2, v60
	s_movk_i32 s16, 0x84
	v_mul_lo_u32 v46, s4, v0
	v_lshlrev_b32_e32 v5, 5, v0
	v_and_b32_e32 v6, 0xffc, v1
	v_lshlrev_b32_e32 v7, 5, v1
	v_add_u32_e32 v1, 64, v0
	v_add_u32_e32 v0, 0x60, v0
	v_lshrrev_b32_e32 v8, 2, v60
	v_and_b32_e32 v10, 12, v2
	v_mad_u32_u24 v69, v61, s16, v2
	s_andn2_b32 s7, s7, 31
	v_and_b32_e32 v9, 0xffc, v1
	v_lshlrev_b32_e32 v11, 5, v1
	v_and_b32_e32 v1, 0xffc, v0
	v_and_b32_e32 v2, 28, v2
	v_add_u32_e32 v48, s7, v46
	v_add3_u32 v6, v6, v3, s14
	v_add3_u32 v9, v9, v3, s14
	;; [unrolled: 1-line block ×3, first 2 shown]
	v_mov_b32_e32 v3, s3
	v_add_co_u32_e32 v54, vcc, s2, v2
	v_lshl_add_u32 v2, v61, 3, v8
	v_add_u32_e32 v50, s7, v48
	v_addc_co_u32_e32 v55, vcc, 0, v3, vcc
	v_and_b32_e32 v3, 63, v2
	v_add_u32_e32 v52, s7, v50
	s_add_i32 s7, s8, -1
	v_or_b32_e32 v19, s11, v3
	v_and_b32_e32 v2, 3, v60
	v_min_i32_e32 v19, s7, v19
	v_mad_u64_u32 v[56:57], s[14:15], v19, s9, v[2:3]
	v_lshlrev_b32_e32 v2, 2, v2
	v_add_u32_e32 v65, s11, v61
	v_lshl_or_b32 v2, v3, 4, v2
	v_lshlrev_b32_e32 v15, 5, v0
	v_cvt_f64_i32_e32 v[0:1], s7
	v_add_u32_e32 v88, 0x7280, v2
	v_cvt_f64_u32_e32 v[2:3], v65
	v_min_f64 v[2:3], v[2:3], v[0:1]
	v_cvt_i32_f64_e32 v2, v[2:3]
	v_mul_lo_u32 v89, s9, v2
	v_add_u32_e32 v2, 8, v65
	v_cvt_f64_u32_e32 v[2:3], v2
	v_min_f64 v[2:3], v[2:3], v[0:1]
	v_cvt_i32_f64_e32 v2, v[2:3]
	v_mul_lo_u32 v91, s9, v2
	;; [unrolled: 5-line block ×7, first 2 shown]
	v_add_u32_e32 v2, 56, v65
	v_cvt_f64_u32_e32 v[2:3], v2
	v_min_f64 v[0:1], v[2:3], v[0:1]
	v_and_b32_e32 v17, 31, v60
	v_lshlrev_b32_e32 v19, 7, v61
	v_cvt_i32_f64_e32 v0, v[0:1]
	v_lshl_or_b32 v17, v17, 2, v19
	v_mul_lo_u32 v103, s9, v0
	v_add_u32_e32 v0, 32, v60
	v_add_u32_e32 v1, 64, v60
	v_add_u32_e32 v2, 0x60, v60
	v_add_u32_e32 v90, 0x4200, v17
	v_add_u32_e32 v92, 0x4600, v17
	v_add_u32_e32 v94, 0x4a00, v17
	v_add_u32_e32 v96, 0x4e00, v17
	v_add_u32_e32 v98, 0x5200, v17
	v_add_u32_e32 v100, 0x5600, v17
	v_add_u32_e32 v102, 0x5a00, v17
	v_add_u32_e32 v104, 0x5e00, v17
	v_lshlrev_b32_e32 v3, 5, v60
	v_lshrrev_b32_e32 v106, 3, v0
	v_and_b32_e32 v2, 0x1fc, v2
	v_and_b32_e32 v1, 0x1fc, v1
	v_and_b32_e32 v0, 0x1fc, v0
	v_and_b32_e32 v17, 0xfc, v60
	v_add_u32_e32 v2, v3, v2
	v_add_u32_e32 v1, v3, v1
	;; [unrolled: 1-line block ×4, first 2 shown]
	v_mov_b32_e32 v17, 0x7280
	s_mov_b32 s5, 0
	v_mov_b32_e32 v62, 0
	v_add_u32_e32 v70, 0x420, v69
	v_add_u32_e32 v71, 0x840, v69
	;; [unrolled: 1-line block ×15, first 2 shown]
	v_mul_u32_u24_e32 v105, 0x84, v60
	v_add_u32_e32 v107, 0x6e00, v2
	v_add_u32_e32 v108, 0x6a00, v1
	;; [unrolled: 1-line block ×5, first 2 shown]
	v_lshl_add_u32 v112, v61, 4, v17
	v_add_u32_e32 v113, 0x6e10, v2
	v_add_u32_e32 v114, 0x6a10, v1
	;; [unrolled: 1-line block ×4, first 2 shown]
	v_mad_u32_u24 v117, v60, s16, 64
	v_add_u32_e32 v118, v4, v5
	v_add_u32_e32 v119, v6, v7
	;; [unrolled: 1-line block ×4, first 2 shown]
	v_mov_b32_e32 v67, 0
	v_mov_b32_e32 v57, 0
	v_mov_b32_e32 v47, 0
	v_mov_b32_e32 v39, 0
	v_mov_b32_e32 v31, 0
	v_mov_b32_e32 v23, 0
	v_mov_b32_e32 v15, 0
	v_mov_b32_e32 v85, 0
	v_mov_b32_e32 v66, 0
	v_mov_b32_e32 v53, 0
	v_mov_b32_e32 v45, 0
	v_mov_b32_e32 v37, 0
	v_mov_b32_e32 v29, 0
	v_mov_b32_e32 v21, 0
	v_mov_b32_e32 v13, 0
	v_mov_b32_e32 v76, 0
	v_mov_b32_e32 v64, 0
	v_mov_b32_e32 v51, 0
	v_mov_b32_e32 v43, 0
	v_mov_b32_e32 v35, 0
	v_mov_b32_e32 v27, 0
	v_mov_b32_e32 v19, 0
	v_mov_b32_e32 v11, 0
	v_mov_b32_e32 v68, 0
	v_mov_b32_e32 v63, 0
	v_mov_b32_e32 v49, 0
	v_mov_b32_e32 v41, 0
	v_mov_b32_e32 v33, 0
	v_mov_b32_e32 v25, 0
	v_mov_b32_e32 v17, 0
	v_mov_b32_e32 v9, 0
	s_branch .LBB139_6
.LBB139_5:                              ;   in Loop: Header=BB139_6 Depth=1
	s_add_i32 s5, s5, 8
	s_cmp_ge_i32 s5, s4
	s_cbranch_scc1 .LBB139_12
.LBB139_6:                              ; =>This Loop Header: Depth=1
                                        ;     Child Loop BB139_7 Depth 2
                                        ;     Child Loop BB139_10 Depth 2
	s_mul_i32 s9, s5, 20
	s_mul_hi_u32 s7, s5, 20
	s_add_u32 s14, s0, s9
	s_addc_u32 s15, s1, s7
	v_mad_u64_u32 v[0:1], s[16:17], v8, 20, s[14:15]
	v_add_co_u32_e32 v0, vcc, v0, v10
	v_addc_co_u32_e32 v1, vcc, 0, v1, vcc
	v_add_co_u32_e32 v0, vcc, 4, v0
	v_addc_co_u32_e32 v1, vcc, 0, v1, vcc
	v_mad_u64_u32 v[2:3], s[16:17], v12, 20, v[0:1]
	v_mad_u64_u32 v[4:5], s[16:17], v14, 20, v[0:1]
	;; [unrolled: 1-line block ×8, first 2 shown]
	global_load_dword v130, v[2:3], off
	global_load_dword v131, v[4:5], off
	;; [unrolled: 1-line block ×6, first 2 shown]
                                        ; kill: killed $vgpr124_vgpr125
                                        ; kill: killed $vgpr122_vgpr123
	global_load_dword v136, v[126:127], off
	global_load_dword v137, v[128:129], off
	v_mad_u64_u32 v[2:3], s[16:17], v28, 20, v[0:1]
	v_mad_u64_u32 v[4:5], s[16:17], v30, 20, v[0:1]
	v_mad_u64_u32 v[6:7], s[16:17], v32, 20, v[0:1]
	v_mad_u64_u32 v[58:59], s[16:17], v34, 20, v[0:1]
	v_mad_u64_u32 v[122:123], s[16:17], v36, 20, v[0:1]
	v_mad_u64_u32 v[124:125], s[16:17], v38, 20, v[0:1]
	v_mad_u64_u32 v[126:127], s[16:17], v40, 20, v[0:1]
	v_mad_u64_u32 v[0:1], s[16:17], v42, 20, v[0:1]
	global_load_dword v138, v[2:3], off
	global_load_dword v139, v[4:5], off
	;; [unrolled: 1-line block ×4, first 2 shown]
	s_nop 0
	global_load_dword v123, v[122:123], off
	s_nop 0
	global_load_dword v142, v[124:125], off
	global_load_dword v143, v[126:127], off
	;; [unrolled: 1-line block ×3, first 2 shown]
	v_mad_u64_u32 v[0:1], s[14:15], v44, 20, s[14:15]
	v_mad_u64_u32 v[2:3], s[14:15], v46, 20, v[0:1]
	;; [unrolled: 1-line block ×5, first 2 shown]
	v_add_u32_e32 v128, s5, v87
	global_load_dword v145, v[2:3], off
	global_load_dword v146, v[4:5], off
	;; [unrolled: 1-line block ×4, first 2 shown]
	v_add_u32_e32 v0, v128, v89
	v_add_u32_e32 v2, v128, v91
	;; [unrolled: 1-line block ×5, first 2 shown]
	v_mad_i64_i32 v[0:1], s[14:15], v0, 36, v[54:55]
	v_mad_i64_i32 v[2:3], s[14:15], v2, 36, v[54:55]
	;; [unrolled: 1-line block ×5, first 2 shown]
	v_add_u32_e32 v124, v128, v99
	v_add_u32_e32 v126, v128, v101
	;; [unrolled: 1-line block ×3, first 2 shown]
	v_mad_i64_i32 v[124:125], s[14:15], v124, 36, v[54:55]
	v_mad_i64_i32 v[126:127], s[14:15], v126, 36, v[54:55]
	;; [unrolled: 1-line block ×3, first 2 shown]
	global_load_dword v149, v[0:1], off offset:4
	s_nop 0
	global_load_dword v2, v[2:3], off offset:4
	s_nop 0
	;; [unrolled: 2-line block ×3, first 2 shown]
	global_load_dword v4, v[6:7], off offset:4
	global_load_dword v5, v[58:59], off offset:4
	s_nop 0
	global_load_dword v6, v[124:125], off offset:4
	global_load_dword v7, v[126:127], off offset:4
	;; [unrolled: 1-line block ×3, first 2 shown]
	v_add_u32_e32 v122, s5, v56
	v_mad_u64_u32 v[0:1], s[14:15], v122, 36, s[2:3]
	global_load_dword v0, v[0:1], off
	s_mov_b32 s7, -4
	v_mov_b32_e32 v124, v111
	v_mov_b32_e32 v125, v105
	;; [unrolled: 1-line block ×4, first 2 shown]
	s_waitcnt vmcnt(28)
	ds_write_b32 v69, v130
	s_waitcnt vmcnt(27)
	ds_write_b32 v70, v131
	;; [unrolled: 2-line block ×29, first 2 shown]
	v_mov_b32_e32 v123, v112
	v_mov_b32_e32 v128, v108
	;; [unrolled: 1-line block ×3, first 2 shown]
	s_waitcnt lgkmcnt(0)
	s_barrier
.LBB139_7:                              ;   Parent Loop BB139_6 Depth=1
                                        ; =>  This Inner Loop Header: Depth=2
	ds_read_b128 v[0:3], v124
	ds_read_b128 v[4:7], v124 offset:16
	ds_read2_b32 v[58:59], v123 offset1:32
	ds_read_b32 v130, v126
	ds_read2_b32 v[134:135], v125 offset1:1
	ds_read2_b32 v[138:139], v125 offset0:2 offset1:3
	v_mov_b32_e32 v140, 0
	v_add_u32_e32 v144, 0x1088, v125
	v_mov_b32_e32 v146, 0
	s_waitcnt lgkmcnt(1)
	v_and_b32_e32 v131, 0xf0f0f0f, v134
	v_lshrrev_b32_e32 v132, 4, v134
	v_and_b32_e32 v132, 0xf0f0f0f, v132
	v_dot4c_i32_i8_e32 v140, v131, v0
	v_dot4c_i32_i8_e32 v140, v132, v4
	v_and_b32_e32 v133, 0xf0f0f0f, v135
	v_lshrrev_b32_e32 v134, 4, v135
	v_and_b32_e32 v134, 0xf0f0f0f, v134
	v_dot4c_i32_i8_e32 v140, v133, v1
	v_dot4c_i32_i8_e32 v140, v134, v5
	s_waitcnt lgkmcnt(0)
	v_and_b32_e32 v135, 0xf0f0f0f, v138
	v_lshrrev_b32_e32 v136, 4, v138
	v_and_b32_e32 v136, 0xf0f0f0f, v136
	v_dot4c_i32_i8_e32 v140, v135, v2
	v_dot4c_i32_i8_e32 v140, v136, v6
	v_and_b32_e32 v137, 0xf0f0f0f, v139
	v_lshrrev_b32_e32 v138, 4, v139
	v_and_b32_e32 v138, 0xf0f0f0f, v138
	v_dot4c_i32_i8_e32 v140, v137, v3
	v_dot4c_i32_i8_e32 v140, v138, v7
	v_pk_mul_f16 v139, v58, v130
	v_mov_b32_e32 v158, 0
	v_mov_b32_e32 v162, 0
	v_cvt_f32_i32_e32 v140, v140
	s_add_i32 s7, s7, 4
	v_add_u32_e32 v126, 4, v126
	s_cmp_lt_u32 s7, 12
	v_fma_mix_f32 v139, v139, v140, v139 op_sel:[0,0,1] op_sel_hi:[1,0,1]
	v_add_f32_e32 v62, v62, v139
	v_add_u32_e32 v140, 0x1080, v125
	ds_read_b32 v139, v127
	ds_read2_b32 v[142:143], v140 offset1:1
	ds_read2_b32 v[148:149], v144 offset1:1
	v_add_u32_e32 v127, 4, v127
	s_waitcnt lgkmcnt(1)
	v_and_b32_e32 v140, 0xf0f0f0f, v142
	v_lshrrev_b32_e32 v141, 4, v142
	v_and_b32_e32 v141, 0xf0f0f0f, v141
	v_dot4c_i32_i8_e32 v146, v140, v0
	v_dot4c_i32_i8_e32 v146, v141, v4
	v_and_b32_e32 v142, 0xf0f0f0f, v143
	v_lshrrev_b32_e32 v143, 4, v143
	v_and_b32_e32 v143, 0xf0f0f0f, v143
	v_dot4c_i32_i8_e32 v146, v142, v1
	v_dot4c_i32_i8_e32 v146, v143, v5
	s_waitcnt lgkmcnt(0)
	v_and_b32_e32 v144, 0xf0f0f0f, v148
	v_lshrrev_b32_e32 v145, 4, v148
	v_and_b32_e32 v145, 0xf0f0f0f, v145
	v_dot4c_i32_i8_e32 v146, v144, v2
	v_dot4c_i32_i8_e32 v146, v145, v6
	v_and_b32_e32 v147, 0xf0f0f0f, v149
	v_lshrrev_b32_e32 v148, 4, v149
	v_and_b32_e32 v148, 0xf0f0f0f, v148
	v_dot4c_i32_i8_e32 v146, v147, v3
	v_dot4c_i32_i8_e32 v146, v148, v7
	v_pk_mul_f16 v149, v58, v139
	s_nop 1
	v_cvt_f32_i32_e32 v146, v146
	v_fma_mix_f32 v146, v149, v146, v149 op_sel:[0,0,1] op_sel_hi:[1,0,1]
	v_add_f32_e32 v85, v85, v146
	v_add_u32_e32 v149, 0x2100, v125
	ds_read_b32 v146, v128
	ds_read2_b32 v[152:153], v149 offset1:1
	v_add_u32_e32 v128, 4, v128
	s_waitcnt lgkmcnt(0)
	v_and_b32_e32 v149, 0xf0f0f0f, v152
	v_lshrrev_b32_e32 v150, 4, v152
	v_and_b32_e32 v151, 0xf0f0f0f, v153
	v_lshrrev_b32_e32 v152, 4, v153
	v_add_u32_e32 v153, 0x2108, v125
	ds_read2_b32 v[154:155], v153 offset1:1
	v_and_b32_e32 v150, 0xf0f0f0f, v150
	v_dot4c_i32_i8_e32 v158, v149, v0
	v_dot4c_i32_i8_e32 v158, v150, v4
	v_and_b32_e32 v152, 0xf0f0f0f, v152
	v_dot4c_i32_i8_e32 v158, v151, v1
	v_dot4c_i32_i8_e32 v158, v152, v5
	s_waitcnt lgkmcnt(0)
	v_and_b32_e32 v153, 0xf0f0f0f, v154
	v_lshrrev_b32_e32 v154, 4, v154
	v_and_b32_e32 v154, 0xf0f0f0f, v154
	v_dot4c_i32_i8_e32 v158, v153, v2
	v_dot4c_i32_i8_e32 v158, v154, v6
	v_and_b32_e32 v156, 0xf0f0f0f, v155
	v_lshrrev_b32_e32 v155, 4, v155
	v_and_b32_e32 v157, 0xf0f0f0f, v155
	v_dot4c_i32_i8_e32 v158, v156, v3
	v_dot4c_i32_i8_e32 v158, v157, v7
	v_pk_mul_f16 v155, v58, v146
	s_nop 1
	v_cvt_f32_i32_e32 v158, v158
	v_fma_mix_f32 v155, v155, v158, v155 op_sel:[0,0,1] op_sel_hi:[1,0,1]
	v_add_f32_e32 v76, v76, v155
	v_add_u32_e32 v158, 0x3180, v125
	ds_read_b32 v155, v129
	ds_read2_b32 v[160:161], v158 offset1:1
	v_add_u32_e32 v129, 4, v129
	s_waitcnt lgkmcnt(0)
	v_and_b32_e32 v158, 0xf0f0f0f, v160
	v_lshrrev_b32_e32 v159, 4, v160
	v_and_b32_e32 v159, 0xf0f0f0f, v159
	v_dot4c_i32_i8_e32 v162, v158, v0
	v_lshrrev_b32_e32 v0, 4, v161
	v_dot4c_i32_i8_e32 v162, v159, v4
	v_and_b32_e32 v4, 0xf0f0f0f, v161
	v_and_b32_e32 v160, 0xf0f0f0f, v0
	v_add_u32_e32 v0, 0x3188, v125
	v_dot4c_i32_i8_e32 v162, v4, v1
	ds_read2_b32 v[0:1], v0 offset1:1
	v_dot4c_i32_i8_e32 v162, v160, v5
	v_add_u32_e32 v125, 16, v125
	s_waitcnt lgkmcnt(0)
	v_and_b32_e32 v5, 0xf0f0f0f, v0
	v_lshrrev_b32_e32 v0, 4, v0
	v_and_b32_e32 v161, 0xf0f0f0f, v0
	v_dot4c_i32_i8_e32 v162, v5, v2
	v_dot4c_i32_i8_e32 v162, v161, v6
	v_and_b32_e32 v2, 0xf0f0f0f, v1
	v_lshrrev_b32_e32 v0, 4, v1
	v_and_b32_e32 v6, 0xf0f0f0f, v0
	v_dot4c_i32_i8_e32 v162, v2, v3
	v_dot4c_i32_i8_e32 v162, v6, v7
	v_pk_mul_f16 v0, v58, v155
	v_mov_b32_e32 v3, 0
	s_nop 0
	v_cvt_f32_i32_e32 v1, v162
	ds_read_b128 v[162:165], v124 offset:1024
	ds_read_b128 v[166:169], v124 offset:1040
	v_fma_mix_f32 v0, v0, v1, v0 op_sel:[0,0,1] op_sel_hi:[1,0,1]
	v_add_f32_e32 v68, v68, v0
	v_mov_b32_e32 v0, 0
	s_waitcnt lgkmcnt(1)
	v_dot4c_i32_i8_e32 v0, v131, v162
	s_waitcnt lgkmcnt(0)
	v_dot4c_i32_i8_e32 v0, v132, v166
	v_dot4c_i32_i8_e32 v0, v133, v163
	v_dot4c_i32_i8_e32 v0, v134, v167
	v_dot4c_i32_i8_e32 v0, v135, v164
	v_dot4c_i32_i8_e32 v0, v136, v168
	v_dot4c_i32_i8_e32 v0, v137, v165
	v_dot4c_i32_i8_e32 v0, v138, v169
	v_pk_mul_f16 v1, v130, v59
	s_nop 1
	v_cvt_f32_i32_e32 v0, v0
	v_fma_mix_f32 v0, v0, v1, v1 op_sel:[0,0,1] op_sel_hi:[0,1,1]
	v_add_f32_e32 v67, v67, v0
	v_mov_b32_e32 v0, 0
	v_dot4c_i32_i8_e32 v0, v140, v162
	v_dot4c_i32_i8_e32 v0, v141, v166
	v_dot4c_i32_i8_e32 v0, v142, v163
	v_dot4c_i32_i8_e32 v0, v143, v167
	v_dot4c_i32_i8_e32 v0, v144, v164
	v_dot4c_i32_i8_e32 v0, v145, v168
	v_dot4c_i32_i8_e32 v0, v147, v165
	v_dot4c_i32_i8_e32 v0, v148, v169
	v_pk_mul_f16 v1, v139, v59
	s_nop 1
	v_cvt_f32_i32_e32 v0, v0
	v_fma_mix_f32 v0, v0, v1, v1 op_sel:[0,0,1] op_sel_hi:[0,1,1]
	v_add_f32_e32 v66, v66, v0
	v_mov_b32_e32 v0, 0
	v_dot4c_i32_i8_e32 v0, v149, v162
	;; [unrolled: 14-line block ×3, first 2 shown]
	v_dot4c_i32_i8_e32 v0, v159, v166
	v_dot4c_i32_i8_e32 v0, v4, v163
	;; [unrolled: 1-line block ×7, first 2 shown]
	v_pk_mul_f16 v1, v155, v59
	s_nop 1
	v_cvt_f32_i32_e32 v0, v0
	v_fma_mix_f32 v0, v0, v1, v1 op_sel:[0,0,1] op_sel_hi:[0,1,1]
	v_add_f32_e32 v63, v63, v0
	ds_read_b128 v[162:165], v124 offset:2048
	ds_read_b128 v[166:169], v124 offset:2064
	ds_read2_b32 v[0:1], v123 offset0:64 offset1:96
	s_waitcnt lgkmcnt(2)
	v_dot4c_i32_i8_e32 v3, v131, v162
	s_waitcnt lgkmcnt(1)
	v_dot4c_i32_i8_e32 v3, v132, v166
	v_dot4c_i32_i8_e32 v3, v133, v163
	;; [unrolled: 1-line block ×7, first 2 shown]
	s_waitcnt lgkmcnt(0)
	v_pk_mul_f16 v7, v130, v0
	s_nop 0
	v_cvt_f32_i32_e32 v3, v3
	v_fma_mix_f32 v3, v3, v7, v7 op_sel:[0,0,1] op_sel_hi:[0,1,1]
	v_add_f32_e32 v57, v57, v3
	v_mov_b32_e32 v3, 0
	v_dot4c_i32_i8_e32 v3, v140, v162
	v_dot4c_i32_i8_e32 v3, v141, v166
	;; [unrolled: 1-line block ×8, first 2 shown]
	v_pk_mul_f16 v7, v139, v0
	s_nop 1
	v_cvt_f32_i32_e32 v3, v3
	v_fma_mix_f32 v3, v3, v7, v7 op_sel:[0,0,1] op_sel_hi:[0,1,1]
	v_add_f32_e32 v53, v53, v3
	v_mov_b32_e32 v3, 0
	v_dot4c_i32_i8_e32 v3, v149, v162
	v_dot4c_i32_i8_e32 v3, v150, v166
	;; [unrolled: 1-line block ×8, first 2 shown]
	v_pk_mul_f16 v7, v146, v0
	v_pk_mul_f16 v0, v155, v0
	s_nop 0
	v_cvt_f32_i32_e32 v3, v3
	v_fma_mix_f32 v3, v3, v7, v7 op_sel:[0,0,1] op_sel_hi:[0,1,1]
	v_add_f32_e32 v51, v51, v3
	v_mov_b32_e32 v3, 0
	v_dot4c_i32_i8_e32 v3, v158, v162
	v_dot4c_i32_i8_e32 v3, v159, v166
	;; [unrolled: 1-line block ×8, first 2 shown]
	ds_read_b128 v[162:165], v124 offset:3072
	ds_read_b128 v[166:169], v124 offset:3088
	s_nop 0
	v_cvt_f32_i32_e32 v3, v3
	v_fma_mix_f32 v0, v3, v0, v0 op_sel:[0,0,1] op_sel_hi:[0,1,1]
	v_add_f32_e32 v49, v49, v0
	v_mov_b32_e32 v0, 0
	s_waitcnt lgkmcnt(1)
	v_dot4c_i32_i8_e32 v0, v131, v162
	s_waitcnt lgkmcnt(0)
	v_dot4c_i32_i8_e32 v0, v132, v166
	v_dot4c_i32_i8_e32 v0, v133, v163
	;; [unrolled: 1-line block ×7, first 2 shown]
	v_pk_mul_f16 v3, v130, v1
	s_nop 1
	v_cvt_f32_i32_e32 v0, v0
	v_fma_mix_f32 v0, v0, v3, v3 op_sel:[0,0,1] op_sel_hi:[0,1,1]
	v_add_f32_e32 v47, v47, v0
	v_mov_b32_e32 v0, 0
	v_dot4c_i32_i8_e32 v0, v140, v162
	v_dot4c_i32_i8_e32 v0, v141, v166
	;; [unrolled: 1-line block ×8, first 2 shown]
	v_pk_mul_f16 v3, v139, v1
	s_nop 1
	v_cvt_f32_i32_e32 v0, v0
	v_fma_mix_f32 v0, v0, v3, v3 op_sel:[0,0,1] op_sel_hi:[0,1,1]
	v_add_f32_e32 v45, v45, v0
	v_mov_b32_e32 v0, 0
	v_dot4c_i32_i8_e32 v0, v149, v162
	v_dot4c_i32_i8_e32 v0, v150, v166
	;; [unrolled: 1-line block ×8, first 2 shown]
	v_pk_mul_f16 v3, v146, v1
	v_pk_mul_f16 v1, v155, v1
	s_nop 0
	v_cvt_f32_i32_e32 v0, v0
	v_fma_mix_f32 v0, v0, v3, v3 op_sel:[0,0,1] op_sel_hi:[0,1,1]
	v_add_f32_e32 v43, v43, v0
	v_mov_b32_e32 v0, 0
	v_dot4c_i32_i8_e32 v0, v158, v162
	v_dot4c_i32_i8_e32 v0, v159, v166
	;; [unrolled: 1-line block ×8, first 2 shown]
	v_mov_b32_e32 v3, 0
	s_nop 1
	v_cvt_f32_i32_e32 v0, v0
	v_fma_mix_f32 v0, v0, v1, v1 op_sel:[0,0,1] op_sel_hi:[0,1,1]
	v_add_f32_e32 v41, v41, v0
	ds_read_b128 v[162:165], v124 offset:4096
	ds_read_b128 v[166:169], v124 offset:4112
	ds_read2_b32 v[0:1], v123 offset0:128 offset1:160
	s_waitcnt lgkmcnt(2)
	v_dot4c_i32_i8_e32 v3, v131, v162
	s_waitcnt lgkmcnt(1)
	v_dot4c_i32_i8_e32 v3, v132, v166
	v_dot4c_i32_i8_e32 v3, v133, v163
	;; [unrolled: 1-line block ×7, first 2 shown]
	s_waitcnt lgkmcnt(0)
	v_pk_mul_f16 v7, v130, v0
	s_nop 0
	v_cvt_f32_i32_e32 v3, v3
	v_fma_mix_f32 v3, v3, v7, v7 op_sel:[0,0,1] op_sel_hi:[0,1,1]
	v_add_f32_e32 v39, v39, v3
	v_mov_b32_e32 v3, 0
	v_dot4c_i32_i8_e32 v3, v140, v162
	v_dot4c_i32_i8_e32 v3, v141, v166
	;; [unrolled: 1-line block ×8, first 2 shown]
	v_pk_mul_f16 v7, v139, v0
	s_nop 1
	v_cvt_f32_i32_e32 v3, v3
	v_fma_mix_f32 v3, v3, v7, v7 op_sel:[0,0,1] op_sel_hi:[0,1,1]
	v_add_f32_e32 v37, v37, v3
	v_mov_b32_e32 v3, 0
	v_dot4c_i32_i8_e32 v3, v149, v162
	v_dot4c_i32_i8_e32 v3, v150, v166
	;; [unrolled: 1-line block ×8, first 2 shown]
	v_pk_mul_f16 v7, v146, v0
	v_pk_mul_f16 v0, v155, v0
	s_nop 0
	v_cvt_f32_i32_e32 v3, v3
	v_fma_mix_f32 v3, v3, v7, v7 op_sel:[0,0,1] op_sel_hi:[0,1,1]
	v_add_f32_e32 v35, v35, v3
	v_mov_b32_e32 v3, 0
	v_dot4c_i32_i8_e32 v3, v158, v162
	v_dot4c_i32_i8_e32 v3, v159, v166
	;; [unrolled: 1-line block ×8, first 2 shown]
	ds_read_b128 v[162:165], v124 offset:5120
	ds_read_b128 v[166:169], v124 offset:5136
	s_nop 0
	v_cvt_f32_i32_e32 v3, v3
	v_fma_mix_f32 v0, v3, v0, v0 op_sel:[0,0,1] op_sel_hi:[0,1,1]
	v_add_f32_e32 v33, v33, v0
	v_mov_b32_e32 v0, 0
	s_waitcnt lgkmcnt(1)
	v_dot4c_i32_i8_e32 v0, v131, v162
	s_waitcnt lgkmcnt(0)
	v_dot4c_i32_i8_e32 v0, v132, v166
	v_dot4c_i32_i8_e32 v0, v133, v163
	;; [unrolled: 1-line block ×7, first 2 shown]
	v_pk_mul_f16 v3, v130, v1
	s_nop 1
	v_cvt_f32_i32_e32 v0, v0
	v_fma_mix_f32 v0, v0, v3, v3 op_sel:[0,0,1] op_sel_hi:[0,1,1]
	v_add_f32_e32 v31, v31, v0
	v_mov_b32_e32 v0, 0
	v_dot4c_i32_i8_e32 v0, v140, v162
	v_dot4c_i32_i8_e32 v0, v141, v166
	;; [unrolled: 1-line block ×8, first 2 shown]
	v_pk_mul_f16 v3, v139, v1
	s_nop 1
	v_cvt_f32_i32_e32 v0, v0
	v_fma_mix_f32 v0, v0, v3, v3 op_sel:[0,0,1] op_sel_hi:[0,1,1]
	v_add_f32_e32 v29, v29, v0
	v_mov_b32_e32 v0, 0
	v_dot4c_i32_i8_e32 v0, v149, v162
	v_dot4c_i32_i8_e32 v0, v150, v166
	;; [unrolled: 1-line block ×8, first 2 shown]
	v_pk_mul_f16 v3, v146, v1
	v_pk_mul_f16 v1, v155, v1
	s_nop 0
	v_cvt_f32_i32_e32 v0, v0
	v_fma_mix_f32 v0, v0, v3, v3 op_sel:[0,0,1] op_sel_hi:[0,1,1]
	v_add_f32_e32 v27, v27, v0
	v_mov_b32_e32 v0, 0
	v_dot4c_i32_i8_e32 v0, v158, v162
	v_dot4c_i32_i8_e32 v0, v159, v166
	;; [unrolled: 1-line block ×8, first 2 shown]
	v_mov_b32_e32 v3, 0
	s_nop 1
	v_cvt_f32_i32_e32 v0, v0
	v_fma_mix_f32 v0, v0, v1, v1 op_sel:[0,0,1] op_sel_hi:[0,1,1]
	v_add_f32_e32 v25, v25, v0
	ds_read_b128 v[162:165], v124 offset:6144
	ds_read_b128 v[166:169], v124 offset:6160
	ds_read2_b32 v[0:1], v123 offset0:192 offset1:224
	v_add_u32_e32 v123, 4, v123
	s_waitcnt lgkmcnt(2)
	v_dot4c_i32_i8_e32 v3, v131, v162
	s_waitcnt lgkmcnt(1)
	v_dot4c_i32_i8_e32 v3, v132, v166
	v_dot4c_i32_i8_e32 v3, v133, v163
	;; [unrolled: 1-line block ×7, first 2 shown]
	s_waitcnt lgkmcnt(0)
	v_pk_mul_f16 v7, v130, v0
	s_nop 0
	v_cvt_f32_i32_e32 v3, v3
	v_fma_mix_f32 v3, v3, v7, v7 op_sel:[0,0,1] op_sel_hi:[0,1,1]
	v_add_f32_e32 v23, v23, v3
	v_mov_b32_e32 v3, 0
	v_dot4c_i32_i8_e32 v3, v140, v162
	v_dot4c_i32_i8_e32 v3, v141, v166
	;; [unrolled: 1-line block ×8, first 2 shown]
	v_pk_mul_f16 v7, v139, v0
	s_nop 1
	v_cvt_f32_i32_e32 v3, v3
	v_fma_mix_f32 v3, v3, v7, v7 op_sel:[0,0,1] op_sel_hi:[0,1,1]
	v_add_f32_e32 v21, v21, v3
	v_mov_b32_e32 v3, 0
	v_dot4c_i32_i8_e32 v3, v149, v162
	v_dot4c_i32_i8_e32 v3, v150, v166
	v_dot4c_i32_i8_e32 v3, v151, v163
	v_dot4c_i32_i8_e32 v3, v152, v167
	v_dot4c_i32_i8_e32 v3, v153, v164
	v_dot4c_i32_i8_e32 v3, v154, v168
	v_dot4c_i32_i8_e32 v3, v156, v165
	v_dot4c_i32_i8_e32 v3, v157, v169
	v_pk_mul_f16 v7, v146, v0
	v_pk_mul_f16 v0, v155, v0
	s_nop 0
	v_cvt_f32_i32_e32 v3, v3
	v_fma_mix_f32 v3, v3, v7, v7 op_sel:[0,0,1] op_sel_hi:[0,1,1]
	v_add_f32_e32 v19, v19, v3
	v_mov_b32_e32 v3, 0
	v_dot4c_i32_i8_e32 v3, v158, v162
	v_dot4c_i32_i8_e32 v3, v159, v166
	;; [unrolled: 1-line block ×8, first 2 shown]
	ds_read_b128 v[162:165], v124 offset:7168
	ds_read_b128 v[166:169], v124 offset:7184
	v_add_u32_e32 v124, 32, v124
	v_cvt_f32_i32_e32 v3, v3
	v_fma_mix_f32 v0, v3, v0, v0 op_sel:[0,0,1] op_sel_hi:[0,1,1]
	v_add_f32_e32 v17, v17, v0
	v_mov_b32_e32 v0, 0
	s_waitcnt lgkmcnt(1)
	v_dot4c_i32_i8_e32 v0, v131, v162
	s_waitcnt lgkmcnt(0)
	v_dot4c_i32_i8_e32 v0, v132, v166
	v_dot4c_i32_i8_e32 v0, v133, v163
	;; [unrolled: 1-line block ×7, first 2 shown]
	v_pk_mul_f16 v3, v130, v1
	s_nop 1
	v_cvt_f32_i32_e32 v0, v0
	v_fma_mix_f32 v0, v0, v3, v3 op_sel:[0,0,1] op_sel_hi:[0,1,1]
	v_add_f32_e32 v15, v15, v0
	v_mov_b32_e32 v0, 0
	v_dot4c_i32_i8_e32 v0, v140, v162
	v_dot4c_i32_i8_e32 v0, v141, v166
	;; [unrolled: 1-line block ×8, first 2 shown]
	v_pk_mul_f16 v3, v139, v1
	s_nop 1
	v_cvt_f32_i32_e32 v0, v0
	v_fma_mix_f32 v0, v0, v3, v3 op_sel:[0,0,1] op_sel_hi:[0,1,1]
	v_add_f32_e32 v13, v13, v0
	v_mov_b32_e32 v0, 0
	v_dot4c_i32_i8_e32 v0, v149, v162
	v_dot4c_i32_i8_e32 v0, v150, v166
	;; [unrolled: 1-line block ×8, first 2 shown]
	v_pk_mul_f16 v3, v146, v1
	v_pk_mul_f16 v1, v155, v1
	s_nop 0
	v_cvt_f32_i32_e32 v0, v0
	v_fma_mix_f32 v0, v0, v3, v3 op_sel:[0,0,1] op_sel_hi:[0,1,1]
	v_add_f32_e32 v11, v11, v0
	v_mov_b32_e32 v0, 0
	v_dot4c_i32_i8_e32 v0, v158, v162
	v_dot4c_i32_i8_e32 v0, v159, v166
	;; [unrolled: 1-line block ×8, first 2 shown]
	s_nop 2
	v_cvt_f32_i32_e32 v0, v0
	v_fma_mix_f32 v0, v0, v1, v1 op_sel:[0,0,1] op_sel_hi:[0,1,1]
	v_add_f32_e32 v9, v9, v0
	s_cbranch_scc1 .LBB139_7
; %bb.8:                                ;   in Loop: Header=BB139_6 Depth=1
	s_or_b32 s7, s5, 4
	s_cmp_ge_i32 s7, s4
	s_barrier
	s_cbranch_scc1 .LBB139_5
; %bb.9:                                ;   in Loop: Header=BB139_6 Depth=1
	v_add_u32_e32 v123, s5, v106
	v_add_u32_e32 v0, v123, v89
	;; [unrolled: 1-line block ×6, first 2 shown]
	v_mad_i64_i32 v[0:1], s[14:15], v0, 36, v[54:55]
	v_mad_i64_i32 v[2:3], s[14:15], v2, 36, v[54:55]
	;; [unrolled: 1-line block ×5, first 2 shown]
	v_add_u32_e32 v124, v123, v99
	v_add_u32_e32 v126, v123, v101
	;; [unrolled: 1-line block ×3, first 2 shown]
	v_mad_i64_i32 v[124:125], s[14:15], v124, 36, v[54:55]
	v_mad_i64_i32 v[126:127], s[14:15], v126, 36, v[54:55]
	;; [unrolled: 1-line block ×3, first 2 shown]
	global_load_dword v130, v[0:1], off offset:4
	s_nop 0
	global_load_dword v2, v[2:3], off offset:4
	s_nop 0
	;; [unrolled: 2-line block ×3, first 2 shown]
	global_load_dword v4, v[6:7], off offset:4
	global_load_dword v5, v[58:59], off offset:4
                                        ; kill: killed $vgpr6_vgpr7
                                        ; kill: killed $vgpr58_vgpr59
	s_nop 0
	global_load_dword v6, v[124:125], off offset:4
	global_load_dword v7, v[126:127], off offset:4
	;; [unrolled: 1-line block ×3, first 2 shown]
	v_add_u32_e32 v0, 4, v122
	v_mad_u64_u32 v[0:1], s[14:15], v0, 36, s[2:3]
	global_load_dword v0, v[0:1], off
	s_mov_b32 s7, 12
	v_mov_b32_e32 v122, v112
	v_mov_b32_e32 v123, v111
	;; [unrolled: 1-line block ×7, first 2 shown]
	s_waitcnt vmcnt(8)
	ds_write_b32 v90, v130
	s_waitcnt vmcnt(7)
	ds_write_b32 v92, v2
	;; [unrolled: 2-line block ×9, first 2 shown]
	s_waitcnt lgkmcnt(0)
	s_barrier
.LBB139_10:                             ;   Parent Loop BB139_6 Depth=1
                                        ; =>  This Inner Loop Header: Depth=2
	ds_read_b128 v[0:3], v123
	ds_read_b128 v[4:7], v123 offset:16
	ds_read2_b32 v[58:59], v122 offset1:32
	ds_read_b32 v129, v125
	ds_read2_b32 v[132:133], v124 offset1:1
	ds_read2_b32 v[136:137], v124 offset0:2 offset1:3
	v_mov_b32_e32 v138, 0
	v_mov_b32_e32 v148, 0
	s_waitcnt lgkmcnt(2)
	v_pk_mul_f16 v139, v58, v129
	s_waitcnt lgkmcnt(1)
	v_and_b32_e32 v130, 0xf0f0f0f, v132
	v_lshrrev_b32_e32 v131, 4, v132
	v_and_b32_e32 v131, 0xf0f0f0f, v131
	v_dot4c_i32_i8_e32 v138, v130, v0
	v_dot4c_i32_i8_e32 v138, v131, v4
	v_and_b32_e32 v132, 0xf0f0f0f, v133
	v_lshrrev_b32_e32 v133, 4, v133
	v_and_b32_e32 v133, 0xf0f0f0f, v133
	v_dot4c_i32_i8_e32 v138, v132, v1
	v_dot4c_i32_i8_e32 v138, v133, v5
	s_waitcnt lgkmcnt(0)
	v_and_b32_e32 v134, 0xf0f0f0f, v136
	v_lshrrev_b32_e32 v135, 4, v136
	v_and_b32_e32 v135, 0xf0f0f0f, v135
	v_dot4c_i32_i8_e32 v138, v134, v2
	v_dot4c_i32_i8_e32 v138, v135, v6
	v_and_b32_e32 v136, 0xf0f0f0f, v137
	v_lshrrev_b32_e32 v137, 4, v137
	v_and_b32_e32 v137, 0xf0f0f0f, v137
	v_dot4c_i32_i8_e32 v138, v136, v3
	v_dot4c_i32_i8_e32 v138, v137, v7
	v_add_u32_e32 v152, 0x2108, v124
	v_mov_b32_e32 v154, 0
	v_mov_b32_e32 v161, 0
	v_cvt_f32_i32_e32 v138, v138
	s_add_i32 s7, s7, 4
	v_add_u32_e32 v125, 4, v125
	s_cmp_lt_u32 s7, 28
	v_fma_mix_f32 v138, v139, v138, v139 op_sel:[0,0,1] op_sel_hi:[1,0,1]
	v_add_f32_e32 v62, v62, v138
	v_add_u32_e32 v139, 0x1080, v124
	ds_read_b32 v138, v126
	ds_read2_b32 v[142:143], v139 offset1:1
	v_add_u32_e32 v126, 4, v126
	s_waitcnt lgkmcnt(0)
	v_and_b32_e32 v139, 0xf0f0f0f, v142
	v_lshrrev_b32_e32 v140, 4, v142
	v_and_b32_e32 v141, 0xf0f0f0f, v143
	v_lshrrev_b32_e32 v142, 4, v143
	v_add_u32_e32 v143, 0x1088, v124
	ds_read2_b32 v[144:145], v143 offset1:1
	v_and_b32_e32 v140, 0xf0f0f0f, v140
	v_dot4c_i32_i8_e32 v148, v139, v0
	v_dot4c_i32_i8_e32 v148, v140, v4
	v_and_b32_e32 v142, 0xf0f0f0f, v142
	v_dot4c_i32_i8_e32 v148, v141, v1
	v_dot4c_i32_i8_e32 v148, v142, v5
	s_waitcnt lgkmcnt(0)
	v_and_b32_e32 v143, 0xf0f0f0f, v144
	v_lshrrev_b32_e32 v144, 4, v144
	v_and_b32_e32 v144, 0xf0f0f0f, v144
	v_dot4c_i32_i8_e32 v148, v143, v2
	v_dot4c_i32_i8_e32 v148, v144, v6
	v_and_b32_e32 v146, 0xf0f0f0f, v145
	v_lshrrev_b32_e32 v145, 4, v145
	v_and_b32_e32 v147, 0xf0f0f0f, v145
	v_dot4c_i32_i8_e32 v148, v146, v3
	v_dot4c_i32_i8_e32 v148, v147, v7
	v_pk_mul_f16 v145, v58, v138
	s_nop 1
	v_cvt_f32_i32_e32 v148, v148
	v_fma_mix_f32 v145, v145, v148, v145 op_sel:[0,0,1] op_sel_hi:[1,0,1]
	v_add_f32_e32 v85, v85, v145
	v_add_u32_e32 v148, 0x2100, v124
	ds_read_b32 v145, v127
	ds_read2_b32 v[150:151], v148 offset1:1
	ds_read2_b32 v[156:157], v152 offset1:1
	v_add_u32_e32 v127, 4, v127
	s_waitcnt lgkmcnt(1)
	v_and_b32_e32 v148, 0xf0f0f0f, v150
	v_lshrrev_b32_e32 v149, 4, v150
	v_and_b32_e32 v149, 0xf0f0f0f, v149
	v_dot4c_i32_i8_e32 v154, v148, v0
	v_dot4c_i32_i8_e32 v154, v149, v4
	v_and_b32_e32 v150, 0xf0f0f0f, v151
	v_lshrrev_b32_e32 v151, 4, v151
	v_and_b32_e32 v151, 0xf0f0f0f, v151
	v_dot4c_i32_i8_e32 v154, v150, v1
	v_dot4c_i32_i8_e32 v154, v151, v5
	s_waitcnt lgkmcnt(0)
	v_and_b32_e32 v152, 0xf0f0f0f, v156
	v_lshrrev_b32_e32 v153, 4, v156
	v_and_b32_e32 v153, 0xf0f0f0f, v153
	v_dot4c_i32_i8_e32 v154, v152, v2
	v_dot4c_i32_i8_e32 v154, v153, v6
	v_and_b32_e32 v155, 0xf0f0f0f, v157
	v_lshrrev_b32_e32 v156, 4, v157
	v_and_b32_e32 v156, 0xf0f0f0f, v156
	v_dot4c_i32_i8_e32 v154, v155, v3
	v_dot4c_i32_i8_e32 v154, v156, v7
	v_pk_mul_f16 v157, v58, v145
	s_nop 1
	v_cvt_f32_i32_e32 v154, v154
	v_fma_mix_f32 v154, v157, v154, v157 op_sel:[0,0,1] op_sel_hi:[1,0,1]
	v_add_f32_e32 v76, v76, v154
	v_add_u32_e32 v157, 0x3180, v124
	ds_read_b32 v154, v128
	ds_read2_b32 v[158:159], v157 offset1:1
	v_add_u32_e32 v128, 4, v128
	s_waitcnt lgkmcnt(0)
	v_and_b32_e32 v157, 0xf0f0f0f, v158
	v_lshrrev_b32_e32 v158, 4, v158
	v_and_b32_e32 v158, 0xf0f0f0f, v158
	v_dot4c_i32_i8_e32 v161, v157, v0
	v_lshrrev_b32_e32 v0, 4, v159
	v_dot4c_i32_i8_e32 v161, v158, v4
	v_and_b32_e32 v4, 0xf0f0f0f, v159
	v_and_b32_e32 v159, 0xf0f0f0f, v0
	v_add_u32_e32 v0, 0x3188, v124
	v_dot4c_i32_i8_e32 v161, v4, v1
	ds_read2_b32 v[0:1], v0 offset1:1
	v_dot4c_i32_i8_e32 v161, v159, v5
	ds_read_b128 v[162:165], v123 offset:1024
	ds_read_b128 v[166:169], v123 offset:1040
	v_add_u32_e32 v124, 16, v124
	s_waitcnt lgkmcnt(2)
	v_and_b32_e32 v5, 0xf0f0f0f, v0
	v_lshrrev_b32_e32 v0, 4, v0
	v_and_b32_e32 v160, 0xf0f0f0f, v0
	v_dot4c_i32_i8_e32 v161, v5, v2
	v_dot4c_i32_i8_e32 v161, v160, v6
	v_and_b32_e32 v2, 0xf0f0f0f, v1
	v_lshrrev_b32_e32 v0, 4, v1
	v_and_b32_e32 v6, 0xf0f0f0f, v0
	v_dot4c_i32_i8_e32 v161, v2, v3
	v_dot4c_i32_i8_e32 v161, v6, v7
	v_pk_mul_f16 v0, v58, v154
	v_mov_b32_e32 v3, 0
	s_nop 0
	v_cvt_f32_i32_e32 v1, v161
	v_fma_mix_f32 v0, v0, v1, v0 op_sel:[0,0,1] op_sel_hi:[1,0,1]
	v_add_f32_e32 v68, v68, v0
	v_mov_b32_e32 v0, 0
	s_waitcnt lgkmcnt(1)
	v_dot4c_i32_i8_e32 v0, v130, v162
	s_waitcnt lgkmcnt(0)
	v_dot4c_i32_i8_e32 v0, v131, v166
	v_dot4c_i32_i8_e32 v0, v132, v163
	v_dot4c_i32_i8_e32 v0, v133, v167
	v_dot4c_i32_i8_e32 v0, v134, v164
	v_dot4c_i32_i8_e32 v0, v135, v168
	v_dot4c_i32_i8_e32 v0, v136, v165
	v_dot4c_i32_i8_e32 v0, v137, v169
	v_pk_mul_f16 v1, v129, v59
	s_nop 1
	v_cvt_f32_i32_e32 v0, v0
	v_fma_mix_f32 v0, v0, v1, v1 op_sel:[0,0,1] op_sel_hi:[0,1,1]
	v_add_f32_e32 v67, v67, v0
	v_mov_b32_e32 v0, 0
	v_dot4c_i32_i8_e32 v0, v139, v162
	v_dot4c_i32_i8_e32 v0, v140, v166
	v_dot4c_i32_i8_e32 v0, v141, v163
	v_dot4c_i32_i8_e32 v0, v142, v167
	v_dot4c_i32_i8_e32 v0, v143, v164
	v_dot4c_i32_i8_e32 v0, v144, v168
	v_dot4c_i32_i8_e32 v0, v146, v165
	v_dot4c_i32_i8_e32 v0, v147, v169
	v_pk_mul_f16 v1, v138, v59
	s_nop 1
	v_cvt_f32_i32_e32 v0, v0
	v_fma_mix_f32 v0, v0, v1, v1 op_sel:[0,0,1] op_sel_hi:[0,1,1]
	v_add_f32_e32 v66, v66, v0
	v_mov_b32_e32 v0, 0
	v_dot4c_i32_i8_e32 v0, v148, v162
	;; [unrolled: 14-line block ×3, first 2 shown]
	v_dot4c_i32_i8_e32 v0, v158, v166
	v_dot4c_i32_i8_e32 v0, v4, v163
	v_dot4c_i32_i8_e32 v0, v159, v167
	v_dot4c_i32_i8_e32 v0, v5, v164
	v_dot4c_i32_i8_e32 v0, v160, v168
	v_dot4c_i32_i8_e32 v0, v2, v165
	v_dot4c_i32_i8_e32 v0, v6, v169
	v_pk_mul_f16 v1, v154, v59
	s_nop 1
	v_cvt_f32_i32_e32 v0, v0
	v_fma_mix_f32 v0, v0, v1, v1 op_sel:[0,0,1] op_sel_hi:[0,1,1]
	v_add_f32_e32 v63, v63, v0
	ds_read_b128 v[162:165], v123 offset:2048
	ds_read_b128 v[166:169], v123 offset:2064
	ds_read2_b32 v[0:1], v122 offset0:64 offset1:96
	s_waitcnt lgkmcnt(2)
	v_dot4c_i32_i8_e32 v3, v130, v162
	s_waitcnt lgkmcnt(1)
	v_dot4c_i32_i8_e32 v3, v131, v166
	v_dot4c_i32_i8_e32 v3, v132, v163
	;; [unrolled: 1-line block ×7, first 2 shown]
	s_waitcnt lgkmcnt(0)
	v_pk_mul_f16 v7, v129, v0
	s_nop 0
	v_cvt_f32_i32_e32 v3, v3
	v_fma_mix_f32 v3, v3, v7, v7 op_sel:[0,0,1] op_sel_hi:[0,1,1]
	v_add_f32_e32 v57, v57, v3
	v_mov_b32_e32 v3, 0
	v_dot4c_i32_i8_e32 v3, v139, v162
	v_dot4c_i32_i8_e32 v3, v140, v166
	;; [unrolled: 1-line block ×8, first 2 shown]
	v_pk_mul_f16 v7, v138, v0
	s_nop 1
	v_cvt_f32_i32_e32 v3, v3
	v_fma_mix_f32 v3, v3, v7, v7 op_sel:[0,0,1] op_sel_hi:[0,1,1]
	v_add_f32_e32 v53, v53, v3
	v_mov_b32_e32 v3, 0
	v_dot4c_i32_i8_e32 v3, v148, v162
	v_dot4c_i32_i8_e32 v3, v149, v166
	;; [unrolled: 1-line block ×8, first 2 shown]
	v_pk_mul_f16 v7, v145, v0
	v_pk_mul_f16 v0, v154, v0
	s_nop 0
	v_cvt_f32_i32_e32 v3, v3
	v_fma_mix_f32 v3, v3, v7, v7 op_sel:[0,0,1] op_sel_hi:[0,1,1]
	v_add_f32_e32 v51, v51, v3
	v_mov_b32_e32 v3, 0
	v_dot4c_i32_i8_e32 v3, v157, v162
	v_dot4c_i32_i8_e32 v3, v158, v166
	;; [unrolled: 1-line block ×8, first 2 shown]
	ds_read_b128 v[162:165], v123 offset:3072
	ds_read_b128 v[166:169], v123 offset:3088
	s_nop 0
	v_cvt_f32_i32_e32 v3, v3
	v_fma_mix_f32 v0, v3, v0, v0 op_sel:[0,0,1] op_sel_hi:[0,1,1]
	v_add_f32_e32 v49, v49, v0
	v_mov_b32_e32 v0, 0
	s_waitcnt lgkmcnt(1)
	v_dot4c_i32_i8_e32 v0, v130, v162
	s_waitcnt lgkmcnt(0)
	v_dot4c_i32_i8_e32 v0, v131, v166
	v_dot4c_i32_i8_e32 v0, v132, v163
	v_dot4c_i32_i8_e32 v0, v133, v167
	v_dot4c_i32_i8_e32 v0, v134, v164
	v_dot4c_i32_i8_e32 v0, v135, v168
	v_dot4c_i32_i8_e32 v0, v136, v165
	v_dot4c_i32_i8_e32 v0, v137, v169
	v_pk_mul_f16 v3, v129, v1
	s_nop 1
	v_cvt_f32_i32_e32 v0, v0
	v_fma_mix_f32 v0, v0, v3, v3 op_sel:[0,0,1] op_sel_hi:[0,1,1]
	v_add_f32_e32 v47, v47, v0
	v_mov_b32_e32 v0, 0
	v_dot4c_i32_i8_e32 v0, v139, v162
	v_dot4c_i32_i8_e32 v0, v140, v166
	;; [unrolled: 1-line block ×8, first 2 shown]
	v_pk_mul_f16 v3, v138, v1
	s_nop 1
	v_cvt_f32_i32_e32 v0, v0
	v_fma_mix_f32 v0, v0, v3, v3 op_sel:[0,0,1] op_sel_hi:[0,1,1]
	v_add_f32_e32 v45, v45, v0
	v_mov_b32_e32 v0, 0
	v_dot4c_i32_i8_e32 v0, v148, v162
	v_dot4c_i32_i8_e32 v0, v149, v166
	;; [unrolled: 1-line block ×8, first 2 shown]
	v_pk_mul_f16 v3, v145, v1
	v_pk_mul_f16 v1, v154, v1
	s_nop 0
	v_cvt_f32_i32_e32 v0, v0
	v_fma_mix_f32 v0, v0, v3, v3 op_sel:[0,0,1] op_sel_hi:[0,1,1]
	v_add_f32_e32 v43, v43, v0
	v_mov_b32_e32 v0, 0
	v_dot4c_i32_i8_e32 v0, v157, v162
	v_dot4c_i32_i8_e32 v0, v158, v166
	;; [unrolled: 1-line block ×8, first 2 shown]
	v_mov_b32_e32 v3, 0
	s_nop 1
	v_cvt_f32_i32_e32 v0, v0
	v_fma_mix_f32 v0, v0, v1, v1 op_sel:[0,0,1] op_sel_hi:[0,1,1]
	v_add_f32_e32 v41, v41, v0
	ds_read_b128 v[162:165], v123 offset:4096
	ds_read_b128 v[166:169], v123 offset:4112
	ds_read2_b32 v[0:1], v122 offset0:128 offset1:160
	s_waitcnt lgkmcnt(2)
	v_dot4c_i32_i8_e32 v3, v130, v162
	s_waitcnt lgkmcnt(1)
	v_dot4c_i32_i8_e32 v3, v131, v166
	v_dot4c_i32_i8_e32 v3, v132, v163
	v_dot4c_i32_i8_e32 v3, v133, v167
	v_dot4c_i32_i8_e32 v3, v134, v164
	v_dot4c_i32_i8_e32 v3, v135, v168
	v_dot4c_i32_i8_e32 v3, v136, v165
	v_dot4c_i32_i8_e32 v3, v137, v169
	s_waitcnt lgkmcnt(0)
	v_pk_mul_f16 v7, v129, v0
	s_nop 0
	v_cvt_f32_i32_e32 v3, v3
	v_fma_mix_f32 v3, v3, v7, v7 op_sel:[0,0,1] op_sel_hi:[0,1,1]
	v_add_f32_e32 v39, v39, v3
	v_mov_b32_e32 v3, 0
	v_dot4c_i32_i8_e32 v3, v139, v162
	v_dot4c_i32_i8_e32 v3, v140, v166
	;; [unrolled: 1-line block ×8, first 2 shown]
	v_pk_mul_f16 v7, v138, v0
	s_nop 1
	v_cvt_f32_i32_e32 v3, v3
	v_fma_mix_f32 v3, v3, v7, v7 op_sel:[0,0,1] op_sel_hi:[0,1,1]
	v_add_f32_e32 v37, v37, v3
	v_mov_b32_e32 v3, 0
	v_dot4c_i32_i8_e32 v3, v148, v162
	v_dot4c_i32_i8_e32 v3, v149, v166
	;; [unrolled: 1-line block ×8, first 2 shown]
	v_pk_mul_f16 v7, v145, v0
	v_pk_mul_f16 v0, v154, v0
	s_nop 0
	v_cvt_f32_i32_e32 v3, v3
	v_fma_mix_f32 v3, v3, v7, v7 op_sel:[0,0,1] op_sel_hi:[0,1,1]
	v_add_f32_e32 v35, v35, v3
	v_mov_b32_e32 v3, 0
	v_dot4c_i32_i8_e32 v3, v157, v162
	v_dot4c_i32_i8_e32 v3, v158, v166
	;; [unrolled: 1-line block ×8, first 2 shown]
	ds_read_b128 v[162:165], v123 offset:5120
	ds_read_b128 v[166:169], v123 offset:5136
	s_nop 0
	v_cvt_f32_i32_e32 v3, v3
	v_fma_mix_f32 v0, v3, v0, v0 op_sel:[0,0,1] op_sel_hi:[0,1,1]
	v_add_f32_e32 v33, v33, v0
	v_mov_b32_e32 v0, 0
	s_waitcnt lgkmcnt(1)
	v_dot4c_i32_i8_e32 v0, v130, v162
	s_waitcnt lgkmcnt(0)
	v_dot4c_i32_i8_e32 v0, v131, v166
	v_dot4c_i32_i8_e32 v0, v132, v163
	;; [unrolled: 1-line block ×7, first 2 shown]
	v_pk_mul_f16 v3, v129, v1
	s_nop 1
	v_cvt_f32_i32_e32 v0, v0
	v_fma_mix_f32 v0, v0, v3, v3 op_sel:[0,0,1] op_sel_hi:[0,1,1]
	v_add_f32_e32 v31, v31, v0
	v_mov_b32_e32 v0, 0
	v_dot4c_i32_i8_e32 v0, v139, v162
	v_dot4c_i32_i8_e32 v0, v140, v166
	;; [unrolled: 1-line block ×8, first 2 shown]
	v_pk_mul_f16 v3, v138, v1
	s_nop 1
	v_cvt_f32_i32_e32 v0, v0
	v_fma_mix_f32 v0, v0, v3, v3 op_sel:[0,0,1] op_sel_hi:[0,1,1]
	v_add_f32_e32 v29, v29, v0
	v_mov_b32_e32 v0, 0
	v_dot4c_i32_i8_e32 v0, v148, v162
	v_dot4c_i32_i8_e32 v0, v149, v166
	;; [unrolled: 1-line block ×8, first 2 shown]
	v_pk_mul_f16 v3, v145, v1
	v_pk_mul_f16 v1, v154, v1
	s_nop 0
	v_cvt_f32_i32_e32 v0, v0
	v_fma_mix_f32 v0, v0, v3, v3 op_sel:[0,0,1] op_sel_hi:[0,1,1]
	v_add_f32_e32 v27, v27, v0
	v_mov_b32_e32 v0, 0
	v_dot4c_i32_i8_e32 v0, v157, v162
	v_dot4c_i32_i8_e32 v0, v158, v166
	;; [unrolled: 1-line block ×8, first 2 shown]
	v_mov_b32_e32 v3, 0
	s_nop 1
	v_cvt_f32_i32_e32 v0, v0
	v_fma_mix_f32 v0, v0, v1, v1 op_sel:[0,0,1] op_sel_hi:[0,1,1]
	v_add_f32_e32 v25, v25, v0
	ds_read_b128 v[162:165], v123 offset:6144
	ds_read_b128 v[166:169], v123 offset:6160
	ds_read2_b32 v[0:1], v122 offset0:192 offset1:224
	v_add_u32_e32 v122, 4, v122
	s_waitcnt lgkmcnt(2)
	v_dot4c_i32_i8_e32 v3, v130, v162
	s_waitcnt lgkmcnt(1)
	v_dot4c_i32_i8_e32 v3, v131, v166
	v_dot4c_i32_i8_e32 v3, v132, v163
	;; [unrolled: 1-line block ×7, first 2 shown]
	s_waitcnt lgkmcnt(0)
	v_pk_mul_f16 v7, v129, v0
	s_nop 0
	v_cvt_f32_i32_e32 v3, v3
	v_fma_mix_f32 v3, v3, v7, v7 op_sel:[0,0,1] op_sel_hi:[0,1,1]
	v_add_f32_e32 v23, v23, v3
	v_mov_b32_e32 v3, 0
	v_dot4c_i32_i8_e32 v3, v139, v162
	v_dot4c_i32_i8_e32 v3, v140, v166
	;; [unrolled: 1-line block ×8, first 2 shown]
	v_pk_mul_f16 v7, v138, v0
	s_nop 1
	v_cvt_f32_i32_e32 v3, v3
	v_fma_mix_f32 v3, v3, v7, v7 op_sel:[0,0,1] op_sel_hi:[0,1,1]
	v_add_f32_e32 v21, v21, v3
	v_mov_b32_e32 v3, 0
	v_dot4c_i32_i8_e32 v3, v148, v162
	v_dot4c_i32_i8_e32 v3, v149, v166
	;; [unrolled: 1-line block ×8, first 2 shown]
	v_pk_mul_f16 v7, v145, v0
	v_pk_mul_f16 v0, v154, v0
	s_nop 0
	v_cvt_f32_i32_e32 v3, v3
	v_fma_mix_f32 v3, v3, v7, v7 op_sel:[0,0,1] op_sel_hi:[0,1,1]
	v_add_f32_e32 v19, v19, v3
	v_mov_b32_e32 v3, 0
	v_dot4c_i32_i8_e32 v3, v157, v162
	v_dot4c_i32_i8_e32 v3, v158, v166
	;; [unrolled: 1-line block ×8, first 2 shown]
	ds_read_b128 v[162:165], v123 offset:7168
	ds_read_b128 v[166:169], v123 offset:7184
	v_add_u32_e32 v123, 32, v123
	v_cvt_f32_i32_e32 v3, v3
	v_fma_mix_f32 v0, v3, v0, v0 op_sel:[0,0,1] op_sel_hi:[0,1,1]
	v_add_f32_e32 v17, v17, v0
	v_mov_b32_e32 v0, 0
	s_waitcnt lgkmcnt(1)
	v_dot4c_i32_i8_e32 v0, v130, v162
	s_waitcnt lgkmcnt(0)
	v_dot4c_i32_i8_e32 v0, v131, v166
	v_dot4c_i32_i8_e32 v0, v132, v163
	;; [unrolled: 1-line block ×7, first 2 shown]
	v_pk_mul_f16 v3, v129, v1
	s_nop 1
	v_cvt_f32_i32_e32 v0, v0
	v_fma_mix_f32 v0, v0, v3, v3 op_sel:[0,0,1] op_sel_hi:[0,1,1]
	v_add_f32_e32 v15, v15, v0
	v_mov_b32_e32 v0, 0
	v_dot4c_i32_i8_e32 v0, v139, v162
	v_dot4c_i32_i8_e32 v0, v140, v166
	;; [unrolled: 1-line block ×8, first 2 shown]
	v_pk_mul_f16 v3, v138, v1
	s_nop 1
	v_cvt_f32_i32_e32 v0, v0
	v_fma_mix_f32 v0, v0, v3, v3 op_sel:[0,0,1] op_sel_hi:[0,1,1]
	v_add_f32_e32 v13, v13, v0
	v_mov_b32_e32 v0, 0
	v_dot4c_i32_i8_e32 v0, v148, v162
	v_dot4c_i32_i8_e32 v0, v149, v166
	;; [unrolled: 1-line block ×8, first 2 shown]
	v_pk_mul_f16 v3, v145, v1
	v_pk_mul_f16 v1, v154, v1
	s_nop 0
	v_cvt_f32_i32_e32 v0, v0
	v_fma_mix_f32 v0, v0, v3, v3 op_sel:[0,0,1] op_sel_hi:[0,1,1]
	v_add_f32_e32 v11, v11, v0
	v_mov_b32_e32 v0, 0
	v_dot4c_i32_i8_e32 v0, v157, v162
	v_dot4c_i32_i8_e32 v0, v158, v166
	;; [unrolled: 1-line block ×8, first 2 shown]
	s_nop 2
	v_cvt_f32_i32_e32 v0, v0
	v_fma_mix_f32 v0, v0, v1, v1 op_sel:[0,0,1] op_sel_hi:[0,1,1]
	v_add_f32_e32 v9, v9, v0
	s_cbranch_scc1 .LBB139_10
; %bb.11:                               ;   in Loop: Header=BB139_6 Depth=1
	s_barrier
	s_branch .LBB139_5
.LBB139_12:
	v_mov_b32_e32 v1, v61
.LBB139_13:
	v_cmp_gt_u32_e32 vcc, s8, v65
	s_and_saveexec_b64 s[0:1], vcc
	s_cbranch_execz .LBB139_64
; %bb.14:
	v_add_u32_e32 v0, s6, v60
	v_mul_lo_u32 v5, v65, s10
	v_cmp_gt_u32_e32 vcc, s10, v0
	s_and_saveexec_b64 s[2:3], vcc
	s_cbranch_execz .LBB139_16
; %bb.15:
	v_add_u32_e32 v2, v0, v5
	v_mov_b32_e32 v3, 0
	v_cvt_f16_f32_e32 v6, v62
	v_lshlrev_b64 v[2:3], 1, v[2:3]
	s_waitcnt lgkmcnt(0)
	v_mov_b32_e32 v4, s13
	v_add_co_u32_e64 v2, s[0:1], s12, v2
	v_addc_co_u32_e64 v3, s[0:1], v4, v3, s[0:1]
	global_store_short v[2:3], v6, off
.LBB139_16:
	s_or_b64 exec, exec, s[2:3]
	v_add_u32_e32 v2, 32, v0
	v_cmp_gt_u32_e64 s[0:1], s10, v2
	s_and_saveexec_b64 s[4:5], s[0:1]
	s_cbranch_execz .LBB139_18
; %bb.17:
	v_add_u32_e32 v6, v2, v5
	v_mov_b32_e32 v7, 0
	v_cvt_f16_f32_e32 v4, v85
	v_lshlrev_b64 v[6:7], 1, v[6:7]
	s_waitcnt lgkmcnt(0)
	v_mov_b32_e32 v3, s13
	v_add_co_u32_e64 v6, s[2:3], s12, v6
	v_addc_co_u32_e64 v7, s[2:3], v3, v7, s[2:3]
	global_store_short v[6:7], v4, off
.LBB139_18:
	s_or_b64 exec, exec, s[4:5]
	v_add_u32_e32 v3, 64, v0
	v_cmp_gt_u32_e64 s[2:3], s10, v3
	s_and_saveexec_b64 s[6:7], s[2:3]
	;; [unrolled: 16-line block ×3, first 2 shown]
	s_cbranch_execz .LBB139_22
; %bb.21:
	v_add_u32_e32 v6, v4, v5
	v_mov_b32_e32 v7, 0
	v_cvt_f16_f32_e32 v8, v68
	v_lshlrev_b64 v[6:7], 1, v[6:7]
	s_waitcnt lgkmcnt(0)
	v_mov_b32_e32 v5, s13
	v_add_co_u32_e64 v6, s[6:7], s12, v6
	v_addc_co_u32_e64 v7, s[6:7], v5, v7, s[6:7]
	global_store_short v[6:7], v8, off
.LBB139_22:
	s_or_b64 exec, exec, s[14:15]
	v_add3_u32 v5, v1, s11, 8
	v_cmp_gt_u32_e64 s[6:7], s8, v5
	s_and_b64 exec, exec, s[6:7]
	s_cbranch_execz .LBB139_64
; %bb.23:
	v_mul_lo_u32 v5, v5, s10
	s_and_saveexec_b64 s[14:15], vcc
	s_cbranch_execnz .LBB139_65
; %bb.24:
	s_or_b64 exec, exec, s[14:15]
	s_and_saveexec_b64 s[14:15], s[0:1]
	s_cbranch_execnz .LBB139_66
.LBB139_25:
	s_or_b64 exec, exec, s[14:15]
	s_and_saveexec_b64 s[14:15], s[2:3]
	s_cbranch_execnz .LBB139_67
.LBB139_26:
	s_or_b64 exec, exec, s[14:15]
	s_and_saveexec_b64 s[14:15], s[4:5]
	s_cbranch_execz .LBB139_28
.LBB139_27:
	v_add_u32_e32 v6, v5, v4
	v_mov_b32_e32 v7, 0
	v_cvt_f16_f32_e32 v8, v63
	v_lshlrev_b64 v[6:7], 1, v[6:7]
	s_waitcnt lgkmcnt(0)
	v_mov_b32_e32 v5, s13
	v_add_co_u32_e64 v6, s[6:7], s12, v6
	v_addc_co_u32_e64 v7, s[6:7], v5, v7, s[6:7]
	global_store_short v[6:7], v8, off
.LBB139_28:
	s_or_b64 exec, exec, s[14:15]
	v_add3_u32 v5, v1, s11, 16
	v_cmp_gt_u32_e64 s[6:7], s8, v5
	s_and_b64 exec, exec, s[6:7]
	s_cbranch_execz .LBB139_64
; %bb.29:
	v_mul_lo_u32 v5, v5, s10
	s_and_saveexec_b64 s[14:15], vcc
	s_cbranch_execnz .LBB139_68
; %bb.30:
	s_or_b64 exec, exec, s[14:15]
	s_and_saveexec_b64 s[14:15], s[0:1]
	s_cbranch_execnz .LBB139_69
.LBB139_31:
	s_or_b64 exec, exec, s[14:15]
	s_and_saveexec_b64 s[14:15], s[2:3]
	s_cbranch_execnz .LBB139_70
.LBB139_32:
	s_or_b64 exec, exec, s[14:15]
	s_and_saveexec_b64 s[14:15], s[4:5]
	s_cbranch_execz .LBB139_34
.LBB139_33:
	v_add_u32_e32 v6, v5, v4
	v_mov_b32_e32 v7, 0
	v_cvt_f16_f32_e32 v8, v49
	v_lshlrev_b64 v[6:7], 1, v[6:7]
	s_waitcnt lgkmcnt(0)
	v_mov_b32_e32 v5, s13
	v_add_co_u32_e64 v6, s[6:7], s12, v6
	v_addc_co_u32_e64 v7, s[6:7], v5, v7, s[6:7]
	global_store_short v[6:7], v8, off
.LBB139_34:
	s_or_b64 exec, exec, s[14:15]
	v_add3_u32 v5, v1, s11, 24
	v_cmp_gt_u32_e64 s[6:7], s8, v5
	s_and_b64 exec, exec, s[6:7]
	s_cbranch_execz .LBB139_64
; %bb.35:
	v_mul_lo_u32 v5, v5, s10
	s_and_saveexec_b64 s[14:15], vcc
	s_cbranch_execnz .LBB139_71
; %bb.36:
	s_or_b64 exec, exec, s[14:15]
	s_and_saveexec_b64 s[14:15], s[0:1]
	s_cbranch_execnz .LBB139_72
.LBB139_37:
	s_or_b64 exec, exec, s[14:15]
	s_and_saveexec_b64 s[14:15], s[2:3]
	s_cbranch_execnz .LBB139_73
.LBB139_38:
	s_or_b64 exec, exec, s[14:15]
	s_and_saveexec_b64 s[14:15], s[4:5]
	s_cbranch_execz .LBB139_40
.LBB139_39:
	v_add_u32_e32 v6, v5, v4
	v_mov_b32_e32 v7, 0
	v_cvt_f16_f32_e32 v8, v41
	v_lshlrev_b64 v[6:7], 1, v[6:7]
	s_waitcnt lgkmcnt(0)
	v_mov_b32_e32 v5, s13
	v_add_co_u32_e64 v6, s[6:7], s12, v6
	v_addc_co_u32_e64 v7, s[6:7], v5, v7, s[6:7]
	global_store_short v[6:7], v8, off
.LBB139_40:
	s_or_b64 exec, exec, s[14:15]
	v_add3_u32 v5, v1, s11, 32
	v_cmp_gt_u32_e64 s[6:7], s8, v5
	s_and_b64 exec, exec, s[6:7]
	s_cbranch_execz .LBB139_64
; %bb.41:
	v_mul_lo_u32 v5, v5, s10
	s_and_saveexec_b64 s[14:15], vcc
	s_cbranch_execnz .LBB139_74
; %bb.42:
	s_or_b64 exec, exec, s[14:15]
	s_and_saveexec_b64 s[14:15], s[0:1]
	s_cbranch_execnz .LBB139_75
.LBB139_43:
	s_or_b64 exec, exec, s[14:15]
	s_and_saveexec_b64 s[14:15], s[2:3]
	s_cbranch_execnz .LBB139_76
.LBB139_44:
	s_or_b64 exec, exec, s[14:15]
	s_and_saveexec_b64 s[14:15], s[4:5]
	s_cbranch_execz .LBB139_46
.LBB139_45:
	v_add_u32_e32 v6, v5, v4
	v_mov_b32_e32 v7, 0
	v_cvt_f16_f32_e32 v8, v33
	v_lshlrev_b64 v[6:7], 1, v[6:7]
	s_waitcnt lgkmcnt(0)
	v_mov_b32_e32 v5, s13
	v_add_co_u32_e64 v6, s[6:7], s12, v6
	v_addc_co_u32_e64 v7, s[6:7], v5, v7, s[6:7]
	global_store_short v[6:7], v8, off
.LBB139_46:
	s_or_b64 exec, exec, s[14:15]
	v_add3_u32 v5, v1, s11, 40
	v_cmp_gt_u32_e64 s[6:7], s8, v5
	s_and_b64 exec, exec, s[6:7]
	s_cbranch_execz .LBB139_64
; %bb.47:
	v_mul_lo_u32 v5, v5, s10
	s_and_saveexec_b64 s[14:15], vcc
	s_cbranch_execnz .LBB139_77
; %bb.48:
	s_or_b64 exec, exec, s[14:15]
	s_and_saveexec_b64 s[14:15], s[0:1]
	s_cbranch_execnz .LBB139_78
.LBB139_49:
	s_or_b64 exec, exec, s[14:15]
	s_and_saveexec_b64 s[14:15], s[2:3]
	s_cbranch_execnz .LBB139_79
.LBB139_50:
	s_or_b64 exec, exec, s[14:15]
	s_and_saveexec_b64 s[14:15], s[4:5]
	s_cbranch_execz .LBB139_52
.LBB139_51:
	v_add_u32_e32 v6, v5, v4
	v_mov_b32_e32 v7, 0
	v_cvt_f16_f32_e32 v8, v25
	v_lshlrev_b64 v[6:7], 1, v[6:7]
	s_waitcnt lgkmcnt(0)
	v_mov_b32_e32 v5, s13
	v_add_co_u32_e64 v6, s[6:7], s12, v6
	v_addc_co_u32_e64 v7, s[6:7], v5, v7, s[6:7]
	global_store_short v[6:7], v8, off
.LBB139_52:
	s_or_b64 exec, exec, s[14:15]
	v_add3_u32 v5, v1, s11, 48
	v_cmp_gt_u32_e64 s[6:7], s8, v5
	s_and_b64 exec, exec, s[6:7]
	s_cbranch_execz .LBB139_64
; %bb.53:
	v_mul_lo_u32 v5, v5, s10
	s_and_saveexec_b64 s[14:15], vcc
	s_cbranch_execnz .LBB139_80
; %bb.54:
	s_or_b64 exec, exec, s[14:15]
	s_and_saveexec_b64 s[14:15], s[0:1]
	s_cbranch_execnz .LBB139_81
.LBB139_55:
	s_or_b64 exec, exec, s[14:15]
	s_and_saveexec_b64 s[14:15], s[2:3]
	s_cbranch_execnz .LBB139_82
.LBB139_56:
	s_or_b64 exec, exec, s[14:15]
	s_and_saveexec_b64 s[14:15], s[4:5]
	s_cbranch_execz .LBB139_58
.LBB139_57:
	v_add_u32_e32 v6, v5, v4
	v_mov_b32_e32 v7, 0
	v_cvt_f16_f32_e32 v8, v17
	v_lshlrev_b64 v[6:7], 1, v[6:7]
	s_waitcnt lgkmcnt(0)
	v_mov_b32_e32 v5, s13
	v_add_co_u32_e64 v6, s[6:7], s12, v6
	v_addc_co_u32_e64 v7, s[6:7], v5, v7, s[6:7]
	global_store_short v[6:7], v8, off
.LBB139_58:
	s_or_b64 exec, exec, s[14:15]
	v_add3_u32 v1, v1, s11, 56
	v_cmp_gt_u32_e64 s[6:7], s8, v1
	s_and_b64 exec, exec, s[6:7]
	s_cbranch_execz .LBB139_64
; %bb.59:
	v_mul_lo_u32 v1, v1, s10
	s_and_saveexec_b64 s[6:7], vcc
	s_cbranch_execnz .LBB139_83
; %bb.60:
	s_or_b64 exec, exec, s[6:7]
	s_and_saveexec_b64 s[6:7], s[0:1]
	s_cbranch_execnz .LBB139_84
.LBB139_61:
	s_or_b64 exec, exec, s[6:7]
	s_and_saveexec_b64 s[0:1], s[2:3]
	s_cbranch_execnz .LBB139_85
.LBB139_62:
	s_or_b64 exec, exec, s[0:1]
	s_and_b64 exec, exec, s[4:5]
	s_cbranch_execz .LBB139_64
.LBB139_63:
	v_add_u32_e32 v0, v1, v4
	v_mov_b32_e32 v1, 0
	v_cvt_f16_f32_e32 v3, v9
	v_lshlrev_b64 v[0:1], 1, v[0:1]
	s_waitcnt lgkmcnt(0)
	v_mov_b32_e32 v2, s13
	v_add_co_u32_e32 v0, vcc, s12, v0
	v_addc_co_u32_e32 v1, vcc, v2, v1, vcc
	global_store_short v[0:1], v3, off
.LBB139_64:
	s_endpgm
.LBB139_65:
	v_add_u32_e32 v6, v5, v0
	v_mov_b32_e32 v7, 0
	v_cvt_f16_f32_e32 v10, v67
	v_lshlrev_b64 v[6:7], 1, v[6:7]
	s_waitcnt lgkmcnt(0)
	v_mov_b32_e32 v8, s13
	v_add_co_u32_e64 v6, s[6:7], s12, v6
	v_addc_co_u32_e64 v7, s[6:7], v8, v7, s[6:7]
	global_store_short v[6:7], v10, off
	s_or_b64 exec, exec, s[14:15]
	s_and_saveexec_b64 s[14:15], s[0:1]
	s_cbranch_execz .LBB139_25
.LBB139_66:
	v_add_u32_e32 v6, v5, v2
	v_mov_b32_e32 v7, 0
	v_cvt_f16_f32_e32 v10, v66
	v_lshlrev_b64 v[6:7], 1, v[6:7]
	s_waitcnt lgkmcnt(0)
	v_mov_b32_e32 v8, s13
	v_add_co_u32_e64 v6, s[6:7], s12, v6
	v_addc_co_u32_e64 v7, s[6:7], v8, v7, s[6:7]
	global_store_short v[6:7], v10, off
	s_or_b64 exec, exec, s[14:15]
	s_and_saveexec_b64 s[14:15], s[2:3]
	s_cbranch_execz .LBB139_26
.LBB139_67:
	v_add_u32_e32 v6, v5, v3
	v_mov_b32_e32 v7, 0
	v_cvt_f16_f32_e32 v10, v64
	v_lshlrev_b64 v[6:7], 1, v[6:7]
	s_waitcnt lgkmcnt(0)
	v_mov_b32_e32 v8, s13
	v_add_co_u32_e64 v6, s[6:7], s12, v6
	v_addc_co_u32_e64 v7, s[6:7], v8, v7, s[6:7]
	global_store_short v[6:7], v10, off
	s_or_b64 exec, exec, s[14:15]
	s_and_saveexec_b64 s[14:15], s[4:5]
	s_cbranch_execnz .LBB139_27
	s_branch .LBB139_28
.LBB139_68:
	v_add_u32_e32 v6, v5, v0
	v_mov_b32_e32 v7, 0
	v_cvt_f16_f32_e32 v10, v57
	v_lshlrev_b64 v[6:7], 1, v[6:7]
	s_waitcnt lgkmcnt(0)
	v_mov_b32_e32 v8, s13
	v_add_co_u32_e64 v6, s[6:7], s12, v6
	v_addc_co_u32_e64 v7, s[6:7], v8, v7, s[6:7]
	global_store_short v[6:7], v10, off
	s_or_b64 exec, exec, s[14:15]
	s_and_saveexec_b64 s[14:15], s[0:1]
	s_cbranch_execz .LBB139_31
.LBB139_69:
	v_add_u32_e32 v6, v5, v2
	v_mov_b32_e32 v7, 0
	v_cvt_f16_f32_e32 v10, v53
	v_lshlrev_b64 v[6:7], 1, v[6:7]
	s_waitcnt lgkmcnt(0)
	v_mov_b32_e32 v8, s13
	v_add_co_u32_e64 v6, s[6:7], s12, v6
	v_addc_co_u32_e64 v7, s[6:7], v8, v7, s[6:7]
	global_store_short v[6:7], v10, off
	s_or_b64 exec, exec, s[14:15]
	s_and_saveexec_b64 s[14:15], s[2:3]
	s_cbranch_execz .LBB139_32
.LBB139_70:
	v_add_u32_e32 v6, v5, v3
	v_mov_b32_e32 v7, 0
	v_cvt_f16_f32_e32 v10, v51
	v_lshlrev_b64 v[6:7], 1, v[6:7]
	s_waitcnt lgkmcnt(0)
	v_mov_b32_e32 v8, s13
	v_add_co_u32_e64 v6, s[6:7], s12, v6
	v_addc_co_u32_e64 v7, s[6:7], v8, v7, s[6:7]
	global_store_short v[6:7], v10, off
	s_or_b64 exec, exec, s[14:15]
	s_and_saveexec_b64 s[14:15], s[4:5]
	s_cbranch_execnz .LBB139_33
	s_branch .LBB139_34
.LBB139_71:
	v_add_u32_e32 v6, v5, v0
	v_mov_b32_e32 v7, 0
	v_cvt_f16_f32_e32 v10, v47
	v_lshlrev_b64 v[6:7], 1, v[6:7]
	s_waitcnt lgkmcnt(0)
	v_mov_b32_e32 v8, s13
	v_add_co_u32_e64 v6, s[6:7], s12, v6
	v_addc_co_u32_e64 v7, s[6:7], v8, v7, s[6:7]
	global_store_short v[6:7], v10, off
	s_or_b64 exec, exec, s[14:15]
	s_and_saveexec_b64 s[14:15], s[0:1]
	s_cbranch_execz .LBB139_37
.LBB139_72:
	v_add_u32_e32 v6, v5, v2
	v_mov_b32_e32 v7, 0
	v_cvt_f16_f32_e32 v10, v45
	v_lshlrev_b64 v[6:7], 1, v[6:7]
	s_waitcnt lgkmcnt(0)
	v_mov_b32_e32 v8, s13
	v_add_co_u32_e64 v6, s[6:7], s12, v6
	v_addc_co_u32_e64 v7, s[6:7], v8, v7, s[6:7]
	global_store_short v[6:7], v10, off
	s_or_b64 exec, exec, s[14:15]
	s_and_saveexec_b64 s[14:15], s[2:3]
	s_cbranch_execz .LBB139_38
.LBB139_73:
	v_add_u32_e32 v6, v5, v3
	v_mov_b32_e32 v7, 0
	v_cvt_f16_f32_e32 v10, v43
	v_lshlrev_b64 v[6:7], 1, v[6:7]
	s_waitcnt lgkmcnt(0)
	v_mov_b32_e32 v8, s13
	v_add_co_u32_e64 v6, s[6:7], s12, v6
	v_addc_co_u32_e64 v7, s[6:7], v8, v7, s[6:7]
	global_store_short v[6:7], v10, off
	s_or_b64 exec, exec, s[14:15]
	s_and_saveexec_b64 s[14:15], s[4:5]
	s_cbranch_execnz .LBB139_39
	s_branch .LBB139_40
.LBB139_74:
	v_add_u32_e32 v6, v5, v0
	v_mov_b32_e32 v7, 0
	v_cvt_f16_f32_e32 v10, v39
	v_lshlrev_b64 v[6:7], 1, v[6:7]
	s_waitcnt lgkmcnt(0)
	v_mov_b32_e32 v8, s13
	v_add_co_u32_e64 v6, s[6:7], s12, v6
	v_addc_co_u32_e64 v7, s[6:7], v8, v7, s[6:7]
	global_store_short v[6:7], v10, off
	s_or_b64 exec, exec, s[14:15]
	s_and_saveexec_b64 s[14:15], s[0:1]
	s_cbranch_execz .LBB139_43
.LBB139_75:
	v_add_u32_e32 v6, v5, v2
	v_mov_b32_e32 v7, 0
	v_cvt_f16_f32_e32 v10, v37
	v_lshlrev_b64 v[6:7], 1, v[6:7]
	s_waitcnt lgkmcnt(0)
	v_mov_b32_e32 v8, s13
	v_add_co_u32_e64 v6, s[6:7], s12, v6
	v_addc_co_u32_e64 v7, s[6:7], v8, v7, s[6:7]
	global_store_short v[6:7], v10, off
	s_or_b64 exec, exec, s[14:15]
	s_and_saveexec_b64 s[14:15], s[2:3]
	s_cbranch_execz .LBB139_44
.LBB139_76:
	v_add_u32_e32 v6, v5, v3
	v_mov_b32_e32 v7, 0
	v_cvt_f16_f32_e32 v10, v35
	v_lshlrev_b64 v[6:7], 1, v[6:7]
	s_waitcnt lgkmcnt(0)
	v_mov_b32_e32 v8, s13
	v_add_co_u32_e64 v6, s[6:7], s12, v6
	v_addc_co_u32_e64 v7, s[6:7], v8, v7, s[6:7]
	global_store_short v[6:7], v10, off
	s_or_b64 exec, exec, s[14:15]
	s_and_saveexec_b64 s[14:15], s[4:5]
	s_cbranch_execnz .LBB139_45
	s_branch .LBB139_46
.LBB139_77:
	v_add_u32_e32 v6, v5, v0
	v_mov_b32_e32 v7, 0
	v_cvt_f16_f32_e32 v10, v31
	v_lshlrev_b64 v[6:7], 1, v[6:7]
	s_waitcnt lgkmcnt(0)
	v_mov_b32_e32 v8, s13
	v_add_co_u32_e64 v6, s[6:7], s12, v6
	v_addc_co_u32_e64 v7, s[6:7], v8, v7, s[6:7]
	global_store_short v[6:7], v10, off
	s_or_b64 exec, exec, s[14:15]
	s_and_saveexec_b64 s[14:15], s[0:1]
	s_cbranch_execz .LBB139_49
.LBB139_78:
	v_add_u32_e32 v6, v5, v2
	v_mov_b32_e32 v7, 0
	v_cvt_f16_f32_e32 v10, v29
	v_lshlrev_b64 v[6:7], 1, v[6:7]
	s_waitcnt lgkmcnt(0)
	v_mov_b32_e32 v8, s13
	v_add_co_u32_e64 v6, s[6:7], s12, v6
	v_addc_co_u32_e64 v7, s[6:7], v8, v7, s[6:7]
	global_store_short v[6:7], v10, off
	s_or_b64 exec, exec, s[14:15]
	s_and_saveexec_b64 s[14:15], s[2:3]
	s_cbranch_execz .LBB139_50
.LBB139_79:
	v_add_u32_e32 v6, v5, v3
	v_mov_b32_e32 v7, 0
	v_cvt_f16_f32_e32 v10, v27
	v_lshlrev_b64 v[6:7], 1, v[6:7]
	s_waitcnt lgkmcnt(0)
	v_mov_b32_e32 v8, s13
	v_add_co_u32_e64 v6, s[6:7], s12, v6
	v_addc_co_u32_e64 v7, s[6:7], v8, v7, s[6:7]
	global_store_short v[6:7], v10, off
	s_or_b64 exec, exec, s[14:15]
	s_and_saveexec_b64 s[14:15], s[4:5]
	s_cbranch_execnz .LBB139_51
	s_branch .LBB139_52
.LBB139_80:
	v_add_u32_e32 v6, v5, v0
	v_mov_b32_e32 v7, 0
	v_cvt_f16_f32_e32 v10, v23
	v_lshlrev_b64 v[6:7], 1, v[6:7]
	s_waitcnt lgkmcnt(0)
	v_mov_b32_e32 v8, s13
	v_add_co_u32_e64 v6, s[6:7], s12, v6
	v_addc_co_u32_e64 v7, s[6:7], v8, v7, s[6:7]
	global_store_short v[6:7], v10, off
	s_or_b64 exec, exec, s[14:15]
	s_and_saveexec_b64 s[14:15], s[0:1]
	s_cbranch_execz .LBB139_55
.LBB139_81:
	v_add_u32_e32 v6, v5, v2
	v_mov_b32_e32 v7, 0
	v_cvt_f16_f32_e32 v10, v21
	v_lshlrev_b64 v[6:7], 1, v[6:7]
	s_waitcnt lgkmcnt(0)
	v_mov_b32_e32 v8, s13
	v_add_co_u32_e64 v6, s[6:7], s12, v6
	v_addc_co_u32_e64 v7, s[6:7], v8, v7, s[6:7]
	global_store_short v[6:7], v10, off
	s_or_b64 exec, exec, s[14:15]
	s_and_saveexec_b64 s[14:15], s[2:3]
	s_cbranch_execz .LBB139_56
.LBB139_82:
	v_add_u32_e32 v6, v5, v3
	v_mov_b32_e32 v7, 0
	v_cvt_f16_f32_e32 v10, v19
	v_lshlrev_b64 v[6:7], 1, v[6:7]
	s_waitcnt lgkmcnt(0)
	v_mov_b32_e32 v8, s13
	v_add_co_u32_e64 v6, s[6:7], s12, v6
	v_addc_co_u32_e64 v7, s[6:7], v8, v7, s[6:7]
	global_store_short v[6:7], v10, off
	s_or_b64 exec, exec, s[14:15]
	s_and_saveexec_b64 s[14:15], s[4:5]
	s_cbranch_execnz .LBB139_57
	s_branch .LBB139_58
.LBB139_83:
	v_add_u32_e32 v6, v1, v0
	v_mov_b32_e32 v7, 0
	v_cvt_f16_f32_e32 v5, v15
	v_lshlrev_b64 v[6:7], 1, v[6:7]
	s_waitcnt lgkmcnt(0)
	v_mov_b32_e32 v0, s13
	v_add_co_u32_e32 v6, vcc, s12, v6
	v_addc_co_u32_e32 v7, vcc, v0, v7, vcc
	global_store_short v[6:7], v5, off
	s_or_b64 exec, exec, s[6:7]
	s_and_saveexec_b64 s[6:7], s[0:1]
	s_cbranch_execz .LBB139_61
.LBB139_84:
	v_add_u32_e32 v6, v1, v2
	v_mov_b32_e32 v7, 0
	v_cvt_f16_f32_e32 v2, v13
	v_lshlrev_b64 v[6:7], 1, v[6:7]
	s_waitcnt lgkmcnt(0)
	v_mov_b32_e32 v0, s13
	v_add_co_u32_e32 v6, vcc, s12, v6
	v_addc_co_u32_e32 v7, vcc, v0, v7, vcc
	global_store_short v[6:7], v2, off
	s_or_b64 exec, exec, s[6:7]
	s_and_saveexec_b64 s[0:1], s[2:3]
	s_cbranch_execz .LBB139_62
.LBB139_85:
	v_add_u32_e32 v2, v1, v3
	v_mov_b32_e32 v3, 0
	v_cvt_f16_f32_e32 v5, v11
	v_lshlrev_b64 v[2:3], 1, v[2:3]
	s_waitcnt lgkmcnt(0)
	v_mov_b32_e32 v0, s13
	v_add_co_u32_e32 v2, vcc, s12, v2
	v_addc_co_u32_e32 v3, vcc, v0, v3, vcc
	global_store_short v[2:3], v5, off
	s_or_b64 exec, exec, s[0:1]
	s_and_b64 exec, exec, s[4:5]
	s_cbranch_execnz .LBB139_63
	s_branch .LBB139_64
	.section	.rodata,"a",@progbits
	.p2align	6, 0x0
	.amdhsa_kernel _ZL12mul_mat_q4_1IN3c104HalfELb0EEvPKvS3_PT_iiiii
		.amdhsa_group_segment_fixed_size 30336
		.amdhsa_private_segment_fixed_size 0
		.amdhsa_kernarg_size 44
		.amdhsa_user_sgpr_count 6
		.amdhsa_user_sgpr_private_segment_buffer 1
		.amdhsa_user_sgpr_dispatch_ptr 0
		.amdhsa_user_sgpr_queue_ptr 0
		.amdhsa_user_sgpr_kernarg_segment_ptr 1
		.amdhsa_user_sgpr_dispatch_id 0
		.amdhsa_user_sgpr_flat_scratch_init 0
		.amdhsa_user_sgpr_kernarg_preload_length 0
		.amdhsa_user_sgpr_kernarg_preload_offset 0
		.amdhsa_user_sgpr_private_segment_size 0
		.amdhsa_uses_dynamic_stack 0
		.amdhsa_system_sgpr_private_segment_wavefront_offset 0
		.amdhsa_system_sgpr_workgroup_id_x 1
		.amdhsa_system_sgpr_workgroup_id_y 1
		.amdhsa_system_sgpr_workgroup_id_z 0
		.amdhsa_system_sgpr_workgroup_info 0
		.amdhsa_system_vgpr_workitem_id 1
		.amdhsa_next_free_vgpr 170
		.amdhsa_next_free_sgpr 18
		.amdhsa_accum_offset 172
		.amdhsa_reserve_vcc 1
		.amdhsa_reserve_flat_scratch 0
		.amdhsa_float_round_mode_32 0
		.amdhsa_float_round_mode_16_64 0
		.amdhsa_float_denorm_mode_32 3
		.amdhsa_float_denorm_mode_16_64 3
		.amdhsa_dx10_clamp 1
		.amdhsa_ieee_mode 1
		.amdhsa_fp16_overflow 0
		.amdhsa_tg_split 0
		.amdhsa_exception_fp_ieee_invalid_op 0
		.amdhsa_exception_fp_denorm_src 0
		.amdhsa_exception_fp_ieee_div_zero 0
		.amdhsa_exception_fp_ieee_overflow 0
		.amdhsa_exception_fp_ieee_underflow 0
		.amdhsa_exception_fp_ieee_inexact 0
		.amdhsa_exception_int_div_zero 0
	.end_amdhsa_kernel
	.section	.text._ZL12mul_mat_q4_1IN3c104HalfELb0EEvPKvS3_PT_iiiii,"axG",@progbits,_ZL12mul_mat_q4_1IN3c104HalfELb0EEvPKvS3_PT_iiiii,comdat
.Lfunc_end139:
	.size	_ZL12mul_mat_q4_1IN3c104HalfELb0EEvPKvS3_PT_iiiii, .Lfunc_end139-_ZL12mul_mat_q4_1IN3c104HalfELb0EEvPKvS3_PT_iiiii
                                        ; -- End function
	.section	.AMDGPU.csdata,"",@progbits
; Kernel info:
; codeLenInByte = 10916
; NumSgprs: 22
; NumVgprs: 170
; NumAgprs: 0
; TotalNumVgprs: 170
; ScratchSize: 0
; MemoryBound: 0
; FloatMode: 240
; IeeeMode: 1
; LDSByteSize: 30336 bytes/workgroup (compile time only)
; SGPRBlocks: 2
; VGPRBlocks: 21
; NumSGPRsForWavesPerEU: 22
; NumVGPRsForWavesPerEU: 170
; AccumOffset: 172
; Occupancy: 2
; WaveLimiterHint : 0
; COMPUTE_PGM_RSRC2:SCRATCH_EN: 0
; COMPUTE_PGM_RSRC2:USER_SGPR: 6
; COMPUTE_PGM_RSRC2:TRAP_HANDLER: 0
; COMPUTE_PGM_RSRC2:TGID_X_EN: 1
; COMPUTE_PGM_RSRC2:TGID_Y_EN: 1
; COMPUTE_PGM_RSRC2:TGID_Z_EN: 0
; COMPUTE_PGM_RSRC2:TIDIG_COMP_CNT: 1
; COMPUTE_PGM_RSRC3_GFX90A:ACCUM_OFFSET: 42
; COMPUTE_PGM_RSRC3_GFX90A:TG_SPLIT: 0
	.section	.text._ZL12mul_mat_q4_1IN3c104HalfELb1EEvPKvS3_PT_iiiii,"axG",@progbits,_ZL12mul_mat_q4_1IN3c104HalfELb1EEvPKvS3_PT_iiiii,comdat
	.globl	_ZL12mul_mat_q4_1IN3c104HalfELb1EEvPKvS3_PT_iiiii ; -- Begin function _ZL12mul_mat_q4_1IN3c104HalfELb1EEvPKvS3_PT_iiiii
	.p2align	8
	.type	_ZL12mul_mat_q4_1IN3c104HalfELb1EEvPKvS3_PT_iiiii,@function
_ZL12mul_mat_q4_1IN3c104HalfELb1EEvPKvS3_PT_iiiii: ; @_ZL12mul_mat_q4_1IN3c104HalfELb1EEvPKvS3_PT_iiiii
; %bb.0:
	s_load_dwordx4 s[8:11], s[4:5], 0x18
	s_load_dword s14, s[4:5], 0x28
	s_lshl_b32 s15, s7, 6
	v_bfe_u32 v53, v0, 10, 10
	s_waitcnt lgkmcnt(0)
	s_cmp_gt_i32 s8, 31
	s_cbranch_scc1 .LBB140_2
; %bb.1:
	v_bfe_u32 v1, v0, 10, 10
	v_and_b32_e32 v49, 0x3ff, v0
	v_add_u32_e32 v67, s15, v1
	s_mov_b64 s[0:1], 0
	s_mov_b32 s2, 0
	s_branch .LBB140_3
.LBB140_2:
	s_mov_b64 s[0:1], -1
                                        ; implicit-def: $sgpr2
                                        ; implicit-def: $vgpr1
                                        ; implicit-def: $vgpr49
                                        ; implicit-def: $vgpr67
.LBB140_3:
	s_load_dwordx2 s[12:13], s[4:5], 0x10
	s_lshl_b32 s6, s6, 7
	s_andn2_b64 vcc, exec, s[0:1]
	v_mov_b32_e32 v9, s2
	v_mov_b32_e32 v17, s2
	;; [unrolled: 1-line block ×32, first 2 shown]
	s_cbranch_vccnz .LBB140_13
; %bb.4:
	s_load_dwordx4 s[0:3], s[4:5], 0x0
	s_ashr_i32 s4, s8, 31
	s_lshr_b32 s4, s4, 27
	s_ashr_i32 s5, s11, 31
	s_add_i32 s4, s8, s4
	s_lshr_b32 s5, s5, 27
	s_ashr_i32 s4, s4, 5
	s_add_i32 s5, s11, s5
	s_ashr_i32 s8, s5, 5
	s_mul_i32 s5, s4, s6
	s_mul_hi_i32 s7, s5, 20
	s_mul_i32 s5, s5, 20
	s_waitcnt lgkmcnt(0)
	s_add_u32 s0, s0, s5
	s_addc_u32 s1, s1, s7
	s_not_b32 s5, s6
	s_add_i32 s9, s5, s9
	v_and_b32_e32 v49, 0x3ff, v0
	v_lshlrev_b32_e32 v0, 2, v49
	v_min_i32_e32 v1, s9, v53
	s_movk_i32 s7, 0x84
	v_add_u32_e32 v4, 8, v53
	v_mul_lo_u32 v12, v1, s4
	v_mad_u64_u32 v[14:15], s[16:17], v1, s7, v[0:1]
	v_min_i32_e32 v1, s9, v4
	v_add_u32_e32 v5, 16, v53
	v_mul_lo_u32 v16, v1, s4
	v_mad_u64_u32 v[18:19], s[16:17], v1, s7, v[0:1]
	v_min_i32_e32 v1, s9, v5
	;; [unrolled: 4-line block ×7, first 2 shown]
	v_mul_lo_u32 v40, v1, s4
	v_mad_u64_u32 v[42:43], s[16:17], v1, s7, v[0:1]
	v_add_u32_e32 v1, 64, v53
	v_min_i32_e32 v1, s9, v1
	v_mul_lo_u32 v44, v1, s4
	v_mad_u64_u32 v[46:47], s[16:17], v1, s7, v[0:1]
	v_add_u32_e32 v1, 0x48, v53
	v_min_i32_e32 v1, s9, v1
	;; [unrolled: 4-line block ×8, first 2 shown]
	v_lshrrev_b32_e32 v77, 3, v49
	v_mul_lo_u32 v72, v1, s4
	v_mad_u64_u32 v[74:75], s[16:17], v1, s7, v[0:1]
	v_lshl_add_u32 v1, v53, 2, v77
	v_min_i32_e32 v2, s9, v1
	v_ashrrev_i32_e32 v3, 31, v2
	v_lshrrev_b32_e32 v3, 30, v3
	v_and_b32_e32 v76, 7, v49
	v_mul_lo_u32 v78, v2, s4
	v_add_u32_e32 v3, v2, v3
	v_lshlrev_b32_e32 v19, 5, v2
	v_add_u32_e32 v2, 32, v1
	v_and_b32_e32 v3, -4, v3
	v_lshlrev_b32_e32 v15, 2, v76
	s_movk_i32 s11, 0x6200
	v_min_i32_e32 v2, s9, v2
	v_add3_u32 v17, v3, v15, s11
	v_ashrrev_i32_e32 v3, 31, v2
	v_lshrrev_b32_e32 v3, 30, v3
	v_mul_lo_u32 v80, v2, s4
	v_add_u32_e32 v3, v2, v3
	v_lshlrev_b32_e32 v23, 5, v2
	v_add_u32_e32 v2, 64, v1
	v_and_b32_e32 v3, -4, v3
	v_min_i32_e32 v2, s9, v2
	v_add3_u32 v21, v3, v15, s11
	v_ashrrev_i32_e32 v3, 31, v2
	v_add_u32_e32 v1, 0x60, v1
	v_lshrrev_b32_e32 v3, 30, v3
	v_min_i32_e32 v1, s9, v1
	v_mul_lo_u32 v82, v2, s4
	v_add_u32_e32 v3, v2, v3
	v_lshlrev_b32_e32 v27, 5, v2
	v_ashrrev_i32_e32 v2, 31, v1
	v_lshrrev_b32_e32 v8, 2, v49
	v_and_b32_e32 v10, 12, v0
	v_lshrrev_b32_e32 v2, 30, v2
	v_and_b32_e32 v0, 28, v0
	v_mul_lo_u32 v84, v1, s4
	v_add_u32_e32 v2, v1, v2
	v_lshlrev_b32_e32 v29, 5, v1
	v_mov_b32_e32 v1, s3
	v_add_co_u32_e32 v86, vcc, s2, v0
	v_lshl_add_u32 v0, v53, 3, v8
	v_addc_co_u32_e32 v87, vcc, 0, v1, vcc
	v_and_b32_e32 v1, 63, v0
	s_add_i32 s9, s10, -1
	v_or_b32_e32 v33, s15, v1
	v_and_b32_e32 v0, 3, v49
	v_min_i32_e32 v33, s9, v33
	v_mad_u64_u32 v[88:89], s[16:17], v33, s8, v[0:1]
	v_lshlrev_b32_e32 v0, 2, v0
	v_and_b32_e32 v3, -4, v3
	v_and_b32_e32 v2, -4, v2
	v_add_u32_e32 v67, s15, v53
	v_lshl_or_b32 v0, v1, 4, v0
	v_add3_u32 v25, v3, v15, s11
	v_add3_u32 v15, v2, v15, s11
	v_cvt_f64_i32_e32 v[2:3], s9
	v_add_u32_e32 v81, 0x7280, v0
	v_cvt_f64_u32_e32 v[0:1], v67
	v_and_b32_e32 v31, 31, v49
	v_min_f64 v[0:1], v[0:1], v[2:3]
	v_cvt_i32_f64_e32 v0, v[0:1]
	v_lshlrev_b32_e32 v31, 2, v31
	v_lshlrev_b32_e32 v33, 7, v53
	v_mul_lo_u32 v83, s8, v0
	v_or_b32_e32 v0, v33, v31
	v_add_u32_e32 v85, 0x4200, v0
	v_add_u32_e32 v0, 8, v67
	v_cvt_f64_u32_e32 v[0:1], v0
	v_min_f64 v[0:1], v[0:1], v[2:3]
	v_cvt_i32_f64_e32 v0, v[0:1]
	v_mul_lo_u32 v89, s8, v0
	v_lshl_or_b32 v0, v4, 7, v31
	v_add_u32_e32 v92, 0x4200, v0
	v_add_u32_e32 v0, 16, v67
	v_cvt_f64_u32_e32 v[0:1], v0
	v_min_f64 v[0:1], v[0:1], v[2:3]
	v_cvt_i32_f64_e32 v0, v[0:1]
	v_mul_lo_u32 v93, s8, v0
	v_lshl_or_b32 v0, v5, 7, v31
	;; [unrolled: 7-line block ×7, first 2 shown]
	v_add_u32_e32 v104, 0x4200, v0
	v_add_u32_e32 v0, 32, v49
	;; [unrolled: 1-line block ×4, first 2 shown]
	v_lshlrev_b32_e32 v3, 5, v49
	v_lshrrev_b32_e32 v106, 3, v0
	v_and_b32_e32 v2, 0x1fc, v2
	v_and_b32_e32 v1, 0x1fc, v1
	;; [unrolled: 1-line block ×4, first 2 shown]
	v_add_u32_e32 v2, v3, v2
	v_add_u32_e32 v1, v3, v1
	;; [unrolled: 1-line block ×4, first 2 shown]
	v_mov_b32_e32 v4, 0x7280
	s_mov_b32 s5, 0
	v_mov_b32_e32 v57, 0
	v_mul_u32_u24_e32 v105, 0x84, v49
	v_add_u32_e32 v107, 0x6e00, v2
	v_add_u32_e32 v108, 0x6a00, v1
	;; [unrolled: 1-line block ×5, first 2 shown]
	v_lshl_add_u32 v112, v53, 4, v4
	v_add_u32_e32 v113, 0x6e10, v2
	v_add_u32_e32 v114, 0x6a10, v1
	;; [unrolled: 1-line block ×4, first 2 shown]
	v_mad_u32_u24 v117, v49, s7, 64
	v_add_u32_e32 v118, v17, v19
	v_add_u32_e32 v119, v21, v23
	v_add_u32_e32 v120, v25, v27
	v_add_u32_e32 v121, v15, v29
	v_mov_b32_e32 v71, 0
	v_mov_b32_e32 v61, 0
	;; [unrolled: 1-line block ×31, first 2 shown]
	s_branch .LBB140_6
.LBB140_5:                              ;   in Loop: Header=BB140_6 Depth=1
	s_add_i32 s5, s5, 8
	s_cmp_ge_i32 s5, s4
	s_cbranch_scc1 .LBB140_12
.LBB140_6:                              ; =>This Loop Header: Depth=1
                                        ;     Child Loop BB140_7 Depth 2
                                        ;     Child Loop BB140_10 Depth 2
	s_mul_i32 s8, s5, 20
	s_mul_hi_u32 s7, s5, 20
	s_add_u32 s8, s0, s8
	s_addc_u32 s9, s1, s7
	v_mad_u64_u32 v[0:1], s[16:17], v8, 20, s[8:9]
	v_add_co_u32_e32 v0, vcc, v0, v10
	v_addc_co_u32_e32 v1, vcc, 0, v1, vcc
	v_add_co_u32_e32 v0, vcc, 4, v0
	v_addc_co_u32_e32 v1, vcc, 0, v1, vcc
	v_mad_i64_i32 v[2:3], s[16:17], v12, 20, v[0:1]
	v_mad_i64_i32 v[4:5], s[16:17], v16, 20, v[0:1]
	;; [unrolled: 1-line block ×8, first 2 shown]
	global_load_dword v130, v[2:3], off
	global_load_dword v131, v[4:5], off
	;; [unrolled: 1-line block ×6, first 2 shown]
                                        ; kill: killed $vgpr124_vgpr125
                                        ; kill: killed $vgpr122_vgpr123
	global_load_dword v136, v[126:127], off
	global_load_dword v137, v[128:129], off
	v_mad_i64_i32 v[2:3], s[16:17], v44, 20, v[0:1]
	v_mad_i64_i32 v[4:5], s[16:17], v48, 20, v[0:1]
	;; [unrolled: 1-line block ×8, first 2 shown]
	global_load_dword v138, v[2:3], off
	global_load_dword v139, v[4:5], off
	;; [unrolled: 1-line block ×4, first 2 shown]
	s_nop 0
	global_load_dword v123, v[122:123], off
	s_nop 0
	global_load_dword v142, v[124:125], off
	global_load_dword v143, v[126:127], off
	;; [unrolled: 1-line block ×3, first 2 shown]
	v_mad_u64_u32 v[0:1], s[8:9], v76, 20, s[8:9]
	v_mad_i64_i32 v[2:3], s[8:9], v78, 20, v[0:1]
	v_mad_i64_i32 v[4:5], s[8:9], v80, 20, v[0:1]
	;; [unrolled: 1-line block ×4, first 2 shown]
	v_add_u32_e32 v128, s5, v77
	global_load_dword v145, v[2:3], off
	global_load_dword v146, v[4:5], off
	;; [unrolled: 1-line block ×4, first 2 shown]
	v_add_u32_e32 v0, v128, v83
	v_add_u32_e32 v2, v128, v89
	;; [unrolled: 1-line block ×5, first 2 shown]
	v_mad_i64_i32 v[0:1], s[8:9], v0, 36, v[86:87]
	v_mad_i64_i32 v[2:3], s[8:9], v2, 36, v[86:87]
	;; [unrolled: 1-line block ×5, first 2 shown]
	v_add_u32_e32 v124, v128, v99
	v_add_u32_e32 v126, v128, v101
	;; [unrolled: 1-line block ×3, first 2 shown]
	v_mad_i64_i32 v[124:125], s[8:9], v124, 36, v[86:87]
	v_mad_i64_i32 v[126:127], s[8:9], v126, 36, v[86:87]
	;; [unrolled: 1-line block ×3, first 2 shown]
	global_load_dword v149, v[0:1], off offset:4
	s_nop 0
	global_load_dword v2, v[2:3], off offset:4
	s_nop 0
	;; [unrolled: 2-line block ×3, first 2 shown]
	global_load_dword v4, v[6:7], off offset:4
	global_load_dword v5, v[90:91], off offset:4
	s_nop 0
	global_load_dword v6, v[124:125], off offset:4
	global_load_dword v7, v[126:127], off offset:4
	;; [unrolled: 1-line block ×3, first 2 shown]
	v_add_u32_e32 v122, s5, v88
	v_mad_u64_u32 v[0:1], s[8:9], v122, 36, s[2:3]
	global_load_dword v0, v[0:1], off
	v_mov_b32_e32 v124, v111
	s_mov_b32 s7, -4
	v_mov_b32_e32 v125, v105
	v_mov_b32_e32 v126, v110
	;; [unrolled: 1-line block ×3, first 2 shown]
	s_waitcnt vmcnt(28)
	ds_write_b32 v14, v130
	s_waitcnt vmcnt(27)
	ds_write_b32 v18, v131
	;; [unrolled: 2-line block ×29, first 2 shown]
	v_mov_b32_e32 v123, v112
	v_mov_b32_e32 v128, v108
	;; [unrolled: 1-line block ×3, first 2 shown]
	s_waitcnt lgkmcnt(0)
	s_barrier
.LBB140_7:                              ;   Parent Loop BB140_6 Depth=1
                                        ; =>  This Inner Loop Header: Depth=2
	ds_read_b128 v[0:3], v124
	ds_read_b128 v[4:7], v124 offset:16
	ds_read2_b32 v[90:91], v123 offset1:32
	ds_read_b32 v130, v126
	ds_read2_b32 v[134:135], v125 offset1:1
	ds_read2_b32 v[138:139], v125 offset0:2 offset1:3
	v_mov_b32_e32 v140, 0
	v_add_u32_e32 v144, 0x1088, v125
	v_mov_b32_e32 v146, 0
	s_waitcnt lgkmcnt(1)
	v_and_b32_e32 v131, 0xf0f0f0f, v134
	v_lshrrev_b32_e32 v132, 4, v134
	v_and_b32_e32 v132, 0xf0f0f0f, v132
	v_dot4c_i32_i8_e32 v140, v131, v0
	v_dot4c_i32_i8_e32 v140, v132, v4
	v_and_b32_e32 v133, 0xf0f0f0f, v135
	v_lshrrev_b32_e32 v134, 4, v135
	v_and_b32_e32 v134, 0xf0f0f0f, v134
	v_dot4c_i32_i8_e32 v140, v133, v1
	v_dot4c_i32_i8_e32 v140, v134, v5
	s_waitcnt lgkmcnt(0)
	v_and_b32_e32 v135, 0xf0f0f0f, v138
	v_lshrrev_b32_e32 v136, 4, v138
	v_and_b32_e32 v136, 0xf0f0f0f, v136
	v_dot4c_i32_i8_e32 v140, v135, v2
	v_dot4c_i32_i8_e32 v140, v136, v6
	v_and_b32_e32 v137, 0xf0f0f0f, v139
	v_lshrrev_b32_e32 v138, 4, v139
	v_and_b32_e32 v138, 0xf0f0f0f, v138
	v_dot4c_i32_i8_e32 v140, v137, v3
	v_dot4c_i32_i8_e32 v140, v138, v7
	v_pk_mul_f16 v139, v90, v130
	v_mov_b32_e32 v158, 0
	v_mov_b32_e32 v162, 0
	v_cvt_f32_i32_e32 v140, v140
	s_add_i32 s7, s7, 4
	v_add_u32_e32 v126, 4, v126
	s_cmp_lt_u32 s7, 12
	v_fma_mix_f32 v139, v139, v140, v139 op_sel:[0,0,1] op_sel_hi:[1,0,1]
	v_add_f32_e32 v57, v57, v139
	v_add_u32_e32 v140, 0x1080, v125
	ds_read_b32 v139, v127
	ds_read2_b32 v[142:143], v140 offset1:1
	ds_read2_b32 v[148:149], v144 offset1:1
	v_add_u32_e32 v127, 4, v127
	s_waitcnt lgkmcnt(1)
	v_and_b32_e32 v140, 0xf0f0f0f, v142
	v_lshrrev_b32_e32 v141, 4, v142
	v_and_b32_e32 v141, 0xf0f0f0f, v141
	v_dot4c_i32_i8_e32 v146, v140, v0
	v_dot4c_i32_i8_e32 v146, v141, v4
	v_and_b32_e32 v142, 0xf0f0f0f, v143
	v_lshrrev_b32_e32 v143, 4, v143
	v_and_b32_e32 v143, 0xf0f0f0f, v143
	v_dot4c_i32_i8_e32 v146, v142, v1
	v_dot4c_i32_i8_e32 v146, v143, v5
	s_waitcnt lgkmcnt(0)
	v_and_b32_e32 v144, 0xf0f0f0f, v148
	v_lshrrev_b32_e32 v145, 4, v148
	v_and_b32_e32 v145, 0xf0f0f0f, v145
	v_dot4c_i32_i8_e32 v146, v144, v2
	v_dot4c_i32_i8_e32 v146, v145, v6
	v_and_b32_e32 v147, 0xf0f0f0f, v149
	v_lshrrev_b32_e32 v148, 4, v149
	v_and_b32_e32 v148, 0xf0f0f0f, v148
	v_dot4c_i32_i8_e32 v146, v147, v3
	v_dot4c_i32_i8_e32 v146, v148, v7
	v_pk_mul_f16 v149, v90, v139
	s_nop 1
	v_cvt_f32_i32_e32 v146, v146
	v_fma_mix_f32 v146, v149, v146, v149 op_sel:[0,0,1] op_sel_hi:[1,0,1]
	v_add_f32_e32 v79, v79, v146
	v_add_u32_e32 v149, 0x2100, v125
	ds_read_b32 v146, v128
	ds_read2_b32 v[152:153], v149 offset1:1
	v_add_u32_e32 v128, 4, v128
	s_waitcnt lgkmcnt(0)
	v_and_b32_e32 v149, 0xf0f0f0f, v152
	v_lshrrev_b32_e32 v150, 4, v152
	v_and_b32_e32 v151, 0xf0f0f0f, v153
	v_lshrrev_b32_e32 v152, 4, v153
	v_add_u32_e32 v153, 0x2108, v125
	ds_read2_b32 v[154:155], v153 offset1:1
	v_and_b32_e32 v150, 0xf0f0f0f, v150
	v_dot4c_i32_i8_e32 v158, v149, v0
	v_dot4c_i32_i8_e32 v158, v150, v4
	v_and_b32_e32 v152, 0xf0f0f0f, v152
	v_dot4c_i32_i8_e32 v158, v151, v1
	v_dot4c_i32_i8_e32 v158, v152, v5
	s_waitcnt lgkmcnt(0)
	v_and_b32_e32 v153, 0xf0f0f0f, v154
	v_lshrrev_b32_e32 v154, 4, v154
	v_and_b32_e32 v154, 0xf0f0f0f, v154
	v_dot4c_i32_i8_e32 v158, v153, v2
	v_dot4c_i32_i8_e32 v158, v154, v6
	v_and_b32_e32 v156, 0xf0f0f0f, v155
	v_lshrrev_b32_e32 v155, 4, v155
	v_and_b32_e32 v157, 0xf0f0f0f, v155
	v_dot4c_i32_i8_e32 v158, v156, v3
	v_dot4c_i32_i8_e32 v158, v157, v7
	v_pk_mul_f16 v155, v90, v146
	s_nop 1
	v_cvt_f32_i32_e32 v158, v158
	v_fma_mix_f32 v155, v155, v158, v155 op_sel:[0,0,1] op_sel_hi:[1,0,1]
	v_add_f32_e32 v75, v75, v155
	v_add_u32_e32 v158, 0x3180, v125
	ds_read_b32 v155, v129
	ds_read2_b32 v[160:161], v158 offset1:1
	v_add_u32_e32 v129, 4, v129
	s_waitcnt lgkmcnt(0)
	v_and_b32_e32 v158, 0xf0f0f0f, v160
	v_lshrrev_b32_e32 v159, 4, v160
	v_and_b32_e32 v159, 0xf0f0f0f, v159
	v_dot4c_i32_i8_e32 v162, v158, v0
	v_lshrrev_b32_e32 v0, 4, v161
	v_dot4c_i32_i8_e32 v162, v159, v4
	v_and_b32_e32 v4, 0xf0f0f0f, v161
	v_and_b32_e32 v160, 0xf0f0f0f, v0
	v_add_u32_e32 v0, 0x3188, v125
	v_dot4c_i32_i8_e32 v162, v4, v1
	ds_read2_b32 v[0:1], v0 offset1:1
	v_dot4c_i32_i8_e32 v162, v160, v5
	v_add_u32_e32 v125, 16, v125
	s_waitcnt lgkmcnt(0)
	v_and_b32_e32 v5, 0xf0f0f0f, v0
	v_lshrrev_b32_e32 v0, 4, v0
	v_and_b32_e32 v161, 0xf0f0f0f, v0
	v_dot4c_i32_i8_e32 v162, v5, v2
	v_dot4c_i32_i8_e32 v162, v161, v6
	v_and_b32_e32 v2, 0xf0f0f0f, v1
	v_lshrrev_b32_e32 v0, 4, v1
	v_and_b32_e32 v6, 0xf0f0f0f, v0
	v_dot4c_i32_i8_e32 v162, v2, v3
	v_dot4c_i32_i8_e32 v162, v6, v7
	v_pk_mul_f16 v0, v90, v155
	v_mov_b32_e32 v3, 0
	s_nop 0
	v_cvt_f32_i32_e32 v1, v162
	ds_read_b128 v[162:165], v124 offset:1024
	ds_read_b128 v[166:169], v124 offset:1040
	v_fma_mix_f32 v0, v0, v1, v0 op_sel:[0,0,1] op_sel_hi:[1,0,1]
	v_add_f32_e32 v73, v73, v0
	v_mov_b32_e32 v0, 0
	s_waitcnt lgkmcnt(1)
	v_dot4c_i32_i8_e32 v0, v131, v162
	s_waitcnt lgkmcnt(0)
	v_dot4c_i32_i8_e32 v0, v132, v166
	v_dot4c_i32_i8_e32 v0, v133, v163
	v_dot4c_i32_i8_e32 v0, v134, v167
	v_dot4c_i32_i8_e32 v0, v135, v164
	v_dot4c_i32_i8_e32 v0, v136, v168
	v_dot4c_i32_i8_e32 v0, v137, v165
	v_dot4c_i32_i8_e32 v0, v138, v169
	v_pk_mul_f16 v1, v130, v91
	s_nop 1
	v_cvt_f32_i32_e32 v0, v0
	v_fma_mix_f32 v0, v0, v1, v1 op_sel:[0,0,1] op_sel_hi:[0,1,1]
	v_add_f32_e32 v71, v71, v0
	v_mov_b32_e32 v0, 0
	v_dot4c_i32_i8_e32 v0, v140, v162
	v_dot4c_i32_i8_e32 v0, v141, v166
	v_dot4c_i32_i8_e32 v0, v142, v163
	v_dot4c_i32_i8_e32 v0, v143, v167
	v_dot4c_i32_i8_e32 v0, v144, v164
	v_dot4c_i32_i8_e32 v0, v145, v168
	v_dot4c_i32_i8_e32 v0, v147, v165
	v_dot4c_i32_i8_e32 v0, v148, v169
	v_pk_mul_f16 v1, v139, v91
	s_nop 1
	v_cvt_f32_i32_e32 v0, v0
	v_fma_mix_f32 v0, v0, v1, v1 op_sel:[0,0,1] op_sel_hi:[0,1,1]
	v_add_f32_e32 v69, v69, v0
	v_mov_b32_e32 v0, 0
	v_dot4c_i32_i8_e32 v0, v149, v162
	;; [unrolled: 14-line block ×3, first 2 shown]
	v_dot4c_i32_i8_e32 v0, v159, v166
	v_dot4c_i32_i8_e32 v0, v4, v163
	;; [unrolled: 1-line block ×7, first 2 shown]
	v_pk_mul_f16 v1, v155, v91
	s_nop 1
	v_cvt_f32_i32_e32 v0, v0
	v_fma_mix_f32 v0, v0, v1, v1 op_sel:[0,0,1] op_sel_hi:[0,1,1]
	v_add_f32_e32 v63, v63, v0
	ds_read_b128 v[162:165], v124 offset:2048
	ds_read_b128 v[166:169], v124 offset:2064
	ds_read2_b32 v[0:1], v123 offset0:64 offset1:96
	s_waitcnt lgkmcnt(2)
	v_dot4c_i32_i8_e32 v3, v131, v162
	s_waitcnt lgkmcnt(1)
	v_dot4c_i32_i8_e32 v3, v132, v166
	v_dot4c_i32_i8_e32 v3, v133, v163
	v_dot4c_i32_i8_e32 v3, v134, v167
	v_dot4c_i32_i8_e32 v3, v135, v164
	v_dot4c_i32_i8_e32 v3, v136, v168
	v_dot4c_i32_i8_e32 v3, v137, v165
	v_dot4c_i32_i8_e32 v3, v138, v169
	s_waitcnt lgkmcnt(0)
	v_pk_mul_f16 v7, v130, v0
	s_nop 0
	v_cvt_f32_i32_e32 v3, v3
	v_fma_mix_f32 v3, v3, v7, v7 op_sel:[0,0,1] op_sel_hi:[0,1,1]
	v_add_f32_e32 v61, v61, v3
	v_mov_b32_e32 v3, 0
	v_dot4c_i32_i8_e32 v3, v140, v162
	v_dot4c_i32_i8_e32 v3, v141, v166
	;; [unrolled: 1-line block ×8, first 2 shown]
	v_pk_mul_f16 v7, v139, v0
	s_nop 1
	v_cvt_f32_i32_e32 v3, v3
	v_fma_mix_f32 v3, v3, v7, v7 op_sel:[0,0,1] op_sel_hi:[0,1,1]
	v_add_f32_e32 v59, v59, v3
	v_mov_b32_e32 v3, 0
	v_dot4c_i32_i8_e32 v3, v149, v162
	v_dot4c_i32_i8_e32 v3, v150, v166
	;; [unrolled: 1-line block ×8, first 2 shown]
	v_pk_mul_f16 v7, v146, v0
	v_pk_mul_f16 v0, v155, v0
	s_nop 0
	v_cvt_f32_i32_e32 v3, v3
	v_fma_mix_f32 v3, v3, v7, v7 op_sel:[0,0,1] op_sel_hi:[0,1,1]
	v_add_f32_e32 v55, v55, v3
	v_mov_b32_e32 v3, 0
	v_dot4c_i32_i8_e32 v3, v158, v162
	v_dot4c_i32_i8_e32 v3, v159, v166
	;; [unrolled: 1-line block ×8, first 2 shown]
	ds_read_b128 v[162:165], v124 offset:3072
	ds_read_b128 v[166:169], v124 offset:3088
	s_nop 0
	v_cvt_f32_i32_e32 v3, v3
	v_fma_mix_f32 v0, v3, v0, v0 op_sel:[0,0,1] op_sel_hi:[0,1,1]
	v_add_f32_e32 v51, v51, v0
	v_mov_b32_e32 v0, 0
	s_waitcnt lgkmcnt(1)
	v_dot4c_i32_i8_e32 v0, v131, v162
	s_waitcnt lgkmcnt(0)
	v_dot4c_i32_i8_e32 v0, v132, v166
	v_dot4c_i32_i8_e32 v0, v133, v163
	;; [unrolled: 1-line block ×7, first 2 shown]
	v_pk_mul_f16 v3, v130, v1
	s_nop 1
	v_cvt_f32_i32_e32 v0, v0
	v_fma_mix_f32 v0, v0, v3, v3 op_sel:[0,0,1] op_sel_hi:[0,1,1]
	v_add_f32_e32 v47, v47, v0
	v_mov_b32_e32 v0, 0
	v_dot4c_i32_i8_e32 v0, v140, v162
	v_dot4c_i32_i8_e32 v0, v141, v166
	;; [unrolled: 1-line block ×8, first 2 shown]
	v_pk_mul_f16 v3, v139, v1
	s_nop 1
	v_cvt_f32_i32_e32 v0, v0
	v_fma_mix_f32 v0, v0, v3, v3 op_sel:[0,0,1] op_sel_hi:[0,1,1]
	v_add_f32_e32 v45, v45, v0
	v_mov_b32_e32 v0, 0
	v_dot4c_i32_i8_e32 v0, v149, v162
	v_dot4c_i32_i8_e32 v0, v150, v166
	;; [unrolled: 1-line block ×8, first 2 shown]
	v_pk_mul_f16 v3, v146, v1
	v_pk_mul_f16 v1, v155, v1
	s_nop 0
	v_cvt_f32_i32_e32 v0, v0
	v_fma_mix_f32 v0, v0, v3, v3 op_sel:[0,0,1] op_sel_hi:[0,1,1]
	v_add_f32_e32 v43, v43, v0
	v_mov_b32_e32 v0, 0
	v_dot4c_i32_i8_e32 v0, v158, v162
	v_dot4c_i32_i8_e32 v0, v159, v166
	;; [unrolled: 1-line block ×8, first 2 shown]
	v_mov_b32_e32 v3, 0
	s_nop 1
	v_cvt_f32_i32_e32 v0, v0
	v_fma_mix_f32 v0, v0, v1, v1 op_sel:[0,0,1] op_sel_hi:[0,1,1]
	v_add_f32_e32 v41, v41, v0
	ds_read_b128 v[162:165], v124 offset:4096
	ds_read_b128 v[166:169], v124 offset:4112
	ds_read2_b32 v[0:1], v123 offset0:128 offset1:160
	s_waitcnt lgkmcnt(2)
	v_dot4c_i32_i8_e32 v3, v131, v162
	s_waitcnt lgkmcnt(1)
	v_dot4c_i32_i8_e32 v3, v132, v166
	v_dot4c_i32_i8_e32 v3, v133, v163
	;; [unrolled: 1-line block ×7, first 2 shown]
	s_waitcnt lgkmcnt(0)
	v_pk_mul_f16 v7, v130, v0
	s_nop 0
	v_cvt_f32_i32_e32 v3, v3
	v_fma_mix_f32 v3, v3, v7, v7 op_sel:[0,0,1] op_sel_hi:[0,1,1]
	v_add_f32_e32 v39, v39, v3
	v_mov_b32_e32 v3, 0
	v_dot4c_i32_i8_e32 v3, v140, v162
	v_dot4c_i32_i8_e32 v3, v141, v166
	;; [unrolled: 1-line block ×8, first 2 shown]
	v_pk_mul_f16 v7, v139, v0
	s_nop 1
	v_cvt_f32_i32_e32 v3, v3
	v_fma_mix_f32 v3, v3, v7, v7 op_sel:[0,0,1] op_sel_hi:[0,1,1]
	v_add_f32_e32 v37, v37, v3
	v_mov_b32_e32 v3, 0
	v_dot4c_i32_i8_e32 v3, v149, v162
	v_dot4c_i32_i8_e32 v3, v150, v166
	;; [unrolled: 1-line block ×8, first 2 shown]
	v_pk_mul_f16 v7, v146, v0
	v_pk_mul_f16 v0, v155, v0
	s_nop 0
	v_cvt_f32_i32_e32 v3, v3
	v_fma_mix_f32 v3, v3, v7, v7 op_sel:[0,0,1] op_sel_hi:[0,1,1]
	v_add_f32_e32 v35, v35, v3
	v_mov_b32_e32 v3, 0
	v_dot4c_i32_i8_e32 v3, v158, v162
	v_dot4c_i32_i8_e32 v3, v159, v166
	;; [unrolled: 1-line block ×8, first 2 shown]
	ds_read_b128 v[162:165], v124 offset:5120
	ds_read_b128 v[166:169], v124 offset:5136
	s_nop 0
	v_cvt_f32_i32_e32 v3, v3
	v_fma_mix_f32 v0, v3, v0, v0 op_sel:[0,0,1] op_sel_hi:[0,1,1]
	v_add_f32_e32 v33, v33, v0
	v_mov_b32_e32 v0, 0
	s_waitcnt lgkmcnt(1)
	v_dot4c_i32_i8_e32 v0, v131, v162
	s_waitcnt lgkmcnt(0)
	v_dot4c_i32_i8_e32 v0, v132, v166
	v_dot4c_i32_i8_e32 v0, v133, v163
	;; [unrolled: 1-line block ×7, first 2 shown]
	v_pk_mul_f16 v3, v130, v1
	s_nop 1
	v_cvt_f32_i32_e32 v0, v0
	v_fma_mix_f32 v0, v0, v3, v3 op_sel:[0,0,1] op_sel_hi:[0,1,1]
	v_add_f32_e32 v31, v31, v0
	v_mov_b32_e32 v0, 0
	v_dot4c_i32_i8_e32 v0, v140, v162
	v_dot4c_i32_i8_e32 v0, v141, v166
	;; [unrolled: 1-line block ×8, first 2 shown]
	v_pk_mul_f16 v3, v139, v1
	s_nop 1
	v_cvt_f32_i32_e32 v0, v0
	v_fma_mix_f32 v0, v0, v3, v3 op_sel:[0,0,1] op_sel_hi:[0,1,1]
	v_add_f32_e32 v29, v29, v0
	v_mov_b32_e32 v0, 0
	v_dot4c_i32_i8_e32 v0, v149, v162
	v_dot4c_i32_i8_e32 v0, v150, v166
	;; [unrolled: 1-line block ×8, first 2 shown]
	v_pk_mul_f16 v3, v146, v1
	v_pk_mul_f16 v1, v155, v1
	s_nop 0
	v_cvt_f32_i32_e32 v0, v0
	v_fma_mix_f32 v0, v0, v3, v3 op_sel:[0,0,1] op_sel_hi:[0,1,1]
	v_add_f32_e32 v27, v27, v0
	v_mov_b32_e32 v0, 0
	v_dot4c_i32_i8_e32 v0, v158, v162
	v_dot4c_i32_i8_e32 v0, v159, v166
	;; [unrolled: 1-line block ×8, first 2 shown]
	v_mov_b32_e32 v3, 0
	s_nop 1
	v_cvt_f32_i32_e32 v0, v0
	v_fma_mix_f32 v0, v0, v1, v1 op_sel:[0,0,1] op_sel_hi:[0,1,1]
	v_add_f32_e32 v25, v25, v0
	ds_read_b128 v[162:165], v124 offset:6144
	ds_read_b128 v[166:169], v124 offset:6160
	ds_read2_b32 v[0:1], v123 offset0:192 offset1:224
	v_add_u32_e32 v123, 4, v123
	s_waitcnt lgkmcnt(2)
	v_dot4c_i32_i8_e32 v3, v131, v162
	s_waitcnt lgkmcnt(1)
	v_dot4c_i32_i8_e32 v3, v132, v166
	v_dot4c_i32_i8_e32 v3, v133, v163
	;; [unrolled: 1-line block ×7, first 2 shown]
	s_waitcnt lgkmcnt(0)
	v_pk_mul_f16 v7, v130, v0
	s_nop 0
	v_cvt_f32_i32_e32 v3, v3
	v_fma_mix_f32 v3, v3, v7, v7 op_sel:[0,0,1] op_sel_hi:[0,1,1]
	v_add_f32_e32 v23, v23, v3
	v_mov_b32_e32 v3, 0
	v_dot4c_i32_i8_e32 v3, v140, v162
	v_dot4c_i32_i8_e32 v3, v141, v166
	;; [unrolled: 1-line block ×8, first 2 shown]
	v_pk_mul_f16 v7, v139, v0
	s_nop 1
	v_cvt_f32_i32_e32 v3, v3
	v_fma_mix_f32 v3, v3, v7, v7 op_sel:[0,0,1] op_sel_hi:[0,1,1]
	v_add_f32_e32 v21, v21, v3
	v_mov_b32_e32 v3, 0
	v_dot4c_i32_i8_e32 v3, v149, v162
	v_dot4c_i32_i8_e32 v3, v150, v166
	;; [unrolled: 1-line block ×8, first 2 shown]
	v_pk_mul_f16 v7, v146, v0
	v_pk_mul_f16 v0, v155, v0
	s_nop 0
	v_cvt_f32_i32_e32 v3, v3
	v_fma_mix_f32 v3, v3, v7, v7 op_sel:[0,0,1] op_sel_hi:[0,1,1]
	v_add_f32_e32 v19, v19, v3
	v_mov_b32_e32 v3, 0
	v_dot4c_i32_i8_e32 v3, v158, v162
	v_dot4c_i32_i8_e32 v3, v159, v166
	v_dot4c_i32_i8_e32 v3, v4, v163
	v_dot4c_i32_i8_e32 v3, v160, v167
	v_dot4c_i32_i8_e32 v3, v5, v164
	v_dot4c_i32_i8_e32 v3, v161, v168
	v_dot4c_i32_i8_e32 v3, v2, v165
	v_dot4c_i32_i8_e32 v3, v6, v169
	ds_read_b128 v[162:165], v124 offset:7168
	ds_read_b128 v[166:169], v124 offset:7184
	v_add_u32_e32 v124, 32, v124
	v_cvt_f32_i32_e32 v3, v3
	v_fma_mix_f32 v0, v3, v0, v0 op_sel:[0,0,1] op_sel_hi:[0,1,1]
	v_add_f32_e32 v17, v17, v0
	v_mov_b32_e32 v0, 0
	s_waitcnt lgkmcnt(1)
	v_dot4c_i32_i8_e32 v0, v131, v162
	s_waitcnt lgkmcnt(0)
	v_dot4c_i32_i8_e32 v0, v132, v166
	v_dot4c_i32_i8_e32 v0, v133, v163
	v_dot4c_i32_i8_e32 v0, v134, v167
	v_dot4c_i32_i8_e32 v0, v135, v164
	v_dot4c_i32_i8_e32 v0, v136, v168
	v_dot4c_i32_i8_e32 v0, v137, v165
	v_dot4c_i32_i8_e32 v0, v138, v169
	v_pk_mul_f16 v3, v130, v1
	s_nop 1
	v_cvt_f32_i32_e32 v0, v0
	v_fma_mix_f32 v0, v0, v3, v3 op_sel:[0,0,1] op_sel_hi:[0,1,1]
	v_add_f32_e32 v15, v15, v0
	v_mov_b32_e32 v0, 0
	v_dot4c_i32_i8_e32 v0, v140, v162
	v_dot4c_i32_i8_e32 v0, v141, v166
	;; [unrolled: 1-line block ×8, first 2 shown]
	v_pk_mul_f16 v3, v139, v1
	s_nop 1
	v_cvt_f32_i32_e32 v0, v0
	v_fma_mix_f32 v0, v0, v3, v3 op_sel:[0,0,1] op_sel_hi:[0,1,1]
	v_add_f32_e32 v13, v13, v0
	v_mov_b32_e32 v0, 0
	v_dot4c_i32_i8_e32 v0, v149, v162
	v_dot4c_i32_i8_e32 v0, v150, v166
	;; [unrolled: 1-line block ×8, first 2 shown]
	v_pk_mul_f16 v3, v146, v1
	v_pk_mul_f16 v1, v155, v1
	s_nop 0
	v_cvt_f32_i32_e32 v0, v0
	v_fma_mix_f32 v0, v0, v3, v3 op_sel:[0,0,1] op_sel_hi:[0,1,1]
	v_add_f32_e32 v11, v11, v0
	v_mov_b32_e32 v0, 0
	v_dot4c_i32_i8_e32 v0, v158, v162
	v_dot4c_i32_i8_e32 v0, v159, v166
	;; [unrolled: 1-line block ×8, first 2 shown]
	s_nop 2
	v_cvt_f32_i32_e32 v0, v0
	v_fma_mix_f32 v0, v0, v1, v1 op_sel:[0,0,1] op_sel_hi:[0,1,1]
	v_add_f32_e32 v9, v9, v0
	s_cbranch_scc1 .LBB140_7
; %bb.8:                                ;   in Loop: Header=BB140_6 Depth=1
	s_or_b32 s7, s5, 4
	s_cmp_ge_i32 s7, s4
	s_barrier
	s_cbranch_scc1 .LBB140_5
; %bb.9:                                ;   in Loop: Header=BB140_6 Depth=1
	v_add_u32_e32 v123, s5, v106
	v_add_u32_e32 v0, v123, v83
	;; [unrolled: 1-line block ×6, first 2 shown]
	v_mad_i64_i32 v[0:1], s[8:9], v0, 36, v[86:87]
	v_mad_i64_i32 v[2:3], s[8:9], v2, 36, v[86:87]
	;; [unrolled: 1-line block ×5, first 2 shown]
	v_add_u32_e32 v124, v123, v99
	v_add_u32_e32 v126, v123, v101
	;; [unrolled: 1-line block ×3, first 2 shown]
	v_mad_i64_i32 v[124:125], s[8:9], v124, 36, v[86:87]
	v_mad_i64_i32 v[126:127], s[8:9], v126, 36, v[86:87]
	v_mad_i64_i32 v[128:129], s[8:9], v123, 36, v[86:87]
	global_load_dword v130, v[0:1], off offset:4
	s_nop 0
	global_load_dword v2, v[2:3], off offset:4
	s_nop 0
	;; [unrolled: 2-line block ×3, first 2 shown]
	global_load_dword v4, v[6:7], off offset:4
	global_load_dword v5, v[90:91], off offset:4
                                        ; kill: killed $vgpr90_vgpr91
                                        ; kill: killed $vgpr6_vgpr7
	s_nop 0
	global_load_dword v6, v[124:125], off offset:4
	global_load_dword v7, v[126:127], off offset:4
	;; [unrolled: 1-line block ×3, first 2 shown]
	v_add_u32_e32 v0, 4, v122
	v_mad_u64_u32 v[0:1], s[8:9], v0, 36, s[2:3]
	global_load_dword v0, v[0:1], off
	s_mov_b32 s7, 12
	v_mov_b32_e32 v122, v112
	v_mov_b32_e32 v123, v111
	;; [unrolled: 1-line block ×7, first 2 shown]
	s_waitcnt vmcnt(8)
	ds_write_b32 v85, v130
	s_waitcnt vmcnt(7)
	ds_write_b32 v92, v2
	;; [unrolled: 2-line block ×9, first 2 shown]
	s_waitcnt lgkmcnt(0)
	s_barrier
.LBB140_10:                             ;   Parent Loop BB140_6 Depth=1
                                        ; =>  This Inner Loop Header: Depth=2
	ds_read_b128 v[0:3], v123
	ds_read_b128 v[4:7], v123 offset:16
	ds_read2_b32 v[90:91], v122 offset1:32
	ds_read_b32 v129, v125
	ds_read2_b32 v[132:133], v124 offset1:1
	ds_read2_b32 v[136:137], v124 offset0:2 offset1:3
	v_mov_b32_e32 v138, 0
	v_mov_b32_e32 v148, 0
	s_waitcnt lgkmcnt(2)
	v_pk_mul_f16 v139, v90, v129
	s_waitcnt lgkmcnt(1)
	v_and_b32_e32 v130, 0xf0f0f0f, v132
	v_lshrrev_b32_e32 v131, 4, v132
	v_and_b32_e32 v131, 0xf0f0f0f, v131
	v_dot4c_i32_i8_e32 v138, v130, v0
	v_dot4c_i32_i8_e32 v138, v131, v4
	v_and_b32_e32 v132, 0xf0f0f0f, v133
	v_lshrrev_b32_e32 v133, 4, v133
	v_and_b32_e32 v133, 0xf0f0f0f, v133
	v_dot4c_i32_i8_e32 v138, v132, v1
	v_dot4c_i32_i8_e32 v138, v133, v5
	s_waitcnt lgkmcnt(0)
	v_and_b32_e32 v134, 0xf0f0f0f, v136
	v_lshrrev_b32_e32 v135, 4, v136
	v_and_b32_e32 v135, 0xf0f0f0f, v135
	v_dot4c_i32_i8_e32 v138, v134, v2
	v_dot4c_i32_i8_e32 v138, v135, v6
	v_and_b32_e32 v136, 0xf0f0f0f, v137
	v_lshrrev_b32_e32 v137, 4, v137
	v_and_b32_e32 v137, 0xf0f0f0f, v137
	v_dot4c_i32_i8_e32 v138, v136, v3
	v_dot4c_i32_i8_e32 v138, v137, v7
	v_add_u32_e32 v152, 0x2108, v124
	v_mov_b32_e32 v154, 0
	v_mov_b32_e32 v161, 0
	v_cvt_f32_i32_e32 v138, v138
	s_add_i32 s7, s7, 4
	v_add_u32_e32 v125, 4, v125
	s_cmp_lt_u32 s7, 28
	v_fma_mix_f32 v138, v139, v138, v139 op_sel:[0,0,1] op_sel_hi:[1,0,1]
	v_add_f32_e32 v57, v57, v138
	v_add_u32_e32 v139, 0x1080, v124
	ds_read_b32 v138, v126
	ds_read2_b32 v[142:143], v139 offset1:1
	v_add_u32_e32 v126, 4, v126
	s_waitcnt lgkmcnt(0)
	v_and_b32_e32 v139, 0xf0f0f0f, v142
	v_lshrrev_b32_e32 v140, 4, v142
	v_and_b32_e32 v141, 0xf0f0f0f, v143
	v_lshrrev_b32_e32 v142, 4, v143
	v_add_u32_e32 v143, 0x1088, v124
	ds_read2_b32 v[144:145], v143 offset1:1
	v_and_b32_e32 v140, 0xf0f0f0f, v140
	v_dot4c_i32_i8_e32 v148, v139, v0
	v_dot4c_i32_i8_e32 v148, v140, v4
	v_and_b32_e32 v142, 0xf0f0f0f, v142
	v_dot4c_i32_i8_e32 v148, v141, v1
	v_dot4c_i32_i8_e32 v148, v142, v5
	s_waitcnt lgkmcnt(0)
	v_and_b32_e32 v143, 0xf0f0f0f, v144
	v_lshrrev_b32_e32 v144, 4, v144
	v_and_b32_e32 v144, 0xf0f0f0f, v144
	v_dot4c_i32_i8_e32 v148, v143, v2
	v_dot4c_i32_i8_e32 v148, v144, v6
	v_and_b32_e32 v146, 0xf0f0f0f, v145
	v_lshrrev_b32_e32 v145, 4, v145
	v_and_b32_e32 v147, 0xf0f0f0f, v145
	v_dot4c_i32_i8_e32 v148, v146, v3
	v_dot4c_i32_i8_e32 v148, v147, v7
	v_pk_mul_f16 v145, v90, v138
	s_nop 1
	v_cvt_f32_i32_e32 v148, v148
	v_fma_mix_f32 v145, v145, v148, v145 op_sel:[0,0,1] op_sel_hi:[1,0,1]
	v_add_f32_e32 v79, v79, v145
	v_add_u32_e32 v148, 0x2100, v124
	ds_read_b32 v145, v127
	ds_read2_b32 v[150:151], v148 offset1:1
	ds_read2_b32 v[156:157], v152 offset1:1
	v_add_u32_e32 v127, 4, v127
	s_waitcnt lgkmcnt(1)
	v_and_b32_e32 v148, 0xf0f0f0f, v150
	v_lshrrev_b32_e32 v149, 4, v150
	v_and_b32_e32 v149, 0xf0f0f0f, v149
	v_dot4c_i32_i8_e32 v154, v148, v0
	v_dot4c_i32_i8_e32 v154, v149, v4
	v_and_b32_e32 v150, 0xf0f0f0f, v151
	v_lshrrev_b32_e32 v151, 4, v151
	v_and_b32_e32 v151, 0xf0f0f0f, v151
	v_dot4c_i32_i8_e32 v154, v150, v1
	v_dot4c_i32_i8_e32 v154, v151, v5
	s_waitcnt lgkmcnt(0)
	v_and_b32_e32 v152, 0xf0f0f0f, v156
	v_lshrrev_b32_e32 v153, 4, v156
	v_and_b32_e32 v153, 0xf0f0f0f, v153
	v_dot4c_i32_i8_e32 v154, v152, v2
	v_dot4c_i32_i8_e32 v154, v153, v6
	v_and_b32_e32 v155, 0xf0f0f0f, v157
	v_lshrrev_b32_e32 v156, 4, v157
	v_and_b32_e32 v156, 0xf0f0f0f, v156
	v_dot4c_i32_i8_e32 v154, v155, v3
	v_dot4c_i32_i8_e32 v154, v156, v7
	v_pk_mul_f16 v157, v90, v145
	s_nop 1
	v_cvt_f32_i32_e32 v154, v154
	v_fma_mix_f32 v154, v157, v154, v157 op_sel:[0,0,1] op_sel_hi:[1,0,1]
	v_add_f32_e32 v75, v75, v154
	v_add_u32_e32 v157, 0x3180, v124
	ds_read_b32 v154, v128
	ds_read2_b32 v[158:159], v157 offset1:1
	v_add_u32_e32 v128, 4, v128
	s_waitcnt lgkmcnt(0)
	v_and_b32_e32 v157, 0xf0f0f0f, v158
	v_lshrrev_b32_e32 v158, 4, v158
	v_and_b32_e32 v158, 0xf0f0f0f, v158
	v_dot4c_i32_i8_e32 v161, v157, v0
	v_lshrrev_b32_e32 v0, 4, v159
	v_dot4c_i32_i8_e32 v161, v158, v4
	v_and_b32_e32 v4, 0xf0f0f0f, v159
	v_and_b32_e32 v159, 0xf0f0f0f, v0
	v_add_u32_e32 v0, 0x3188, v124
	v_dot4c_i32_i8_e32 v161, v4, v1
	ds_read2_b32 v[0:1], v0 offset1:1
	v_dot4c_i32_i8_e32 v161, v159, v5
	ds_read_b128 v[162:165], v123 offset:1024
	ds_read_b128 v[166:169], v123 offset:1040
	v_add_u32_e32 v124, 16, v124
	s_waitcnt lgkmcnt(2)
	v_and_b32_e32 v5, 0xf0f0f0f, v0
	v_lshrrev_b32_e32 v0, 4, v0
	v_and_b32_e32 v160, 0xf0f0f0f, v0
	v_dot4c_i32_i8_e32 v161, v5, v2
	v_dot4c_i32_i8_e32 v161, v160, v6
	v_and_b32_e32 v2, 0xf0f0f0f, v1
	v_lshrrev_b32_e32 v0, 4, v1
	v_and_b32_e32 v6, 0xf0f0f0f, v0
	v_dot4c_i32_i8_e32 v161, v2, v3
	v_dot4c_i32_i8_e32 v161, v6, v7
	v_pk_mul_f16 v0, v90, v154
	v_mov_b32_e32 v3, 0
	s_nop 0
	v_cvt_f32_i32_e32 v1, v161
	v_fma_mix_f32 v0, v0, v1, v0 op_sel:[0,0,1] op_sel_hi:[1,0,1]
	v_add_f32_e32 v73, v73, v0
	v_mov_b32_e32 v0, 0
	s_waitcnt lgkmcnt(1)
	v_dot4c_i32_i8_e32 v0, v130, v162
	s_waitcnt lgkmcnt(0)
	v_dot4c_i32_i8_e32 v0, v131, v166
	v_dot4c_i32_i8_e32 v0, v132, v163
	v_dot4c_i32_i8_e32 v0, v133, v167
	v_dot4c_i32_i8_e32 v0, v134, v164
	v_dot4c_i32_i8_e32 v0, v135, v168
	v_dot4c_i32_i8_e32 v0, v136, v165
	v_dot4c_i32_i8_e32 v0, v137, v169
	v_pk_mul_f16 v1, v129, v91
	s_nop 1
	v_cvt_f32_i32_e32 v0, v0
	v_fma_mix_f32 v0, v0, v1, v1 op_sel:[0,0,1] op_sel_hi:[0,1,1]
	v_add_f32_e32 v71, v71, v0
	v_mov_b32_e32 v0, 0
	v_dot4c_i32_i8_e32 v0, v139, v162
	v_dot4c_i32_i8_e32 v0, v140, v166
	v_dot4c_i32_i8_e32 v0, v141, v163
	v_dot4c_i32_i8_e32 v0, v142, v167
	v_dot4c_i32_i8_e32 v0, v143, v164
	v_dot4c_i32_i8_e32 v0, v144, v168
	v_dot4c_i32_i8_e32 v0, v146, v165
	v_dot4c_i32_i8_e32 v0, v147, v169
	v_pk_mul_f16 v1, v138, v91
	s_nop 1
	v_cvt_f32_i32_e32 v0, v0
	v_fma_mix_f32 v0, v0, v1, v1 op_sel:[0,0,1] op_sel_hi:[0,1,1]
	v_add_f32_e32 v69, v69, v0
	v_mov_b32_e32 v0, 0
	v_dot4c_i32_i8_e32 v0, v148, v162
	;; [unrolled: 14-line block ×3, first 2 shown]
	v_dot4c_i32_i8_e32 v0, v158, v166
	v_dot4c_i32_i8_e32 v0, v4, v163
	;; [unrolled: 1-line block ×7, first 2 shown]
	v_pk_mul_f16 v1, v154, v91
	s_nop 1
	v_cvt_f32_i32_e32 v0, v0
	v_fma_mix_f32 v0, v0, v1, v1 op_sel:[0,0,1] op_sel_hi:[0,1,1]
	v_add_f32_e32 v63, v63, v0
	ds_read_b128 v[162:165], v123 offset:2048
	ds_read_b128 v[166:169], v123 offset:2064
	ds_read2_b32 v[0:1], v122 offset0:64 offset1:96
	s_waitcnt lgkmcnt(2)
	v_dot4c_i32_i8_e32 v3, v130, v162
	s_waitcnt lgkmcnt(1)
	v_dot4c_i32_i8_e32 v3, v131, v166
	v_dot4c_i32_i8_e32 v3, v132, v163
	;; [unrolled: 1-line block ×7, first 2 shown]
	s_waitcnt lgkmcnt(0)
	v_pk_mul_f16 v7, v129, v0
	s_nop 0
	v_cvt_f32_i32_e32 v3, v3
	v_fma_mix_f32 v3, v3, v7, v7 op_sel:[0,0,1] op_sel_hi:[0,1,1]
	v_add_f32_e32 v61, v61, v3
	v_mov_b32_e32 v3, 0
	v_dot4c_i32_i8_e32 v3, v139, v162
	v_dot4c_i32_i8_e32 v3, v140, v166
	;; [unrolled: 1-line block ×8, first 2 shown]
	v_pk_mul_f16 v7, v138, v0
	s_nop 1
	v_cvt_f32_i32_e32 v3, v3
	v_fma_mix_f32 v3, v3, v7, v7 op_sel:[0,0,1] op_sel_hi:[0,1,1]
	v_add_f32_e32 v59, v59, v3
	v_mov_b32_e32 v3, 0
	v_dot4c_i32_i8_e32 v3, v148, v162
	v_dot4c_i32_i8_e32 v3, v149, v166
	;; [unrolled: 1-line block ×8, first 2 shown]
	v_pk_mul_f16 v7, v145, v0
	v_pk_mul_f16 v0, v154, v0
	s_nop 0
	v_cvt_f32_i32_e32 v3, v3
	v_fma_mix_f32 v3, v3, v7, v7 op_sel:[0,0,1] op_sel_hi:[0,1,1]
	v_add_f32_e32 v55, v55, v3
	v_mov_b32_e32 v3, 0
	v_dot4c_i32_i8_e32 v3, v157, v162
	v_dot4c_i32_i8_e32 v3, v158, v166
	;; [unrolled: 1-line block ×8, first 2 shown]
	ds_read_b128 v[162:165], v123 offset:3072
	ds_read_b128 v[166:169], v123 offset:3088
	s_nop 0
	v_cvt_f32_i32_e32 v3, v3
	v_fma_mix_f32 v0, v3, v0, v0 op_sel:[0,0,1] op_sel_hi:[0,1,1]
	v_add_f32_e32 v51, v51, v0
	v_mov_b32_e32 v0, 0
	s_waitcnt lgkmcnt(1)
	v_dot4c_i32_i8_e32 v0, v130, v162
	s_waitcnt lgkmcnt(0)
	v_dot4c_i32_i8_e32 v0, v131, v166
	v_dot4c_i32_i8_e32 v0, v132, v163
	;; [unrolled: 1-line block ×7, first 2 shown]
	v_pk_mul_f16 v3, v129, v1
	s_nop 1
	v_cvt_f32_i32_e32 v0, v0
	v_fma_mix_f32 v0, v0, v3, v3 op_sel:[0,0,1] op_sel_hi:[0,1,1]
	v_add_f32_e32 v47, v47, v0
	v_mov_b32_e32 v0, 0
	v_dot4c_i32_i8_e32 v0, v139, v162
	v_dot4c_i32_i8_e32 v0, v140, v166
	;; [unrolled: 1-line block ×8, first 2 shown]
	v_pk_mul_f16 v3, v138, v1
	s_nop 1
	v_cvt_f32_i32_e32 v0, v0
	v_fma_mix_f32 v0, v0, v3, v3 op_sel:[0,0,1] op_sel_hi:[0,1,1]
	v_add_f32_e32 v45, v45, v0
	v_mov_b32_e32 v0, 0
	v_dot4c_i32_i8_e32 v0, v148, v162
	v_dot4c_i32_i8_e32 v0, v149, v166
	;; [unrolled: 1-line block ×8, first 2 shown]
	v_pk_mul_f16 v3, v145, v1
	v_pk_mul_f16 v1, v154, v1
	s_nop 0
	v_cvt_f32_i32_e32 v0, v0
	v_fma_mix_f32 v0, v0, v3, v3 op_sel:[0,0,1] op_sel_hi:[0,1,1]
	v_add_f32_e32 v43, v43, v0
	v_mov_b32_e32 v0, 0
	v_dot4c_i32_i8_e32 v0, v157, v162
	v_dot4c_i32_i8_e32 v0, v158, v166
	;; [unrolled: 1-line block ×8, first 2 shown]
	v_mov_b32_e32 v3, 0
	s_nop 1
	v_cvt_f32_i32_e32 v0, v0
	v_fma_mix_f32 v0, v0, v1, v1 op_sel:[0,0,1] op_sel_hi:[0,1,1]
	v_add_f32_e32 v41, v41, v0
	ds_read_b128 v[162:165], v123 offset:4096
	ds_read_b128 v[166:169], v123 offset:4112
	ds_read2_b32 v[0:1], v122 offset0:128 offset1:160
	s_waitcnt lgkmcnt(2)
	v_dot4c_i32_i8_e32 v3, v130, v162
	s_waitcnt lgkmcnt(1)
	v_dot4c_i32_i8_e32 v3, v131, v166
	v_dot4c_i32_i8_e32 v3, v132, v163
	;; [unrolled: 1-line block ×7, first 2 shown]
	s_waitcnt lgkmcnt(0)
	v_pk_mul_f16 v7, v129, v0
	s_nop 0
	v_cvt_f32_i32_e32 v3, v3
	v_fma_mix_f32 v3, v3, v7, v7 op_sel:[0,0,1] op_sel_hi:[0,1,1]
	v_add_f32_e32 v39, v39, v3
	v_mov_b32_e32 v3, 0
	v_dot4c_i32_i8_e32 v3, v139, v162
	v_dot4c_i32_i8_e32 v3, v140, v166
	;; [unrolled: 1-line block ×8, first 2 shown]
	v_pk_mul_f16 v7, v138, v0
	s_nop 1
	v_cvt_f32_i32_e32 v3, v3
	v_fma_mix_f32 v3, v3, v7, v7 op_sel:[0,0,1] op_sel_hi:[0,1,1]
	v_add_f32_e32 v37, v37, v3
	v_mov_b32_e32 v3, 0
	v_dot4c_i32_i8_e32 v3, v148, v162
	v_dot4c_i32_i8_e32 v3, v149, v166
	v_dot4c_i32_i8_e32 v3, v150, v163
	v_dot4c_i32_i8_e32 v3, v151, v167
	v_dot4c_i32_i8_e32 v3, v152, v164
	v_dot4c_i32_i8_e32 v3, v153, v168
	v_dot4c_i32_i8_e32 v3, v155, v165
	v_dot4c_i32_i8_e32 v3, v156, v169
	v_pk_mul_f16 v7, v145, v0
	v_pk_mul_f16 v0, v154, v0
	s_nop 0
	v_cvt_f32_i32_e32 v3, v3
	v_fma_mix_f32 v3, v3, v7, v7 op_sel:[0,0,1] op_sel_hi:[0,1,1]
	v_add_f32_e32 v35, v35, v3
	v_mov_b32_e32 v3, 0
	v_dot4c_i32_i8_e32 v3, v157, v162
	v_dot4c_i32_i8_e32 v3, v158, v166
	;; [unrolled: 1-line block ×8, first 2 shown]
	ds_read_b128 v[162:165], v123 offset:5120
	ds_read_b128 v[166:169], v123 offset:5136
	s_nop 0
	v_cvt_f32_i32_e32 v3, v3
	v_fma_mix_f32 v0, v3, v0, v0 op_sel:[0,0,1] op_sel_hi:[0,1,1]
	v_add_f32_e32 v33, v33, v0
	v_mov_b32_e32 v0, 0
	s_waitcnt lgkmcnt(1)
	v_dot4c_i32_i8_e32 v0, v130, v162
	s_waitcnt lgkmcnt(0)
	v_dot4c_i32_i8_e32 v0, v131, v166
	v_dot4c_i32_i8_e32 v0, v132, v163
	;; [unrolled: 1-line block ×7, first 2 shown]
	v_pk_mul_f16 v3, v129, v1
	s_nop 1
	v_cvt_f32_i32_e32 v0, v0
	v_fma_mix_f32 v0, v0, v3, v3 op_sel:[0,0,1] op_sel_hi:[0,1,1]
	v_add_f32_e32 v31, v31, v0
	v_mov_b32_e32 v0, 0
	v_dot4c_i32_i8_e32 v0, v139, v162
	v_dot4c_i32_i8_e32 v0, v140, v166
	;; [unrolled: 1-line block ×8, first 2 shown]
	v_pk_mul_f16 v3, v138, v1
	s_nop 1
	v_cvt_f32_i32_e32 v0, v0
	v_fma_mix_f32 v0, v0, v3, v3 op_sel:[0,0,1] op_sel_hi:[0,1,1]
	v_add_f32_e32 v29, v29, v0
	v_mov_b32_e32 v0, 0
	v_dot4c_i32_i8_e32 v0, v148, v162
	v_dot4c_i32_i8_e32 v0, v149, v166
	;; [unrolled: 1-line block ×8, first 2 shown]
	v_pk_mul_f16 v3, v145, v1
	v_pk_mul_f16 v1, v154, v1
	s_nop 0
	v_cvt_f32_i32_e32 v0, v0
	v_fma_mix_f32 v0, v0, v3, v3 op_sel:[0,0,1] op_sel_hi:[0,1,1]
	v_add_f32_e32 v27, v27, v0
	v_mov_b32_e32 v0, 0
	v_dot4c_i32_i8_e32 v0, v157, v162
	v_dot4c_i32_i8_e32 v0, v158, v166
	v_dot4c_i32_i8_e32 v0, v4, v163
	v_dot4c_i32_i8_e32 v0, v159, v167
	v_dot4c_i32_i8_e32 v0, v5, v164
	v_dot4c_i32_i8_e32 v0, v160, v168
	v_dot4c_i32_i8_e32 v0, v2, v165
	v_dot4c_i32_i8_e32 v0, v6, v169
	v_mov_b32_e32 v3, 0
	s_nop 1
	v_cvt_f32_i32_e32 v0, v0
	v_fma_mix_f32 v0, v0, v1, v1 op_sel:[0,0,1] op_sel_hi:[0,1,1]
	v_add_f32_e32 v25, v25, v0
	ds_read_b128 v[162:165], v123 offset:6144
	ds_read_b128 v[166:169], v123 offset:6160
	ds_read2_b32 v[0:1], v122 offset0:192 offset1:224
	v_add_u32_e32 v122, 4, v122
	s_waitcnt lgkmcnt(2)
	v_dot4c_i32_i8_e32 v3, v130, v162
	s_waitcnt lgkmcnt(1)
	v_dot4c_i32_i8_e32 v3, v131, v166
	v_dot4c_i32_i8_e32 v3, v132, v163
	;; [unrolled: 1-line block ×7, first 2 shown]
	s_waitcnt lgkmcnt(0)
	v_pk_mul_f16 v7, v129, v0
	s_nop 0
	v_cvt_f32_i32_e32 v3, v3
	v_fma_mix_f32 v3, v3, v7, v7 op_sel:[0,0,1] op_sel_hi:[0,1,1]
	v_add_f32_e32 v23, v23, v3
	v_mov_b32_e32 v3, 0
	v_dot4c_i32_i8_e32 v3, v139, v162
	v_dot4c_i32_i8_e32 v3, v140, v166
	;; [unrolled: 1-line block ×8, first 2 shown]
	v_pk_mul_f16 v7, v138, v0
	s_nop 1
	v_cvt_f32_i32_e32 v3, v3
	v_fma_mix_f32 v3, v3, v7, v7 op_sel:[0,0,1] op_sel_hi:[0,1,1]
	v_add_f32_e32 v21, v21, v3
	v_mov_b32_e32 v3, 0
	v_dot4c_i32_i8_e32 v3, v148, v162
	v_dot4c_i32_i8_e32 v3, v149, v166
	;; [unrolled: 1-line block ×8, first 2 shown]
	v_pk_mul_f16 v7, v145, v0
	v_pk_mul_f16 v0, v154, v0
	s_nop 0
	v_cvt_f32_i32_e32 v3, v3
	v_fma_mix_f32 v3, v3, v7, v7 op_sel:[0,0,1] op_sel_hi:[0,1,1]
	v_add_f32_e32 v19, v19, v3
	v_mov_b32_e32 v3, 0
	v_dot4c_i32_i8_e32 v3, v157, v162
	v_dot4c_i32_i8_e32 v3, v158, v166
	;; [unrolled: 1-line block ×8, first 2 shown]
	ds_read_b128 v[162:165], v123 offset:7168
	ds_read_b128 v[166:169], v123 offset:7184
	v_add_u32_e32 v123, 32, v123
	v_cvt_f32_i32_e32 v3, v3
	v_fma_mix_f32 v0, v3, v0, v0 op_sel:[0,0,1] op_sel_hi:[0,1,1]
	v_add_f32_e32 v17, v17, v0
	v_mov_b32_e32 v0, 0
	s_waitcnt lgkmcnt(1)
	v_dot4c_i32_i8_e32 v0, v130, v162
	s_waitcnt lgkmcnt(0)
	v_dot4c_i32_i8_e32 v0, v131, v166
	v_dot4c_i32_i8_e32 v0, v132, v163
	;; [unrolled: 1-line block ×7, first 2 shown]
	v_pk_mul_f16 v3, v129, v1
	s_nop 1
	v_cvt_f32_i32_e32 v0, v0
	v_fma_mix_f32 v0, v0, v3, v3 op_sel:[0,0,1] op_sel_hi:[0,1,1]
	v_add_f32_e32 v15, v15, v0
	v_mov_b32_e32 v0, 0
	v_dot4c_i32_i8_e32 v0, v139, v162
	v_dot4c_i32_i8_e32 v0, v140, v166
	;; [unrolled: 1-line block ×8, first 2 shown]
	v_pk_mul_f16 v3, v138, v1
	s_nop 1
	v_cvt_f32_i32_e32 v0, v0
	v_fma_mix_f32 v0, v0, v3, v3 op_sel:[0,0,1] op_sel_hi:[0,1,1]
	v_add_f32_e32 v13, v13, v0
	v_mov_b32_e32 v0, 0
	v_dot4c_i32_i8_e32 v0, v148, v162
	v_dot4c_i32_i8_e32 v0, v149, v166
	;; [unrolled: 1-line block ×8, first 2 shown]
	v_pk_mul_f16 v3, v145, v1
	v_pk_mul_f16 v1, v154, v1
	s_nop 0
	v_cvt_f32_i32_e32 v0, v0
	v_fma_mix_f32 v0, v0, v3, v3 op_sel:[0,0,1] op_sel_hi:[0,1,1]
	v_add_f32_e32 v11, v11, v0
	v_mov_b32_e32 v0, 0
	v_dot4c_i32_i8_e32 v0, v157, v162
	v_dot4c_i32_i8_e32 v0, v158, v166
	;; [unrolled: 1-line block ×8, first 2 shown]
	s_nop 2
	v_cvt_f32_i32_e32 v0, v0
	v_fma_mix_f32 v0, v0, v1, v1 op_sel:[0,0,1] op_sel_hi:[0,1,1]
	v_add_f32_e32 v9, v9, v0
	s_cbranch_scc1 .LBB140_10
; %bb.11:                               ;   in Loop: Header=BB140_6 Depth=1
	s_barrier
	s_branch .LBB140_5
.LBB140_12:
	v_mov_b32_e32 v1, v53
.LBB140_13:
	v_cmp_gt_u32_e32 vcc, s10, v67
	s_and_saveexec_b64 s[0:1], vcc
	s_cbranch_execz .LBB140_64
; %bb.14:
	v_add_u32_e32 v0, s6, v49
	v_mul_lo_u32 v5, v67, s14
	v_cmp_gt_u32_e32 vcc, s14, v0
	s_and_saveexec_b64 s[2:3], vcc
	s_cbranch_execz .LBB140_16
; %bb.15:
	v_add_u32_e32 v2, v0, v5
	v_mov_b32_e32 v3, 0
	v_cvt_f16_f32_e32 v6, v57
	v_lshlrev_b64 v[2:3], 1, v[2:3]
	s_waitcnt lgkmcnt(0)
	v_mov_b32_e32 v4, s13
	v_add_co_u32_e64 v2, s[0:1], s12, v2
	v_addc_co_u32_e64 v3, s[0:1], v4, v3, s[0:1]
	global_store_short v[2:3], v6, off
.LBB140_16:
	s_or_b64 exec, exec, s[2:3]
	v_add_u32_e32 v2, 32, v0
	v_cmp_gt_u32_e64 s[0:1], s14, v2
	s_and_saveexec_b64 s[4:5], s[0:1]
	s_cbranch_execz .LBB140_18
; %bb.17:
	v_add_u32_e32 v6, v2, v5
	v_mov_b32_e32 v7, 0
	v_cvt_f16_f32_e32 v4, v79
	v_lshlrev_b64 v[6:7], 1, v[6:7]
	s_waitcnt lgkmcnt(0)
	v_mov_b32_e32 v3, s13
	v_add_co_u32_e64 v6, s[2:3], s12, v6
	v_addc_co_u32_e64 v7, s[2:3], v3, v7, s[2:3]
	global_store_short v[6:7], v4, off
.LBB140_18:
	s_or_b64 exec, exec, s[4:5]
	v_add_u32_e32 v3, 64, v0
	v_cmp_gt_u32_e64 s[2:3], s14, v3
	s_and_saveexec_b64 s[6:7], s[2:3]
	;; [unrolled: 16-line block ×3, first 2 shown]
	s_cbranch_execz .LBB140_22
; %bb.21:
	v_add_u32_e32 v6, v4, v5
	v_mov_b32_e32 v7, 0
	v_cvt_f16_f32_e32 v8, v73
	v_lshlrev_b64 v[6:7], 1, v[6:7]
	s_waitcnt lgkmcnt(0)
	v_mov_b32_e32 v5, s13
	v_add_co_u32_e64 v6, s[6:7], s12, v6
	v_addc_co_u32_e64 v7, s[6:7], v5, v7, s[6:7]
	global_store_short v[6:7], v8, off
.LBB140_22:
	s_or_b64 exec, exec, s[8:9]
	v_add3_u32 v5, v1, s15, 8
	v_cmp_gt_u32_e64 s[6:7], s10, v5
	s_and_b64 exec, exec, s[6:7]
	s_cbranch_execz .LBB140_64
; %bb.23:
	v_mul_lo_u32 v5, v5, s14
	s_and_saveexec_b64 s[8:9], vcc
	s_cbranch_execnz .LBB140_65
; %bb.24:
	s_or_b64 exec, exec, s[8:9]
	s_and_saveexec_b64 s[8:9], s[0:1]
	s_cbranch_execnz .LBB140_66
.LBB140_25:
	s_or_b64 exec, exec, s[8:9]
	s_and_saveexec_b64 s[8:9], s[2:3]
	s_cbranch_execnz .LBB140_67
.LBB140_26:
	s_or_b64 exec, exec, s[8:9]
	s_and_saveexec_b64 s[8:9], s[4:5]
	s_cbranch_execz .LBB140_28
.LBB140_27:
	v_add_u32_e32 v6, v5, v4
	v_mov_b32_e32 v7, 0
	v_cvt_f16_f32_e32 v8, v63
	v_lshlrev_b64 v[6:7], 1, v[6:7]
	s_waitcnt lgkmcnt(0)
	v_mov_b32_e32 v5, s13
	v_add_co_u32_e64 v6, s[6:7], s12, v6
	v_addc_co_u32_e64 v7, s[6:7], v5, v7, s[6:7]
	global_store_short v[6:7], v8, off
.LBB140_28:
	s_or_b64 exec, exec, s[8:9]
	v_add3_u32 v5, v1, s15, 16
	v_cmp_gt_u32_e64 s[6:7], s10, v5
	s_and_b64 exec, exec, s[6:7]
	s_cbranch_execz .LBB140_64
; %bb.29:
	v_mul_lo_u32 v5, v5, s14
	s_and_saveexec_b64 s[8:9], vcc
	s_cbranch_execnz .LBB140_68
; %bb.30:
	s_or_b64 exec, exec, s[8:9]
	s_and_saveexec_b64 s[8:9], s[0:1]
	s_cbranch_execnz .LBB140_69
.LBB140_31:
	s_or_b64 exec, exec, s[8:9]
	s_and_saveexec_b64 s[8:9], s[2:3]
	s_cbranch_execnz .LBB140_70
.LBB140_32:
	s_or_b64 exec, exec, s[8:9]
	s_and_saveexec_b64 s[8:9], s[4:5]
	s_cbranch_execz .LBB140_34
.LBB140_33:
	v_add_u32_e32 v6, v5, v4
	v_mov_b32_e32 v7, 0
	v_cvt_f16_f32_e32 v8, v51
	v_lshlrev_b64 v[6:7], 1, v[6:7]
	s_waitcnt lgkmcnt(0)
	v_mov_b32_e32 v5, s13
	v_add_co_u32_e64 v6, s[6:7], s12, v6
	v_addc_co_u32_e64 v7, s[6:7], v5, v7, s[6:7]
	global_store_short v[6:7], v8, off
.LBB140_34:
	s_or_b64 exec, exec, s[8:9]
	v_add3_u32 v5, v1, s15, 24
	v_cmp_gt_u32_e64 s[6:7], s10, v5
	s_and_b64 exec, exec, s[6:7]
	s_cbranch_execz .LBB140_64
; %bb.35:
	v_mul_lo_u32 v5, v5, s14
	s_and_saveexec_b64 s[8:9], vcc
	s_cbranch_execnz .LBB140_71
; %bb.36:
	s_or_b64 exec, exec, s[8:9]
	s_and_saveexec_b64 s[8:9], s[0:1]
	s_cbranch_execnz .LBB140_72
.LBB140_37:
	s_or_b64 exec, exec, s[8:9]
	s_and_saveexec_b64 s[8:9], s[2:3]
	s_cbranch_execnz .LBB140_73
.LBB140_38:
	s_or_b64 exec, exec, s[8:9]
	s_and_saveexec_b64 s[8:9], s[4:5]
	s_cbranch_execz .LBB140_40
.LBB140_39:
	v_add_u32_e32 v6, v5, v4
	v_mov_b32_e32 v7, 0
	v_cvt_f16_f32_e32 v8, v41
	v_lshlrev_b64 v[6:7], 1, v[6:7]
	s_waitcnt lgkmcnt(0)
	v_mov_b32_e32 v5, s13
	v_add_co_u32_e64 v6, s[6:7], s12, v6
	v_addc_co_u32_e64 v7, s[6:7], v5, v7, s[6:7]
	global_store_short v[6:7], v8, off
.LBB140_40:
	s_or_b64 exec, exec, s[8:9]
	v_add3_u32 v5, v1, s15, 32
	v_cmp_gt_u32_e64 s[6:7], s10, v5
	s_and_b64 exec, exec, s[6:7]
	s_cbranch_execz .LBB140_64
; %bb.41:
	v_mul_lo_u32 v5, v5, s14
	s_and_saveexec_b64 s[8:9], vcc
	s_cbranch_execnz .LBB140_74
; %bb.42:
	s_or_b64 exec, exec, s[8:9]
	s_and_saveexec_b64 s[8:9], s[0:1]
	s_cbranch_execnz .LBB140_75
.LBB140_43:
	s_or_b64 exec, exec, s[8:9]
	s_and_saveexec_b64 s[8:9], s[2:3]
	s_cbranch_execnz .LBB140_76
.LBB140_44:
	s_or_b64 exec, exec, s[8:9]
	s_and_saveexec_b64 s[8:9], s[4:5]
	s_cbranch_execz .LBB140_46
.LBB140_45:
	v_add_u32_e32 v6, v5, v4
	v_mov_b32_e32 v7, 0
	v_cvt_f16_f32_e32 v8, v33
	v_lshlrev_b64 v[6:7], 1, v[6:7]
	s_waitcnt lgkmcnt(0)
	v_mov_b32_e32 v5, s13
	v_add_co_u32_e64 v6, s[6:7], s12, v6
	v_addc_co_u32_e64 v7, s[6:7], v5, v7, s[6:7]
	global_store_short v[6:7], v8, off
.LBB140_46:
	s_or_b64 exec, exec, s[8:9]
	v_add3_u32 v5, v1, s15, 40
	v_cmp_gt_u32_e64 s[6:7], s10, v5
	s_and_b64 exec, exec, s[6:7]
	s_cbranch_execz .LBB140_64
; %bb.47:
	v_mul_lo_u32 v5, v5, s14
	s_and_saveexec_b64 s[8:9], vcc
	s_cbranch_execnz .LBB140_77
; %bb.48:
	s_or_b64 exec, exec, s[8:9]
	s_and_saveexec_b64 s[8:9], s[0:1]
	s_cbranch_execnz .LBB140_78
.LBB140_49:
	s_or_b64 exec, exec, s[8:9]
	s_and_saveexec_b64 s[8:9], s[2:3]
	s_cbranch_execnz .LBB140_79
.LBB140_50:
	s_or_b64 exec, exec, s[8:9]
	s_and_saveexec_b64 s[8:9], s[4:5]
	s_cbranch_execz .LBB140_52
.LBB140_51:
	v_add_u32_e32 v6, v5, v4
	v_mov_b32_e32 v7, 0
	v_cvt_f16_f32_e32 v8, v25
	v_lshlrev_b64 v[6:7], 1, v[6:7]
	s_waitcnt lgkmcnt(0)
	v_mov_b32_e32 v5, s13
	v_add_co_u32_e64 v6, s[6:7], s12, v6
	v_addc_co_u32_e64 v7, s[6:7], v5, v7, s[6:7]
	global_store_short v[6:7], v8, off
.LBB140_52:
	s_or_b64 exec, exec, s[8:9]
	v_add3_u32 v5, v1, s15, 48
	v_cmp_gt_u32_e64 s[6:7], s10, v5
	s_and_b64 exec, exec, s[6:7]
	s_cbranch_execz .LBB140_64
; %bb.53:
	v_mul_lo_u32 v5, v5, s14
	s_and_saveexec_b64 s[8:9], vcc
	s_cbranch_execnz .LBB140_80
; %bb.54:
	s_or_b64 exec, exec, s[8:9]
	s_and_saveexec_b64 s[8:9], s[0:1]
	s_cbranch_execnz .LBB140_81
.LBB140_55:
	s_or_b64 exec, exec, s[8:9]
	s_and_saveexec_b64 s[8:9], s[2:3]
	s_cbranch_execnz .LBB140_82
.LBB140_56:
	s_or_b64 exec, exec, s[8:9]
	s_and_saveexec_b64 s[8:9], s[4:5]
	s_cbranch_execz .LBB140_58
.LBB140_57:
	v_add_u32_e32 v6, v5, v4
	v_mov_b32_e32 v7, 0
	v_cvt_f16_f32_e32 v8, v17
	v_lshlrev_b64 v[6:7], 1, v[6:7]
	s_waitcnt lgkmcnt(0)
	v_mov_b32_e32 v5, s13
	v_add_co_u32_e64 v6, s[6:7], s12, v6
	v_addc_co_u32_e64 v7, s[6:7], v5, v7, s[6:7]
	global_store_short v[6:7], v8, off
.LBB140_58:
	s_or_b64 exec, exec, s[8:9]
	v_add3_u32 v1, v1, s15, 56
	v_cmp_gt_u32_e64 s[6:7], s10, v1
	s_and_b64 exec, exec, s[6:7]
	s_cbranch_execz .LBB140_64
; %bb.59:
	v_mul_lo_u32 v1, v1, s14
	s_and_saveexec_b64 s[6:7], vcc
	s_cbranch_execnz .LBB140_83
; %bb.60:
	s_or_b64 exec, exec, s[6:7]
	s_and_saveexec_b64 s[6:7], s[0:1]
	s_cbranch_execnz .LBB140_84
.LBB140_61:
	s_or_b64 exec, exec, s[6:7]
	s_and_saveexec_b64 s[0:1], s[2:3]
	s_cbranch_execnz .LBB140_85
.LBB140_62:
	s_or_b64 exec, exec, s[0:1]
	s_and_b64 exec, exec, s[4:5]
	s_cbranch_execz .LBB140_64
.LBB140_63:
	v_add_u32_e32 v0, v1, v4
	v_mov_b32_e32 v1, 0
	v_cvt_f16_f32_e32 v3, v9
	v_lshlrev_b64 v[0:1], 1, v[0:1]
	s_waitcnt lgkmcnt(0)
	v_mov_b32_e32 v2, s13
	v_add_co_u32_e32 v0, vcc, s12, v0
	v_addc_co_u32_e32 v1, vcc, v2, v1, vcc
	global_store_short v[0:1], v3, off
.LBB140_64:
	s_endpgm
.LBB140_65:
	v_add_u32_e32 v6, v5, v0
	v_mov_b32_e32 v7, 0
	v_cvt_f16_f32_e32 v10, v71
	v_lshlrev_b64 v[6:7], 1, v[6:7]
	s_waitcnt lgkmcnt(0)
	v_mov_b32_e32 v8, s13
	v_add_co_u32_e64 v6, s[6:7], s12, v6
	v_addc_co_u32_e64 v7, s[6:7], v8, v7, s[6:7]
	global_store_short v[6:7], v10, off
	s_or_b64 exec, exec, s[8:9]
	s_and_saveexec_b64 s[8:9], s[0:1]
	s_cbranch_execz .LBB140_25
.LBB140_66:
	v_add_u32_e32 v6, v5, v2
	v_mov_b32_e32 v7, 0
	v_cvt_f16_f32_e32 v10, v69
	v_lshlrev_b64 v[6:7], 1, v[6:7]
	s_waitcnt lgkmcnt(0)
	v_mov_b32_e32 v8, s13
	v_add_co_u32_e64 v6, s[6:7], s12, v6
	v_addc_co_u32_e64 v7, s[6:7], v8, v7, s[6:7]
	global_store_short v[6:7], v10, off
	s_or_b64 exec, exec, s[8:9]
	s_and_saveexec_b64 s[8:9], s[2:3]
	s_cbranch_execz .LBB140_26
.LBB140_67:
	v_add_u32_e32 v6, v5, v3
	v_mov_b32_e32 v7, 0
	v_cvt_f16_f32_e32 v10, v65
	v_lshlrev_b64 v[6:7], 1, v[6:7]
	s_waitcnt lgkmcnt(0)
	v_mov_b32_e32 v8, s13
	v_add_co_u32_e64 v6, s[6:7], s12, v6
	v_addc_co_u32_e64 v7, s[6:7], v8, v7, s[6:7]
	global_store_short v[6:7], v10, off
	s_or_b64 exec, exec, s[8:9]
	s_and_saveexec_b64 s[8:9], s[4:5]
	s_cbranch_execnz .LBB140_27
	s_branch .LBB140_28
.LBB140_68:
	v_add_u32_e32 v6, v5, v0
	v_mov_b32_e32 v7, 0
	v_cvt_f16_f32_e32 v10, v61
	v_lshlrev_b64 v[6:7], 1, v[6:7]
	s_waitcnt lgkmcnt(0)
	v_mov_b32_e32 v8, s13
	v_add_co_u32_e64 v6, s[6:7], s12, v6
	v_addc_co_u32_e64 v7, s[6:7], v8, v7, s[6:7]
	global_store_short v[6:7], v10, off
	s_or_b64 exec, exec, s[8:9]
	s_and_saveexec_b64 s[8:9], s[0:1]
	s_cbranch_execz .LBB140_31
.LBB140_69:
	v_add_u32_e32 v6, v5, v2
	v_mov_b32_e32 v7, 0
	v_cvt_f16_f32_e32 v10, v59
	v_lshlrev_b64 v[6:7], 1, v[6:7]
	s_waitcnt lgkmcnt(0)
	v_mov_b32_e32 v8, s13
	v_add_co_u32_e64 v6, s[6:7], s12, v6
	v_addc_co_u32_e64 v7, s[6:7], v8, v7, s[6:7]
	global_store_short v[6:7], v10, off
	s_or_b64 exec, exec, s[8:9]
	s_and_saveexec_b64 s[8:9], s[2:3]
	s_cbranch_execz .LBB140_32
.LBB140_70:
	v_add_u32_e32 v6, v5, v3
	v_mov_b32_e32 v7, 0
	v_cvt_f16_f32_e32 v10, v55
	v_lshlrev_b64 v[6:7], 1, v[6:7]
	s_waitcnt lgkmcnt(0)
	v_mov_b32_e32 v8, s13
	v_add_co_u32_e64 v6, s[6:7], s12, v6
	v_addc_co_u32_e64 v7, s[6:7], v8, v7, s[6:7]
	global_store_short v[6:7], v10, off
	s_or_b64 exec, exec, s[8:9]
	s_and_saveexec_b64 s[8:9], s[4:5]
	s_cbranch_execnz .LBB140_33
	s_branch .LBB140_34
.LBB140_71:
	v_add_u32_e32 v6, v5, v0
	v_mov_b32_e32 v7, 0
	v_cvt_f16_f32_e32 v10, v47
	v_lshlrev_b64 v[6:7], 1, v[6:7]
	s_waitcnt lgkmcnt(0)
	v_mov_b32_e32 v8, s13
	v_add_co_u32_e64 v6, s[6:7], s12, v6
	v_addc_co_u32_e64 v7, s[6:7], v8, v7, s[6:7]
	global_store_short v[6:7], v10, off
	s_or_b64 exec, exec, s[8:9]
	s_and_saveexec_b64 s[8:9], s[0:1]
	s_cbranch_execz .LBB140_37
.LBB140_72:
	v_add_u32_e32 v6, v5, v2
	v_mov_b32_e32 v7, 0
	v_cvt_f16_f32_e32 v10, v45
	v_lshlrev_b64 v[6:7], 1, v[6:7]
	s_waitcnt lgkmcnt(0)
	v_mov_b32_e32 v8, s13
	v_add_co_u32_e64 v6, s[6:7], s12, v6
	v_addc_co_u32_e64 v7, s[6:7], v8, v7, s[6:7]
	global_store_short v[6:7], v10, off
	s_or_b64 exec, exec, s[8:9]
	s_and_saveexec_b64 s[8:9], s[2:3]
	s_cbranch_execz .LBB140_38
.LBB140_73:
	v_add_u32_e32 v6, v5, v3
	v_mov_b32_e32 v7, 0
	v_cvt_f16_f32_e32 v10, v43
	v_lshlrev_b64 v[6:7], 1, v[6:7]
	s_waitcnt lgkmcnt(0)
	v_mov_b32_e32 v8, s13
	v_add_co_u32_e64 v6, s[6:7], s12, v6
	v_addc_co_u32_e64 v7, s[6:7], v8, v7, s[6:7]
	global_store_short v[6:7], v10, off
	s_or_b64 exec, exec, s[8:9]
	s_and_saveexec_b64 s[8:9], s[4:5]
	s_cbranch_execnz .LBB140_39
	s_branch .LBB140_40
.LBB140_74:
	v_add_u32_e32 v6, v5, v0
	v_mov_b32_e32 v7, 0
	v_cvt_f16_f32_e32 v10, v39
	v_lshlrev_b64 v[6:7], 1, v[6:7]
	s_waitcnt lgkmcnt(0)
	v_mov_b32_e32 v8, s13
	v_add_co_u32_e64 v6, s[6:7], s12, v6
	v_addc_co_u32_e64 v7, s[6:7], v8, v7, s[6:7]
	global_store_short v[6:7], v10, off
	s_or_b64 exec, exec, s[8:9]
	s_and_saveexec_b64 s[8:9], s[0:1]
	s_cbranch_execz .LBB140_43
.LBB140_75:
	v_add_u32_e32 v6, v5, v2
	v_mov_b32_e32 v7, 0
	v_cvt_f16_f32_e32 v10, v37
	v_lshlrev_b64 v[6:7], 1, v[6:7]
	s_waitcnt lgkmcnt(0)
	v_mov_b32_e32 v8, s13
	v_add_co_u32_e64 v6, s[6:7], s12, v6
	v_addc_co_u32_e64 v7, s[6:7], v8, v7, s[6:7]
	global_store_short v[6:7], v10, off
	s_or_b64 exec, exec, s[8:9]
	s_and_saveexec_b64 s[8:9], s[2:3]
	s_cbranch_execz .LBB140_44
.LBB140_76:
	v_add_u32_e32 v6, v5, v3
	v_mov_b32_e32 v7, 0
	v_cvt_f16_f32_e32 v10, v35
	v_lshlrev_b64 v[6:7], 1, v[6:7]
	s_waitcnt lgkmcnt(0)
	v_mov_b32_e32 v8, s13
	v_add_co_u32_e64 v6, s[6:7], s12, v6
	v_addc_co_u32_e64 v7, s[6:7], v8, v7, s[6:7]
	global_store_short v[6:7], v10, off
	s_or_b64 exec, exec, s[8:9]
	s_and_saveexec_b64 s[8:9], s[4:5]
	s_cbranch_execnz .LBB140_45
	s_branch .LBB140_46
.LBB140_77:
	v_add_u32_e32 v6, v5, v0
	v_mov_b32_e32 v7, 0
	v_cvt_f16_f32_e32 v10, v31
	v_lshlrev_b64 v[6:7], 1, v[6:7]
	s_waitcnt lgkmcnt(0)
	v_mov_b32_e32 v8, s13
	v_add_co_u32_e64 v6, s[6:7], s12, v6
	v_addc_co_u32_e64 v7, s[6:7], v8, v7, s[6:7]
	global_store_short v[6:7], v10, off
	s_or_b64 exec, exec, s[8:9]
	s_and_saveexec_b64 s[8:9], s[0:1]
	s_cbranch_execz .LBB140_49
.LBB140_78:
	v_add_u32_e32 v6, v5, v2
	v_mov_b32_e32 v7, 0
	v_cvt_f16_f32_e32 v10, v29
	v_lshlrev_b64 v[6:7], 1, v[6:7]
	s_waitcnt lgkmcnt(0)
	v_mov_b32_e32 v8, s13
	v_add_co_u32_e64 v6, s[6:7], s12, v6
	v_addc_co_u32_e64 v7, s[6:7], v8, v7, s[6:7]
	global_store_short v[6:7], v10, off
	s_or_b64 exec, exec, s[8:9]
	s_and_saveexec_b64 s[8:9], s[2:3]
	s_cbranch_execz .LBB140_50
.LBB140_79:
	v_add_u32_e32 v6, v5, v3
	v_mov_b32_e32 v7, 0
	v_cvt_f16_f32_e32 v10, v27
	v_lshlrev_b64 v[6:7], 1, v[6:7]
	s_waitcnt lgkmcnt(0)
	v_mov_b32_e32 v8, s13
	v_add_co_u32_e64 v6, s[6:7], s12, v6
	v_addc_co_u32_e64 v7, s[6:7], v8, v7, s[6:7]
	global_store_short v[6:7], v10, off
	s_or_b64 exec, exec, s[8:9]
	s_and_saveexec_b64 s[8:9], s[4:5]
	s_cbranch_execnz .LBB140_51
	s_branch .LBB140_52
.LBB140_80:
	v_add_u32_e32 v6, v5, v0
	v_mov_b32_e32 v7, 0
	v_cvt_f16_f32_e32 v10, v23
	v_lshlrev_b64 v[6:7], 1, v[6:7]
	s_waitcnt lgkmcnt(0)
	v_mov_b32_e32 v8, s13
	v_add_co_u32_e64 v6, s[6:7], s12, v6
	v_addc_co_u32_e64 v7, s[6:7], v8, v7, s[6:7]
	global_store_short v[6:7], v10, off
	s_or_b64 exec, exec, s[8:9]
	s_and_saveexec_b64 s[8:9], s[0:1]
	s_cbranch_execz .LBB140_55
.LBB140_81:
	v_add_u32_e32 v6, v5, v2
	v_mov_b32_e32 v7, 0
	v_cvt_f16_f32_e32 v10, v21
	v_lshlrev_b64 v[6:7], 1, v[6:7]
	s_waitcnt lgkmcnt(0)
	v_mov_b32_e32 v8, s13
	v_add_co_u32_e64 v6, s[6:7], s12, v6
	v_addc_co_u32_e64 v7, s[6:7], v8, v7, s[6:7]
	global_store_short v[6:7], v10, off
	s_or_b64 exec, exec, s[8:9]
	s_and_saveexec_b64 s[8:9], s[2:3]
	s_cbranch_execz .LBB140_56
.LBB140_82:
	v_add_u32_e32 v6, v5, v3
	v_mov_b32_e32 v7, 0
	v_cvt_f16_f32_e32 v10, v19
	v_lshlrev_b64 v[6:7], 1, v[6:7]
	s_waitcnt lgkmcnt(0)
	v_mov_b32_e32 v8, s13
	v_add_co_u32_e64 v6, s[6:7], s12, v6
	v_addc_co_u32_e64 v7, s[6:7], v8, v7, s[6:7]
	global_store_short v[6:7], v10, off
	s_or_b64 exec, exec, s[8:9]
	s_and_saveexec_b64 s[8:9], s[4:5]
	s_cbranch_execnz .LBB140_57
	s_branch .LBB140_58
.LBB140_83:
	v_add_u32_e32 v6, v1, v0
	v_mov_b32_e32 v7, 0
	v_cvt_f16_f32_e32 v5, v15
	v_lshlrev_b64 v[6:7], 1, v[6:7]
	s_waitcnt lgkmcnt(0)
	v_mov_b32_e32 v0, s13
	v_add_co_u32_e32 v6, vcc, s12, v6
	v_addc_co_u32_e32 v7, vcc, v0, v7, vcc
	global_store_short v[6:7], v5, off
	s_or_b64 exec, exec, s[6:7]
	s_and_saveexec_b64 s[6:7], s[0:1]
	s_cbranch_execz .LBB140_61
.LBB140_84:
	v_add_u32_e32 v6, v1, v2
	v_mov_b32_e32 v7, 0
	v_cvt_f16_f32_e32 v2, v13
	v_lshlrev_b64 v[6:7], 1, v[6:7]
	s_waitcnt lgkmcnt(0)
	v_mov_b32_e32 v0, s13
	v_add_co_u32_e32 v6, vcc, s12, v6
	v_addc_co_u32_e32 v7, vcc, v0, v7, vcc
	global_store_short v[6:7], v2, off
	s_or_b64 exec, exec, s[6:7]
	s_and_saveexec_b64 s[0:1], s[2:3]
	s_cbranch_execz .LBB140_62
.LBB140_85:
	v_add_u32_e32 v2, v1, v3
	v_mov_b32_e32 v3, 0
	v_cvt_f16_f32_e32 v5, v11
	v_lshlrev_b64 v[2:3], 1, v[2:3]
	s_waitcnt lgkmcnt(0)
	v_mov_b32_e32 v0, s13
	v_add_co_u32_e32 v2, vcc, s12, v2
	v_addc_co_u32_e32 v3, vcc, v0, v3, vcc
	global_store_short v[2:3], v5, off
	s_or_b64 exec, exec, s[0:1]
	s_and_b64 exec, exec, s[4:5]
	s_cbranch_execnz .LBB140_63
	s_branch .LBB140_64
	.section	.rodata,"a",@progbits
	.p2align	6, 0x0
	.amdhsa_kernel _ZL12mul_mat_q4_1IN3c104HalfELb1EEvPKvS3_PT_iiiii
		.amdhsa_group_segment_fixed_size 30336
		.amdhsa_private_segment_fixed_size 0
		.amdhsa_kernarg_size 44
		.amdhsa_user_sgpr_count 6
		.amdhsa_user_sgpr_private_segment_buffer 1
		.amdhsa_user_sgpr_dispatch_ptr 0
		.amdhsa_user_sgpr_queue_ptr 0
		.amdhsa_user_sgpr_kernarg_segment_ptr 1
		.amdhsa_user_sgpr_dispatch_id 0
		.amdhsa_user_sgpr_flat_scratch_init 0
		.amdhsa_user_sgpr_kernarg_preload_length 0
		.amdhsa_user_sgpr_kernarg_preload_offset 0
		.amdhsa_user_sgpr_private_segment_size 0
		.amdhsa_uses_dynamic_stack 0
		.amdhsa_system_sgpr_private_segment_wavefront_offset 0
		.amdhsa_system_sgpr_workgroup_id_x 1
		.amdhsa_system_sgpr_workgroup_id_y 1
		.amdhsa_system_sgpr_workgroup_id_z 0
		.amdhsa_system_sgpr_workgroup_info 0
		.amdhsa_system_vgpr_workitem_id 1
		.amdhsa_next_free_vgpr 170
		.amdhsa_next_free_sgpr 18
		.amdhsa_accum_offset 172
		.amdhsa_reserve_vcc 1
		.amdhsa_reserve_flat_scratch 0
		.amdhsa_float_round_mode_32 0
		.amdhsa_float_round_mode_16_64 0
		.amdhsa_float_denorm_mode_32 3
		.amdhsa_float_denorm_mode_16_64 3
		.amdhsa_dx10_clamp 1
		.amdhsa_ieee_mode 1
		.amdhsa_fp16_overflow 0
		.amdhsa_tg_split 0
		.amdhsa_exception_fp_ieee_invalid_op 0
		.amdhsa_exception_fp_denorm_src 0
		.amdhsa_exception_fp_ieee_div_zero 0
		.amdhsa_exception_fp_ieee_overflow 0
		.amdhsa_exception_fp_ieee_underflow 0
		.amdhsa_exception_fp_ieee_inexact 0
		.amdhsa_exception_int_div_zero 0
	.end_amdhsa_kernel
	.section	.text._ZL12mul_mat_q4_1IN3c104HalfELb1EEvPKvS3_PT_iiiii,"axG",@progbits,_ZL12mul_mat_q4_1IN3c104HalfELb1EEvPKvS3_PT_iiiii,comdat
.Lfunc_end140:
	.size	_ZL12mul_mat_q4_1IN3c104HalfELb1EEvPKvS3_PT_iiiii, .Lfunc_end140-_ZL12mul_mat_q4_1IN3c104HalfELb1EEvPKvS3_PT_iiiii
                                        ; -- End function
	.section	.AMDGPU.csdata,"",@progbits
; Kernel info:
; codeLenInByte = 11244
; NumSgprs: 22
; NumVgprs: 170
; NumAgprs: 0
; TotalNumVgprs: 170
; ScratchSize: 0
; MemoryBound: 0
; FloatMode: 240
; IeeeMode: 1
; LDSByteSize: 30336 bytes/workgroup (compile time only)
; SGPRBlocks: 2
; VGPRBlocks: 21
; NumSGPRsForWavesPerEU: 22
; NumVGPRsForWavesPerEU: 170
; AccumOffset: 172
; Occupancy: 2
; WaveLimiterHint : 0
; COMPUTE_PGM_RSRC2:SCRATCH_EN: 0
; COMPUTE_PGM_RSRC2:USER_SGPR: 6
; COMPUTE_PGM_RSRC2:TRAP_HANDLER: 0
; COMPUTE_PGM_RSRC2:TGID_X_EN: 1
; COMPUTE_PGM_RSRC2:TGID_Y_EN: 1
; COMPUTE_PGM_RSRC2:TGID_Z_EN: 0
; COMPUTE_PGM_RSRC2:TIDIG_COMP_CNT: 1
; COMPUTE_PGM_RSRC3_GFX90A:ACCUM_OFFSET: 42
; COMPUTE_PGM_RSRC3_GFX90A:TG_SPLIT: 0
	.section	.text._ZL12mul_mat_q5_0IN3c104HalfELb0EEvPKvS3_PT_iiiii,"axG",@progbits,_ZL12mul_mat_q5_0IN3c104HalfELb0EEvPKvS3_PT_iiiii,comdat
	.globl	_ZL12mul_mat_q5_0IN3c104HalfELb0EEvPKvS3_PT_iiiii ; -- Begin function _ZL12mul_mat_q5_0IN3c104HalfELb0EEvPKvS3_PT_iiiii
	.p2align	8
	.type	_ZL12mul_mat_q5_0IN3c104HalfELb0EEvPKvS3_PT_iiiii,@function
_ZL12mul_mat_q5_0IN3c104HalfELb0EEvPKvS3_PT_iiiii: ; @_ZL12mul_mat_q5_0IN3c104HalfELb0EEvPKvS3_PT_iiiii
; %bb.0:
	s_load_dword s14, s[4:5], 0x18
	s_load_dwordx4 s[8:11], s[4:5], 0x20
	s_waitcnt lgkmcnt(0)
	s_lshl_b32 s11, s7, 6
	v_bfe_u32 v33, v0, 10, 10
	s_cmp_gt_i32 s14, 31
	s_cbranch_scc1 .LBB141_2
; %bb.1:
	v_bfe_u32 v32, v0, 10, 10
	s_mov_b32 s0, 0
	v_and_b32_e32 v1, 0x3ff, v0
	v_add_u32_e32 v37, s11, v32
	s_mov_b32 s1, s0
	s_mov_b64 s[2:3], 0
	s_branch .LBB141_3
.LBB141_2:
	s_mov_b64 s[2:3], -1
                                        ; implicit-def: $sgpr0_sgpr1
                                        ; implicit-def: $vgpr32
                                        ; implicit-def: $vgpr1
                                        ; implicit-def: $vgpr37
.LBB141_3:
	s_load_dwordx2 s[12:13], s[4:5], 0x10
	s_lshl_b32 s6, s6, 7
	s_andn2_b64 vcc, exec, s[2:3]
	v_pk_mov_b32 v[2:3], s[0:1], s[0:1] op_sel:[0,1]
	v_pk_mov_b32 v[10:11], s[0:1], s[0:1] op_sel:[0,1]
	;; [unrolled: 1-line block ×16, first 2 shown]
	s_cbranch_vccnz .LBB141_13
; %bb.4:
	s_load_dwordx4 s[0:3], s[4:5], 0x0
	s_ashr_i32 s4, s14, 31
	s_lshr_b32 s4, s4, 27
	s_ashr_i32 s5, s9, 31
	s_add_i32 s4, s14, s4
	s_lshr_b32 s5, s5, 27
	s_ashr_i32 s7, s4, 5
	s_add_i32 s5, s9, s5
	s_ashr_i32 s15, s5, 5
	s_mul_i32 s5, s7, s6
	s_mul_hi_i32 s14, s5, 22
	s_mul_i32 s5, s5, 22
	s_waitcnt lgkmcnt(0)
	s_add_u32 s9, s0, s5
	s_addc_u32 s14, s1, s14
	v_mul_lo_u32 v36, s7, v33
	s_lshl_b32 s5, s7, 3
	v_add_u32_e32 v38, s5, v36
	v_add_u32_e32 v40, s5, v38
	;; [unrolled: 1-line block ×11, first 2 shown]
	v_and_b32_e32 v1, 0x3ff, v0
	v_add_u32_e32 v60, s5, v58
	v_lshlrev_b32_e32 v3, 3, v1
	s_movk_i32 s1, 0x104
	v_add_u32_e32 v62, s5, v60
	v_lshrrev_b32_e32 v71, 3, v1
	v_mad_u32_u24 v39, v33, s1, v3
	v_add_u32_e32 v64, s5, v62
	v_and_b32_e32 v68, 7, v1
	v_lshl_add_u32 v3, v33, 2, v71
	v_add_u32_e32 v66, s5, v64
	v_and_b32_e32 v4, 0x7fc, v3
	v_lshlrev_b32_e32 v5, 2, v68
	s_mov_b32 s5, 0xa200
	v_add3_u32 v6, v4, v5, s5
	v_add_u32_e32 v4, 32, v3
	v_mul_lo_u32 v70, s7, v3
	v_lshlrev_b32_e32 v7, 5, v3
	v_and_b32_e32 v8, 0xffc, v4
	v_lshlrev_b32_e32 v9, 5, v4
	v_add_u32_e32 v4, 64, v3
	v_add_u32_e32 v3, 0x60, v3
	v_and_b32_e32 v10, 0xffc, v4
	v_lshlrev_b32_e32 v11, 5, v4
	v_and_b32_e32 v4, 0xffc, v3
	v_lshlrev_b32_e32 v13, 5, v3
	v_lshlrev_b32_e32 v3, 2, v1
	v_lshrrev_b32_e32 v0, 2, v1
	s_andn2_b32 s4, s4, 31
	v_and_b32_e32 v3, 28, v3
	v_add_u32_e32 v72, s4, v70
	v_add_co_u32_e32 v78, vcc, s2, v3
	v_lshl_add_u32 v3, v33, 3, v0
	v_add_u32_e32 v74, s4, v72
	v_mov_b32_e32 v15, s3
	v_and_b32_e32 v3, 63, v3
	v_and_b32_e32 v2, 3, v1
	v_add_u32_e32 v76, s4, v74
	s_add_i32 s4, s8, -1
	v_addc_co_u32_e32 v79, vcc, 0, v15, vcc
	v_or_b32_e32 v15, s11, v3
	v_lshlrev_b32_e32 v32, 2, v2
	v_min_i32_e32 v15, s4, v15
	v_add3_u32 v8, v8, v5, s5
	v_add3_u32 v10, v10, v5, s5
	;; [unrolled: 1-line block ×3, first 2 shown]
	v_add_u32_e32 v37, s11, v33
	v_cvt_f64_i32_e32 v[4:5], s4
	v_mad_u64_u32 v[80:81], s[4:5], v15, s15, v[2:3]
	v_lshl_or_b32 v2, v3, 4, v32
	v_add_u32_e32 v73, 0xb280, v2
	v_cvt_f64_u32_e32 v[2:3], v37
	v_min_f64 v[2:3], v[2:3], v[4:5]
	v_cvt_i32_f64_e32 v2, v[2:3]
	v_mul_lo_u32 v75, s15, v2
	v_add_u32_e32 v2, 8, v37
	v_cvt_f64_u32_e32 v[2:3], v2
	v_min_f64 v[2:3], v[2:3], v[4:5]
	v_cvt_i32_f64_e32 v2, v[2:3]
	v_mul_lo_u32 v81, s15, v2
	;; [unrolled: 5-line block ×8, first 2 shown]
	v_add_u32_e32 v2, 32, v1
	v_lshlrev_b32_e32 v5, 5, v1
	v_lshrrev_b32_e32 v135, 3, v2
	v_and_b32_e32 v2, 0x1fc, v2
	v_and_b32_e32 v14, 31, v1
	v_lshlrev_b32_e32 v15, 7, v33
	v_add_u32_e32 v2, v5, v2
	s_mov_b32 s0, 0
	v_lshl_or_b32 v14, v14, 2, v15
	v_add_u32_e32 v3, 64, v1
	v_add_u32_e32 v4, 0x60, v1
	;; [unrolled: 1-line block ×4, first 2 shown]
	v_mov_b32_e32 v2, 0x80
	v_add_u32_e32 v77, 0x8200, v14
	v_add_u32_e32 v85, 0x8600, v14
	;; [unrolled: 1-line block ×8, first 2 shown]
	v_and_b32_e32 v4, 0x1fc, v4
	v_and_b32_e32 v3, 0x1fc, v3
	;; [unrolled: 1-line block ×3, first 2 shown]
	v_mad_u32_u24 v146, v1, s1, v2
	s_mov_b32 s1, s0
	v_add_u32_e32 v4, v5, v4
	v_add_u32_e32 v3, v5, v3
	;; [unrolled: 1-line block ×3, first 2 shown]
	v_mov_b32_e32 v14, 0xb280
	v_pk_mov_b32 v[34:35], s[0:1], s[0:1] op_sel:[0,1]
	v_add_u32_e32 v41, 0x820, v39
	v_add_u32_e32 v43, 0x1040, v39
	;; [unrolled: 1-line block ×15, first 2 shown]
	v_mul_u32_u24_e32 v134, 0x104, v1
	v_add_u32_e32 v136, 0xae00, v4
	v_add_u32_e32 v137, 0xaa00, v3
	;; [unrolled: 1-line block ×4, first 2 shown]
	v_lshl_add_u32 v141, v33, 4, v14
	v_add_u32_e32 v142, 0xae10, v4
	v_add_u32_e32 v143, 0xaa10, v3
	;; [unrolled: 1-line block ×3, first 2 shown]
	s_movk_i32 s1, 0x1f00
	s_movk_i32 s15, 0xf000
	s_movk_i32 s16, 0xff00
	v_add_u32_e32 v147, v6, v7
	v_add_u32_e32 v148, v8, v9
	;; [unrolled: 1-line block ×4, first 2 shown]
	v_mov_b32_e32 v151, 8
	v_pk_mov_b32 v[24:25], v[34:35], v[34:35] op_sel:[0,1]
	v_pk_mov_b32 v[16:17], v[34:35], v[34:35] op_sel:[0,1]
	;; [unrolled: 1-line block ×15, first 2 shown]
	s_branch .LBB141_6
.LBB141_5:                              ;   in Loop: Header=BB141_6 Depth=1
	s_add_i32 s0, s0, 8
	s_cmp_ge_i32 s0, s7
	s_cbranch_scc1 .LBB141_12
.LBB141_6:                              ; =>This Loop Header: Depth=1
                                        ;     Child Loop BB141_7 Depth 2
                                        ;     Child Loop BB141_10 Depth 2
	s_mul_i32 s4, s0, 22
	s_mul_hi_u32 s5, s0, 22
	s_add_u32 s4, s9, s4
	s_addc_u32 s5, s14, s5
	v_mad_u64_u32 v[82:83], s[18:19], v0, 22, s[4:5]
	v_mad_u64_u32 v[88:89], s[18:19], v36, 22, v[82:83]
	v_add_co_u32_e32 v92, vcc, v88, v32
	v_addc_co_u32_e32 v93, vcc, 0, v89, vcc
	v_mad_u64_u32 v[98:99], s[18:19], v42, 22, v[82:83]
	v_mad_u64_u32 v[94:95], s[18:19], v38, 22, v[82:83]
	;; [unrolled: 1-line block ×3, first 2 shown]
	global_load_dword v84, v[98:99], off offset:2
	global_load_dword v86, v[96:97], off offset:2
	;; [unrolled: 1-line block ×3, first 2 shown]
	s_nop 0
	global_load_dword v92, v[92:93], off offset:6
	s_nop 0
	global_load_dword v93, v[88:89], off offset:2
	v_add_co_u32_e32 v88, vcc, v94, v32
	v_addc_co_u32_e32 v89, vcc, 0, v95, vcc
	global_load_dword v94, v[88:89], off offset:6
	v_add_co_u32_e32 v88, vcc, v96, v32
	v_addc_co_u32_e32 v89, vcc, 0, v97, vcc
	;; [unrolled: 3-line block ×3, first 2 shown]
	global_load_dword v107, v[88:89], off offset:6
	v_mov_b32_e32 v152, v141
	v_mov_b32_e32 v153, v140
	;; [unrolled: 1-line block ×7, first 2 shown]
	s_waitcnt vmcnt(7)
	v_ashrrev_i32_e32 v84, v32, v84
	s_waitcnt vmcnt(6)
	v_ashrrev_i32_e32 v86, v32, v86
	;; [unrolled: 2-line block ×3, first 2 shown]
	s_waitcnt vmcnt(4)
	v_and_b32_e32 v89, 0xf0f0f0f, v92
	s_waitcnt vmcnt(3)
	v_ashrrev_i32_e32 v88, v32, v93
	v_lshlrev_b32_e32 v95, 4, v88
	v_lshlrev_b32_e32 v96, 11, v88
	;; [unrolled: 1-line block ×4, first 2 shown]
	v_lshrrev_b32_e32 v99, 12, v88
	v_lshrrev_b32_e32 v100, 5, v88
	v_lshlrev_b32_e32 v101, 2, v88
	v_lshrrev_b32_e32 v92, 4, v92
	v_lshlrev_b32_e32 v88, 9, v88
	v_and_b32_e32 v95, 16, v95
	v_and_b32_e32 v96, 0x1000, v96
	v_and_b32_e32 v97, 0x100000, v97
	v_and_b32_e32 v98, 0x10000000, v98
	v_and_b32_e32 v99, 16, v99
	v_and_b32_e32 v100, 0x1000, v100
	v_and_b32_e32 v101, 0x100000, v101
	v_and_b32_e32 v92, 0xf0f0f0f, v92
	v_and_b32_e32 v88, 0x10000000, v88
	v_or3_b32 v95, v95, v89, v96
	v_or3_b32 v89, v89, v97, v98
	;; [unrolled: 1-line block ×3, first 2 shown]
	v_and_b32_e32 v98, 0x1f00, v95
	v_lshlrev_b16_e32 v95, 8, v95
	v_and_b32_sdwa v99, v89, s1 dst_sel:DWORD dst_unused:UNUSED_PAD src0_sel:WORD_1 src1_sel:DWORD
	v_lshlrev_b16_sdwa v89, v151, v89 dst_sel:DWORD dst_unused:UNUSED_PAD src0_sel:DWORD src1_sel:WORD_1
	v_or3_b32 v88, v96, v88, v92
	v_add_u16_e32 v92, 0xf000, v95
	v_add_u16_e32 v89, 0xf000, v89
	v_lshlrev_b16_e32 v96, 8, v88
	v_and_b32_sdwa v100, v88, s16 dst_sel:DWORD dst_unused:UNUSED_PAD src0_sel:WORD_1 src1_sel:DWORD
	v_lshlrev_b32_e32 v102, 4, v90
	v_lshlrev_b32_e32 v103, 11, v90
	v_and_b32_e32 v95, 0x1f00, v88
	v_lshlrev_b16_sdwa v88, v151, v88 dst_sel:DWORD dst_unused:UNUSED_PAD src0_sel:DWORD src1_sel:WORD_1
	v_or_b32_sdwa v92, v98, v92 dst_sel:DWORD dst_unused:UNUSED_PAD src0_sel:DWORD src1_sel:BYTE_1
	v_or_b32_sdwa v89, v99, v89 dst_sel:DWORD dst_unused:UNUSED_PAD src0_sel:DWORD src1_sel:BYTE_1
	v_add_i16 v96, v96, s15 clamp
	v_add_i16 v98, v100, s15 clamp
	s_waitcnt vmcnt(2)
	v_and_b32_e32 v93, 0xf0f0f0f, v94
	v_and_b32_e32 v102, 16, v102
	;; [unrolled: 1-line block ×3, first 2 shown]
	v_add_i16 v88, v88, s15 clamp
	v_add_u16_e32 v92, 0xf000, v92
	v_add_u16_sdwa v89, v89, s15 dst_sel:WORD_1 dst_unused:UNUSED_PAD src0_sel:DWORD src1_sel:DWORD
	v_or_b32_sdwa v95, v95, v96 dst_sel:DWORD dst_unused:UNUSED_PAD src0_sel:DWORD src1_sel:BYTE_1
	v_and_b32_e32 v96, 0xffffff00, v98
	v_lshlrev_b32_e32 v104, 18, v90
	v_lshlrev_b32_e32 v105, 25, v90
	v_or3_b32 v97, v102, v93, v103
	v_or_b32_e32 v89, v92, v89
	v_add_u16_e32 v92, 0xf000, v95
	v_or_b32_sdwa v88, v88, v96 dst_sel:WORD_1 dst_unused:UNUSED_PAD src0_sel:BYTE_1 src1_sel:DWORD
	v_and_b32_e32 v104, 0x100000, v104
	v_and_b32_e32 v105, 0x10000000, v105
	v_or_b32_e32 v88, v92, v88
	v_lshlrev_b16_e32 v92, 8, v97
	ds_write2_b32 v39, v89, v88 offset1:1
	v_or3_b32 v88, v93, v104, v105
	v_and_b32_e32 v89, 0x1f00, v97
	v_add_u16_e32 v92, 0xf000, v92
	v_or_b32_sdwa v89, v89, v92 dst_sel:DWORD dst_unused:UNUSED_PAD src0_sel:DWORD src1_sel:BYTE_1
	v_and_b32_sdwa v92, v88, s1 dst_sel:DWORD dst_unused:UNUSED_PAD src0_sel:WORD_1 src1_sel:DWORD
	v_lshlrev_b16_sdwa v88, v151, v88 dst_sel:DWORD dst_unused:UNUSED_PAD src0_sel:DWORD src1_sel:WORD_1
	v_add_u16_e32 v88, 0xf000, v88
	v_or_b32_sdwa v88, v92, v88 dst_sel:DWORD dst_unused:UNUSED_PAD src0_sel:DWORD src1_sel:BYTE_1
	v_add_u16_e32 v89, 0xf000, v89
	v_add_u16_sdwa v88, v88, s15 dst_sel:WORD_1 dst_unused:UNUSED_PAD src0_sel:DWORD src1_sel:DWORD
	v_or_b32_e32 v88, v89, v88
	v_lshrrev_b32_e32 v89, 4, v94
	v_lshrrev_b32_e32 v92, 12, v90
	;; [unrolled: 1-line block ×3, first 2 shown]
	v_lshlrev_b32_e32 v94, 2, v90
	v_and_b32_e32 v92, 16, v92
	v_and_b32_e32 v93, 0x1000, v93
	;; [unrolled: 1-line block ×3, first 2 shown]
	v_lshlrev_b32_e32 v90, 9, v90
	v_and_b32_e32 v89, 0xf0f0f0f, v89
	v_and_b32_e32 v90, 0x10000000, v90
	v_or3_b32 v92, v93, v92, v94
	v_or3_b32 v89, v92, v90, v89
	v_lshlrev_b16_e32 v92, 8, v89
	v_and_b32_e32 v90, 0x1f00, v89
	v_add_i16 v92, v92, s15 clamp
	v_or_b32_sdwa v90, v90, v92 dst_sel:DWORD dst_unused:UNUSED_PAD src0_sel:DWORD src1_sel:BYTE_1
	v_and_b32_sdwa v92, v89, s16 dst_sel:DWORD dst_unused:UNUSED_PAD src0_sel:WORD_1 src1_sel:DWORD
	v_add_i16 v92, v92, s15 clamp
	v_lshlrev_b16_sdwa v89, v151, v89 dst_sel:DWORD dst_unused:UNUSED_PAD src0_sel:DWORD src1_sel:WORD_1
	v_and_b32_e32 v92, 0xffffff00, v92
	v_add_i16 v89, v89, s15 clamp
	v_add_u16_e32 v90, 0xf000, v90
	v_or_b32_sdwa v89, v89, v92 dst_sel:WORD_1 dst_unused:UNUSED_PAD src0_sel:BYTE_1 src1_sel:DWORD
	v_or_b32_e32 v89, v90, v89
	ds_write2_b32 v41, v88, v89 offset1:1
	v_lshlrev_b32_e32 v89, 4, v86
	v_lshlrev_b32_e32 v90, 11, v86
	s_waitcnt vmcnt(1)
	v_and_b32_e32 v88, 0xf0f0f0f, v106
	v_and_b32_e32 v89, 16, v89
	;; [unrolled: 1-line block ×3, first 2 shown]
	v_or3_b32 v89, v89, v88, v90
	v_lshlrev_b32_e32 v90, 18, v86
	v_lshlrev_b32_e32 v92, 25, v86
	v_and_b32_e32 v90, 0x100000, v90
	v_and_b32_e32 v92, 0x10000000, v92
	v_or3_b32 v90, v88, v90, v92
	v_and_b32_e32 v88, 0x1f00, v89
	v_lshlrev_b16_e32 v89, 8, v89
	v_add_u16_e32 v89, 0xf000, v89
	v_or_b32_sdwa v88, v88, v89 dst_sel:DWORD dst_unused:UNUSED_PAD src0_sel:DWORD src1_sel:BYTE_1
	v_add_u16_e32 v108, 0xf000, v88
	v_mad_u64_u32 v[88:89], s[18:19], v44, 22, v[82:83]
	v_add_co_u32_e32 v92, vcc, v88, v32
	v_addc_co_u32_e32 v93, vcc, 0, v89, vcc
	v_mad_u64_u32 v[94:95], s[18:19], v46, 22, v[82:83]
	v_add_co_u32_e32 v96, vcc, v94, v32
	v_addc_co_u32_e32 v97, vcc, 0, v95, vcc
	;; [unrolled: 3-line block ×4, first 2 shown]
	global_load_dword v109, v[104:105], off offset:6
	global_load_dword v110, v[102:103], off offset:2
	;; [unrolled: 1-line block ×3, first 2 shown]
	s_nop 0
	global_load_dword v98, v[98:99], off offset:2
	s_nop 0
	global_load_dword v96, v[96:97], off offset:6
	;; [unrolled: 2-line block ×5, first 2 shown]
	v_and_b32_sdwa v89, v90, s1 dst_sel:DWORD dst_unused:UNUSED_PAD src0_sel:WORD_1 src1_sel:DWORD
	v_lshlrev_b16_sdwa v90, v151, v90 dst_sel:DWORD dst_unused:UNUSED_PAD src0_sel:DWORD src1_sel:WORD_1
	v_add_u16_e32 v90, 0xf000, v90
	v_lshrrev_b32_e32 v93, 12, v86
	v_lshrrev_b32_e32 v95, 5, v86
	v_lshlrev_b32_e32 v97, 2, v86
	v_or_b32_sdwa v89, v89, v90 dst_sel:DWORD dst_unused:UNUSED_PAD src0_sel:DWORD src1_sel:BYTE_1
	v_lshrrev_b32_e32 v90, 4, v106
	v_and_b32_e32 v93, 16, v93
	v_and_b32_e32 v95, 0x1000, v95
	;; [unrolled: 1-line block ×3, first 2 shown]
	v_lshlrev_b32_e32 v86, 9, v86
	v_and_b32_e32 v90, 0xf0f0f0f, v90
	v_and_b32_e32 v86, 0x10000000, v86
	v_or3_b32 v93, v95, v93, v97
	v_or3_b32 v86, v93, v86, v90
	v_lshlrev_b16_e32 v93, 8, v86
	v_and_b32_e32 v90, 0x1f00, v86
	v_add_i16 v93, v93, s15 clamp
	v_or_b32_sdwa v90, v90, v93 dst_sel:DWORD dst_unused:UNUSED_PAD src0_sel:DWORD src1_sel:BYTE_1
	v_and_b32_sdwa v93, v86, s16 dst_sel:DWORD dst_unused:UNUSED_PAD src0_sel:WORD_1 src1_sel:DWORD
	v_add_i16 v93, v93, s15 clamp
	v_lshlrev_b16_sdwa v86, v151, v86 dst_sel:DWORD dst_unused:UNUSED_PAD src0_sel:DWORD src1_sel:WORD_1
	v_and_b32_e32 v93, 0xffffff00, v93
	v_add_i16 v86, v86, s15 clamp
	v_add_u16_sdwa v89, v89, s15 dst_sel:WORD_1 dst_unused:UNUSED_PAD src0_sel:DWORD src1_sel:DWORD
	v_add_u16_e32 v90, 0xf000, v90
	v_or_b32_sdwa v86, v86, v93 dst_sel:WORD_1 dst_unused:UNUSED_PAD src0_sel:BYTE_1 src1_sel:DWORD
	v_or_b32_e32 v89, v108, v89
	v_or_b32_e32 v86, v90, v86
	ds_write2_b32 v43, v89, v86 offset1:1
	v_lshlrev_b32_e32 v89, 4, v84
	v_lshlrev_b32_e32 v90, 11, v84
	s_waitcnt vmcnt(8)
	v_and_b32_e32 v86, 0xf0f0f0f, v107
	v_and_b32_e32 v89, 16, v89
	;; [unrolled: 1-line block ×3, first 2 shown]
	v_or3_b32 v89, v89, v86, v90
	v_lshlrev_b32_e32 v90, 18, v84
	v_lshlrev_b32_e32 v93, 25, v84
	v_and_b32_e32 v90, 0x100000, v90
	v_and_b32_e32 v93, 0x10000000, v93
	v_or3_b32 v86, v86, v90, v93
	v_and_b32_e32 v90, 0x1f00, v89
	v_lshlrev_b16_e32 v89, 8, v89
	v_add_u16_e32 v89, 0xf000, v89
	v_or_b32_sdwa v89, v90, v89 dst_sel:DWORD dst_unused:UNUSED_PAD src0_sel:DWORD src1_sel:BYTE_1
	v_and_b32_sdwa v90, v86, s1 dst_sel:DWORD dst_unused:UNUSED_PAD src0_sel:WORD_1 src1_sel:DWORD
	v_lshlrev_b16_sdwa v86, v151, v86 dst_sel:DWORD dst_unused:UNUSED_PAD src0_sel:DWORD src1_sel:WORD_1
	v_add_u16_e32 v86, 0xf000, v86
	v_or_b32_sdwa v86, v90, v86 dst_sel:DWORD dst_unused:UNUSED_PAD src0_sel:DWORD src1_sel:BYTE_1
	v_add_u16_e32 v89, 0xf000, v89
	v_add_u16_sdwa v86, v86, s15 dst_sel:WORD_1 dst_unused:UNUSED_PAD src0_sel:DWORD src1_sel:DWORD
	v_lshrrev_b32_e32 v90, 12, v84
	v_lshrrev_b32_e32 v93, 5, v84
	v_lshlrev_b32_e32 v95, 2, v84
	v_or_b32_e32 v86, v89, v86
	v_lshrrev_b32_e32 v89, 4, v107
	v_and_b32_e32 v90, 16, v90
	v_and_b32_e32 v93, 0x1000, v93
	;; [unrolled: 1-line block ×3, first 2 shown]
	v_lshlrev_b32_e32 v84, 9, v84
	v_and_b32_e32 v89, 0xf0f0f0f, v89
	v_and_b32_e32 v84, 0x10000000, v84
	v_or3_b32 v90, v93, v90, v95
	v_or3_b32 v84, v90, v84, v89
	v_lshlrev_b16_e32 v90, 8, v84
	v_and_b32_e32 v89, 0x1f00, v84
	v_add_i16 v90, v90, s15 clamp
	v_or_b32_sdwa v89, v89, v90 dst_sel:DWORD dst_unused:UNUSED_PAD src0_sel:DWORD src1_sel:BYTE_1
	v_and_b32_sdwa v90, v84, s16 dst_sel:DWORD dst_unused:UNUSED_PAD src0_sel:WORD_1 src1_sel:DWORD
	v_add_i16 v90, v90, s15 clamp
	v_lshlrev_b16_sdwa v84, v151, v84 dst_sel:DWORD dst_unused:UNUSED_PAD src0_sel:DWORD src1_sel:WORD_1
	v_and_b32_e32 v90, 0xffffff00, v90
	v_add_i16 v84, v84, s15 clamp
	v_add_u16_e32 v89, 0xf000, v89
	v_or_b32_sdwa v84, v84, v90 dst_sel:WORD_1 dst_unused:UNUSED_PAD src0_sel:BYTE_1 src1_sel:DWORD
	v_or_b32_e32 v84, v89, v84
	ds_write2_b32 v45, v86, v84 offset1:1
	s_waitcnt vmcnt(1)
	v_and_b32_e32 v86, 0xf0f0f0f, v92
	s_waitcnt vmcnt(0)
	v_ashrrev_i32_e32 v84, v32, v88
	v_lshlrev_b32_e32 v88, 4, v84
	v_lshlrev_b32_e32 v89, 11, v84
	v_and_b32_e32 v88, 16, v88
	v_and_b32_e32 v89, 0x1000, v89
	v_or3_b32 v88, v88, v86, v89
	v_lshlrev_b32_e32 v89, 18, v84
	v_lshlrev_b32_e32 v90, 25, v84
	v_and_b32_e32 v89, 0x100000, v89
	v_and_b32_e32 v90, 0x10000000, v90
	v_or3_b32 v86, v86, v89, v90
	v_and_b32_e32 v89, 0x1f00, v88
	v_lshlrev_b16_e32 v88, 8, v88
	v_add_u16_e32 v88, 0xf000, v88
	v_or_b32_sdwa v88, v89, v88 dst_sel:DWORD dst_unused:UNUSED_PAD src0_sel:DWORD src1_sel:BYTE_1
	v_and_b32_sdwa v89, v86, s1 dst_sel:DWORD dst_unused:UNUSED_PAD src0_sel:WORD_1 src1_sel:DWORD
	v_lshlrev_b16_sdwa v86, v151, v86 dst_sel:DWORD dst_unused:UNUSED_PAD src0_sel:DWORD src1_sel:WORD_1
	v_add_u16_e32 v86, 0xf000, v86
	v_or_b32_sdwa v86, v89, v86 dst_sel:DWORD dst_unused:UNUSED_PAD src0_sel:DWORD src1_sel:BYTE_1
	v_add_u16_e32 v88, 0xf000, v88
	v_add_u16_sdwa v86, v86, s15 dst_sel:WORD_1 dst_unused:UNUSED_PAD src0_sel:DWORD src1_sel:DWORD
	v_or_b32_e32 v86, v88, v86
	v_lshrrev_b32_e32 v88, 4, v92
	v_lshrrev_b32_e32 v89, 12, v84
	;; [unrolled: 1-line block ×3, first 2 shown]
	v_lshlrev_b32_e32 v92, 2, v84
	v_and_b32_e32 v89, 16, v89
	v_and_b32_e32 v90, 0x1000, v90
	;; [unrolled: 1-line block ×3, first 2 shown]
	v_lshlrev_b32_e32 v84, 9, v84
	v_and_b32_e32 v88, 0xf0f0f0f, v88
	v_and_b32_e32 v84, 0x10000000, v84
	v_or3_b32 v89, v90, v89, v92
	v_or3_b32 v84, v89, v84, v88
	v_lshlrev_b16_e32 v89, 8, v84
	v_and_b32_e32 v88, 0x1f00, v84
	v_add_i16 v89, v89, s15 clamp
	v_or_b32_sdwa v88, v88, v89 dst_sel:DWORD dst_unused:UNUSED_PAD src0_sel:DWORD src1_sel:BYTE_1
	v_and_b32_sdwa v89, v84, s16 dst_sel:DWORD dst_unused:UNUSED_PAD src0_sel:WORD_1 src1_sel:DWORD
	v_add_i16 v89, v89, s15 clamp
	v_lshlrev_b16_sdwa v84, v151, v84 dst_sel:DWORD dst_unused:UNUSED_PAD src0_sel:DWORD src1_sel:WORD_1
	v_and_b32_e32 v89, 0xffffff00, v89
	v_add_i16 v84, v84, s15 clamp
	v_add_u16_e32 v88, 0xf000, v88
	v_or_b32_sdwa v84, v84, v89 dst_sel:WORD_1 dst_unused:UNUSED_PAD src0_sel:BYTE_1 src1_sel:DWORD
	v_or_b32_e32 v84, v88, v84
	ds_write2_b32 v47, v86, v84 offset1:1
	v_ashrrev_i32_e32 v84, v32, v94
	v_lshlrev_b32_e32 v88, 4, v84
	v_lshlrev_b32_e32 v89, 11, v84
	v_and_b32_e32 v86, 0xf0f0f0f, v96
	v_and_b32_e32 v88, 16, v88
	;; [unrolled: 1-line block ×3, first 2 shown]
	v_or3_b32 v88, v88, v86, v89
	v_lshlrev_b32_e32 v89, 18, v84
	v_lshlrev_b32_e32 v90, 25, v84
	v_and_b32_e32 v89, 0x100000, v89
	v_and_b32_e32 v90, 0x10000000, v90
	v_or3_b32 v86, v86, v89, v90
	v_and_b32_e32 v89, 0x1f00, v88
	v_lshlrev_b16_e32 v88, 8, v88
	v_add_u16_e32 v88, 0xf000, v88
	v_or_b32_sdwa v88, v89, v88 dst_sel:DWORD dst_unused:UNUSED_PAD src0_sel:DWORD src1_sel:BYTE_1
	v_and_b32_sdwa v89, v86, s1 dst_sel:DWORD dst_unused:UNUSED_PAD src0_sel:WORD_1 src1_sel:DWORD
	v_lshlrev_b16_sdwa v86, v151, v86 dst_sel:DWORD dst_unused:UNUSED_PAD src0_sel:DWORD src1_sel:WORD_1
	v_add_u16_e32 v86, 0xf000, v86
	v_or_b32_sdwa v86, v89, v86 dst_sel:DWORD dst_unused:UNUSED_PAD src0_sel:DWORD src1_sel:BYTE_1
	v_add_u16_e32 v88, 0xf000, v88
	v_add_u16_sdwa v86, v86, s15 dst_sel:WORD_1 dst_unused:UNUSED_PAD src0_sel:DWORD src1_sel:DWORD
	v_lshrrev_b32_e32 v89, 12, v84
	v_lshrrev_b32_e32 v90, 5, v84
	v_lshlrev_b32_e32 v92, 2, v84
	v_or_b32_e32 v86, v88, v86
	v_lshrrev_b32_e32 v88, 4, v96
	v_and_b32_e32 v89, 16, v89
	v_and_b32_e32 v90, 0x1000, v90
	;; [unrolled: 1-line block ×3, first 2 shown]
	v_lshlrev_b32_e32 v84, 9, v84
	v_and_b32_e32 v88, 0xf0f0f0f, v88
	v_and_b32_e32 v84, 0x10000000, v84
	v_or3_b32 v89, v90, v89, v92
	v_or3_b32 v84, v89, v84, v88
	v_lshlrev_b16_e32 v89, 8, v84
	v_and_b32_e32 v88, 0x1f00, v84
	v_add_i16 v89, v89, s15 clamp
	v_or_b32_sdwa v88, v88, v89 dst_sel:DWORD dst_unused:UNUSED_PAD src0_sel:DWORD src1_sel:BYTE_1
	v_and_b32_sdwa v89, v84, s16 dst_sel:DWORD dst_unused:UNUSED_PAD src0_sel:WORD_1 src1_sel:DWORD
	v_add_i16 v89, v89, s15 clamp
	v_lshlrev_b16_sdwa v84, v151, v84 dst_sel:DWORD dst_unused:UNUSED_PAD src0_sel:DWORD src1_sel:WORD_1
	v_and_b32_e32 v89, 0xffffff00, v89
	v_add_i16 v84, v84, s15 clamp
	v_add_u16_e32 v88, 0xf000, v88
	v_or_b32_sdwa v84, v84, v89 dst_sel:WORD_1 dst_unused:UNUSED_PAD src0_sel:BYTE_1 src1_sel:DWORD
	v_or_b32_e32 v84, v88, v84
	ds_write2_b32 v49, v86, v84 offset1:1
	v_ashrrev_i32_e32 v84, v32, v98
	v_lshlrev_b32_e32 v88, 4, v84
	v_lshlrev_b32_e32 v89, 11, v84
	v_and_b32_e32 v86, 0xf0f0f0f, v111
	v_and_b32_e32 v88, 16, v88
	;; [unrolled: 1-line block ×3, first 2 shown]
	v_or3_b32 v88, v88, v86, v89
	v_lshlrev_b32_e32 v89, 18, v84
	v_lshlrev_b32_e32 v90, 25, v84
	v_and_b32_e32 v89, 0x100000, v89
	v_and_b32_e32 v90, 0x10000000, v90
	v_or3_b32 v86, v86, v89, v90
	v_and_b32_e32 v89, 0x1f00, v88
	v_lshlrev_b16_e32 v88, 8, v88
	v_add_u16_e32 v88, 0xf000, v88
	v_or_b32_sdwa v88, v89, v88 dst_sel:DWORD dst_unused:UNUSED_PAD src0_sel:DWORD src1_sel:BYTE_1
	v_add_u16_e32 v90, 0xf000, v88
	v_mad_u64_u32 v[88:89], s[18:19], v52, 22, v[82:83]
	v_add_co_u32_e32 v92, vcc, v88, v32
	v_addc_co_u32_e32 v93, vcc, 0, v89, vcc
	v_mad_u64_u32 v[94:95], s[18:19], v54, 22, v[82:83]
	v_add_co_u32_e32 v96, vcc, v94, v32
	v_addc_co_u32_e32 v97, vcc, 0, v95, vcc
	;; [unrolled: 3-line block ×4, first 2 shown]
	global_load_dword v104, v[104:105], off offset:6
	s_nop 0
	global_load_dword v105, v[102:103], off offset:2
	global_load_dword v106, v[100:101], off offset:6
	s_nop 0
	global_load_dword v98, v[98:99], off offset:2
	s_nop 0
	;; [unrolled: 2-line block ×5, first 2 shown]
	global_load_dword v88, v[88:89], off offset:2
	v_and_b32_sdwa v89, v86, s1 dst_sel:DWORD dst_unused:UNUSED_PAD src0_sel:WORD_1 src1_sel:DWORD
	v_lshlrev_b16_sdwa v86, v151, v86 dst_sel:DWORD dst_unused:UNUSED_PAD src0_sel:DWORD src1_sel:WORD_1
	v_add_u16_e32 v86, 0xf000, v86
	v_or_b32_sdwa v86, v89, v86 dst_sel:DWORD dst_unused:UNUSED_PAD src0_sel:DWORD src1_sel:BYTE_1
	v_add_u16_sdwa v86, v86, s15 dst_sel:WORD_1 dst_unused:UNUSED_PAD src0_sel:DWORD src1_sel:DWORD
	v_or_b32_e32 v86, v90, v86
	v_lshrrev_b32_e32 v90, 12, v84
	v_lshrrev_b32_e32 v93, 5, v84
	v_lshlrev_b32_e32 v95, 2, v84
	v_lshrrev_b32_e32 v89, 4, v111
	v_and_b32_e32 v90, 16, v90
	v_and_b32_e32 v93, 0x1000, v93
	;; [unrolled: 1-line block ×3, first 2 shown]
	v_lshlrev_b32_e32 v84, 9, v84
	v_and_b32_e32 v89, 0xf0f0f0f, v89
	v_and_b32_e32 v84, 0x10000000, v84
	v_or3_b32 v90, v93, v90, v95
	v_or3_b32 v84, v90, v84, v89
	v_lshlrev_b16_e32 v90, 8, v84
	v_and_b32_e32 v89, 0x1f00, v84
	v_add_i16 v90, v90, s15 clamp
	v_or_b32_sdwa v89, v89, v90 dst_sel:DWORD dst_unused:UNUSED_PAD src0_sel:DWORD src1_sel:BYTE_1
	v_and_b32_sdwa v90, v84, s16 dst_sel:DWORD dst_unused:UNUSED_PAD src0_sel:WORD_1 src1_sel:DWORD
	v_add_i16 v90, v90, s15 clamp
	v_lshlrev_b16_sdwa v84, v151, v84 dst_sel:DWORD dst_unused:UNUSED_PAD src0_sel:DWORD src1_sel:WORD_1
	v_and_b32_e32 v90, 0xffffff00, v90
	v_add_i16 v84, v84, s15 clamp
	v_add_u16_e32 v89, 0xf000, v89
	v_or_b32_sdwa v84, v84, v90 dst_sel:WORD_1 dst_unused:UNUSED_PAD src0_sel:BYTE_1 src1_sel:DWORD
	v_or_b32_e32 v84, v89, v84
	ds_write2_b32 v51, v86, v84 offset1:1
	v_ashrrev_i32_e32 v84, v32, v110
	v_lshlrev_b32_e32 v89, 4, v84
	v_lshlrev_b32_e32 v90, 11, v84
	v_and_b32_e32 v86, 0xf0f0f0f, v109
	v_and_b32_e32 v89, 16, v89
	;; [unrolled: 1-line block ×3, first 2 shown]
	v_or3_b32 v89, v89, v86, v90
	v_lshlrev_b32_e32 v90, 18, v84
	v_lshlrev_b32_e32 v93, 25, v84
	v_and_b32_e32 v90, 0x100000, v90
	v_and_b32_e32 v93, 0x10000000, v93
	v_or3_b32 v86, v86, v90, v93
	v_and_b32_e32 v90, 0x1f00, v89
	v_lshlrev_b16_e32 v89, 8, v89
	v_add_u16_e32 v89, 0xf000, v89
	v_or_b32_sdwa v89, v90, v89 dst_sel:DWORD dst_unused:UNUSED_PAD src0_sel:DWORD src1_sel:BYTE_1
	v_and_b32_sdwa v90, v86, s1 dst_sel:DWORD dst_unused:UNUSED_PAD src0_sel:WORD_1 src1_sel:DWORD
	v_lshlrev_b16_sdwa v86, v151, v86 dst_sel:DWORD dst_unused:UNUSED_PAD src0_sel:DWORD src1_sel:WORD_1
	v_add_u16_e32 v86, 0xf000, v86
	v_or_b32_sdwa v86, v90, v86 dst_sel:DWORD dst_unused:UNUSED_PAD src0_sel:DWORD src1_sel:BYTE_1
	v_add_u16_e32 v89, 0xf000, v89
	v_add_u16_sdwa v86, v86, s15 dst_sel:WORD_1 dst_unused:UNUSED_PAD src0_sel:DWORD src1_sel:DWORD
	v_lshrrev_b32_e32 v90, 12, v84
	v_lshrrev_b32_e32 v93, 5, v84
	v_lshlrev_b32_e32 v95, 2, v84
	v_or_b32_e32 v86, v89, v86
	v_lshrrev_b32_e32 v89, 4, v109
	v_and_b32_e32 v90, 16, v90
	v_and_b32_e32 v93, 0x1000, v93
	v_and_b32_e32 v95, 0x100000, v95
	v_lshlrev_b32_e32 v84, 9, v84
	v_and_b32_e32 v89, 0xf0f0f0f, v89
	v_and_b32_e32 v84, 0x10000000, v84
	v_or3_b32 v90, v93, v90, v95
	v_or3_b32 v84, v90, v84, v89
	v_lshlrev_b16_e32 v90, 8, v84
	v_and_b32_e32 v89, 0x1f00, v84
	v_add_i16 v90, v90, s15 clamp
	v_or_b32_sdwa v89, v89, v90 dst_sel:DWORD dst_unused:UNUSED_PAD src0_sel:DWORD src1_sel:BYTE_1
	v_and_b32_sdwa v90, v84, s16 dst_sel:DWORD dst_unused:UNUSED_PAD src0_sel:WORD_1 src1_sel:DWORD
	v_add_i16 v90, v90, s15 clamp
	v_lshlrev_b16_sdwa v84, v151, v84 dst_sel:DWORD dst_unused:UNUSED_PAD src0_sel:DWORD src1_sel:WORD_1
	v_and_b32_e32 v90, 0xffffff00, v90
	v_add_i16 v84, v84, s15 clamp
	v_add_u16_e32 v89, 0xf000, v89
	v_or_b32_sdwa v84, v84, v90 dst_sel:WORD_1 dst_unused:UNUSED_PAD src0_sel:BYTE_1 src1_sel:DWORD
	v_or_b32_e32 v84, v89, v84
	ds_write2_b32 v53, v86, v84 offset1:1
	s_waitcnt vmcnt(0)
	v_ashrrev_i32_e32 v84, v32, v88
	v_lshlrev_b32_e32 v88, 4, v84
	v_lshlrev_b32_e32 v89, 11, v84
	v_and_b32_e32 v86, 0xf0f0f0f, v92
	v_and_b32_e32 v88, 16, v88
	;; [unrolled: 1-line block ×3, first 2 shown]
	v_or3_b32 v88, v88, v86, v89
	v_lshlrev_b32_e32 v89, 18, v84
	v_lshlrev_b32_e32 v90, 25, v84
	v_and_b32_e32 v89, 0x100000, v89
	v_and_b32_e32 v90, 0x10000000, v90
	v_or3_b32 v86, v86, v89, v90
	v_and_b32_e32 v89, 0x1f00, v88
	v_lshlrev_b16_e32 v88, 8, v88
	v_add_u16_e32 v88, 0xf000, v88
	v_or_b32_sdwa v88, v89, v88 dst_sel:DWORD dst_unused:UNUSED_PAD src0_sel:DWORD src1_sel:BYTE_1
	v_and_b32_sdwa v89, v86, s1 dst_sel:DWORD dst_unused:UNUSED_PAD src0_sel:WORD_1 src1_sel:DWORD
	v_lshlrev_b16_sdwa v86, v151, v86 dst_sel:DWORD dst_unused:UNUSED_PAD src0_sel:DWORD src1_sel:WORD_1
	v_add_u16_e32 v86, 0xf000, v86
	v_or_b32_sdwa v86, v89, v86 dst_sel:DWORD dst_unused:UNUSED_PAD src0_sel:DWORD src1_sel:BYTE_1
	v_add_u16_e32 v88, 0xf000, v88
	v_add_u16_sdwa v86, v86, s15 dst_sel:WORD_1 dst_unused:UNUSED_PAD src0_sel:DWORD src1_sel:DWORD
	v_or_b32_e32 v86, v88, v86
	v_lshrrev_b32_e32 v88, 4, v92
	v_lshrrev_b32_e32 v89, 12, v84
	;; [unrolled: 1-line block ×3, first 2 shown]
	v_lshlrev_b32_e32 v92, 2, v84
	v_and_b32_e32 v89, 16, v89
	v_and_b32_e32 v90, 0x1000, v90
	;; [unrolled: 1-line block ×3, first 2 shown]
	v_lshlrev_b32_e32 v84, 9, v84
	v_and_b32_e32 v88, 0xf0f0f0f, v88
	v_and_b32_e32 v84, 0x10000000, v84
	v_or3_b32 v89, v90, v89, v92
	v_or3_b32 v84, v89, v84, v88
	v_lshlrev_b16_e32 v89, 8, v84
	v_and_b32_e32 v88, 0x1f00, v84
	v_add_i16 v89, v89, s15 clamp
	v_or_b32_sdwa v88, v88, v89 dst_sel:DWORD dst_unused:UNUSED_PAD src0_sel:DWORD src1_sel:BYTE_1
	v_and_b32_sdwa v89, v84, s16 dst_sel:DWORD dst_unused:UNUSED_PAD src0_sel:WORD_1 src1_sel:DWORD
	v_add_i16 v89, v89, s15 clamp
	v_lshlrev_b16_sdwa v84, v151, v84 dst_sel:DWORD dst_unused:UNUSED_PAD src0_sel:DWORD src1_sel:WORD_1
	v_and_b32_e32 v89, 0xffffff00, v89
	v_add_i16 v84, v84, s15 clamp
	v_add_u16_e32 v88, 0xf000, v88
	v_or_b32_sdwa v84, v84, v89 dst_sel:WORD_1 dst_unused:UNUSED_PAD src0_sel:BYTE_1 src1_sel:DWORD
	v_or_b32_e32 v84, v88, v84
	ds_write2_b32 v55, v86, v84 offset1:1
	v_ashrrev_i32_e32 v84, v32, v94
	v_lshlrev_b32_e32 v88, 4, v84
	v_lshlrev_b32_e32 v89, 11, v84
	v_and_b32_e32 v86, 0xf0f0f0f, v96
	v_and_b32_e32 v88, 16, v88
	;; [unrolled: 1-line block ×3, first 2 shown]
	v_or3_b32 v88, v88, v86, v89
	v_lshlrev_b32_e32 v89, 18, v84
	v_lshlrev_b32_e32 v90, 25, v84
	v_and_b32_e32 v89, 0x100000, v89
	v_and_b32_e32 v90, 0x10000000, v90
	v_or3_b32 v86, v86, v89, v90
	v_and_b32_e32 v89, 0x1f00, v88
	v_lshlrev_b16_e32 v88, 8, v88
	v_add_u16_e32 v88, 0xf000, v88
	v_or_b32_sdwa v88, v89, v88 dst_sel:DWORD dst_unused:UNUSED_PAD src0_sel:DWORD src1_sel:BYTE_1
	v_and_b32_sdwa v89, v86, s1 dst_sel:DWORD dst_unused:UNUSED_PAD src0_sel:WORD_1 src1_sel:DWORD
	v_lshlrev_b16_sdwa v86, v151, v86 dst_sel:DWORD dst_unused:UNUSED_PAD src0_sel:DWORD src1_sel:WORD_1
	v_add_u16_e32 v86, 0xf000, v86
	v_or_b32_sdwa v86, v89, v86 dst_sel:DWORD dst_unused:UNUSED_PAD src0_sel:DWORD src1_sel:BYTE_1
	v_add_u16_e32 v88, 0xf000, v88
	v_add_u16_sdwa v86, v86, s15 dst_sel:WORD_1 dst_unused:UNUSED_PAD src0_sel:DWORD src1_sel:DWORD
	v_lshrrev_b32_e32 v89, 12, v84
	v_lshrrev_b32_e32 v90, 5, v84
	v_lshlrev_b32_e32 v92, 2, v84
	v_or_b32_e32 v86, v88, v86
	v_lshrrev_b32_e32 v88, 4, v96
	v_and_b32_e32 v89, 16, v89
	v_and_b32_e32 v90, 0x1000, v90
	;; [unrolled: 1-line block ×3, first 2 shown]
	v_lshlrev_b32_e32 v84, 9, v84
	v_and_b32_e32 v88, 0xf0f0f0f, v88
	v_and_b32_e32 v84, 0x10000000, v84
	v_or3_b32 v89, v90, v89, v92
	v_or3_b32 v84, v89, v84, v88
	v_lshlrev_b16_e32 v89, 8, v84
	v_and_b32_e32 v88, 0x1f00, v84
	v_add_i16 v89, v89, s15 clamp
	v_or_b32_sdwa v88, v88, v89 dst_sel:DWORD dst_unused:UNUSED_PAD src0_sel:DWORD src1_sel:BYTE_1
	v_and_b32_sdwa v89, v84, s16 dst_sel:DWORD dst_unused:UNUSED_PAD src0_sel:WORD_1 src1_sel:DWORD
	v_add_i16 v89, v89, s15 clamp
	v_lshlrev_b16_sdwa v84, v151, v84 dst_sel:DWORD dst_unused:UNUSED_PAD src0_sel:DWORD src1_sel:WORD_1
	v_and_b32_e32 v89, 0xffffff00, v89
	v_add_i16 v84, v84, s15 clamp
	v_add_u16_e32 v88, 0xf000, v88
	v_or_b32_sdwa v84, v84, v89 dst_sel:WORD_1 dst_unused:UNUSED_PAD src0_sel:BYTE_1 src1_sel:DWORD
	v_or_b32_e32 v84, v88, v84
	ds_write2_b32 v57, v86, v84 offset1:1
	v_ashrrev_i32_e32 v84, v32, v98
	v_lshlrev_b32_e32 v88, 4, v84
	v_lshlrev_b32_e32 v89, 11, v84
	v_and_b32_e32 v86, 0xf0f0f0f, v106
	v_and_b32_e32 v88, 16, v88
	v_and_b32_e32 v89, 0x1000, v89
	v_or3_b32 v88, v88, v86, v89
	v_lshlrev_b32_e32 v89, 18, v84
	v_lshlrev_b32_e32 v90, 25, v84
	v_and_b32_e32 v89, 0x100000, v89
	v_and_b32_e32 v90, 0x10000000, v90
	v_or3_b32 v86, v86, v89, v90
	v_and_b32_e32 v89, 0x1f00, v88
	v_lshlrev_b16_e32 v88, 8, v88
	v_add_u16_e32 v88, 0xf000, v88
	v_or_b32_sdwa v88, v89, v88 dst_sel:DWORD dst_unused:UNUSED_PAD src0_sel:DWORD src1_sel:BYTE_1
	v_add_u16_e32 v90, 0xf000, v88
	v_mad_u64_u32 v[88:89], s[18:19], v60, 22, v[82:83]
	v_add_co_u32_e32 v92, vcc, v88, v32
	v_addc_co_u32_e32 v93, vcc, 0, v89, vcc
	v_mad_u64_u32 v[94:95], s[18:19], v62, 22, v[82:83]
	v_add_co_u32_e32 v96, vcc, v94, v32
	v_addc_co_u32_e32 v97, vcc, 0, v95, vcc
	;; [unrolled: 3-line block ×4, first 2 shown]
	global_load_dword v108, v[102:103], off offset:6
	global_load_dword v109, v[82:83], off offset:2
	s_nop 0
	global_load_dword v82, v[100:101], off offset:6
	global_load_dword v83, v[98:99], off offset:2
	s_nop 0
	global_load_dword v96, v[96:97], off offset:6
	s_nop 0
	;; [unrolled: 2-line block ×4, first 2 shown]
	global_load_dword v88, v[88:89], off offset:2
	v_and_b32_sdwa v89, v86, s1 dst_sel:DWORD dst_unused:UNUSED_PAD src0_sel:WORD_1 src1_sel:DWORD
	v_lshlrev_b16_sdwa v86, v151, v86 dst_sel:DWORD dst_unused:UNUSED_PAD src0_sel:DWORD src1_sel:WORD_1
	v_add_u16_e32 v86, 0xf000, v86
	v_or_b32_sdwa v86, v89, v86 dst_sel:DWORD dst_unused:UNUSED_PAD src0_sel:DWORD src1_sel:BYTE_1
	v_add_u16_sdwa v86, v86, s15 dst_sel:WORD_1 dst_unused:UNUSED_PAD src0_sel:DWORD src1_sel:DWORD
	v_or_b32_e32 v86, v90, v86
	v_lshrrev_b32_e32 v90, 12, v84
	v_lshrrev_b32_e32 v93, 5, v84
	v_lshlrev_b32_e32 v95, 2, v84
	v_lshrrev_b32_e32 v89, 4, v106
	v_and_b32_e32 v90, 16, v90
	v_and_b32_e32 v93, 0x1000, v93
	v_and_b32_e32 v95, 0x100000, v95
	v_lshlrev_b32_e32 v84, 9, v84
	v_and_b32_e32 v89, 0xf0f0f0f, v89
	v_and_b32_e32 v84, 0x10000000, v84
	v_or3_b32 v90, v93, v90, v95
	v_or3_b32 v84, v90, v84, v89
	v_lshlrev_b16_e32 v90, 8, v84
	v_and_b32_e32 v89, 0x1f00, v84
	v_add_i16 v90, v90, s15 clamp
	v_or_b32_sdwa v89, v89, v90 dst_sel:DWORD dst_unused:UNUSED_PAD src0_sel:DWORD src1_sel:BYTE_1
	v_and_b32_sdwa v90, v84, s16 dst_sel:DWORD dst_unused:UNUSED_PAD src0_sel:WORD_1 src1_sel:DWORD
	v_add_i16 v90, v90, s15 clamp
	v_lshlrev_b16_sdwa v84, v151, v84 dst_sel:DWORD dst_unused:UNUSED_PAD src0_sel:DWORD src1_sel:WORD_1
	v_and_b32_e32 v90, 0xffffff00, v90
	v_add_i16 v84, v84, s15 clamp
	v_add_u16_e32 v89, 0xf000, v89
	v_or_b32_sdwa v84, v84, v90 dst_sel:WORD_1 dst_unused:UNUSED_PAD src0_sel:BYTE_1 src1_sel:DWORD
	v_or_b32_e32 v84, v89, v84
	ds_write2_b32 v59, v86, v84 offset1:1
	v_ashrrev_i32_e32 v84, v32, v105
	v_lshlrev_b32_e32 v89, 4, v84
	v_lshlrev_b32_e32 v90, 11, v84
	v_and_b32_e32 v86, 0xf0f0f0f, v104
	v_and_b32_e32 v89, 16, v89
	;; [unrolled: 1-line block ×3, first 2 shown]
	v_or3_b32 v89, v89, v86, v90
	v_lshlrev_b32_e32 v90, 18, v84
	v_lshlrev_b32_e32 v93, 25, v84
	v_and_b32_e32 v90, 0x100000, v90
	v_and_b32_e32 v93, 0x10000000, v93
	v_or3_b32 v86, v86, v90, v93
	v_and_b32_e32 v90, 0x1f00, v89
	v_lshlrev_b16_e32 v89, 8, v89
	v_add_u16_e32 v89, 0xf000, v89
	v_or_b32_sdwa v89, v90, v89 dst_sel:DWORD dst_unused:UNUSED_PAD src0_sel:DWORD src1_sel:BYTE_1
	v_and_b32_sdwa v90, v86, s1 dst_sel:DWORD dst_unused:UNUSED_PAD src0_sel:WORD_1 src1_sel:DWORD
	v_lshlrev_b16_sdwa v86, v151, v86 dst_sel:DWORD dst_unused:UNUSED_PAD src0_sel:DWORD src1_sel:WORD_1
	v_add_u16_e32 v86, 0xf000, v86
	v_or_b32_sdwa v86, v90, v86 dst_sel:DWORD dst_unused:UNUSED_PAD src0_sel:DWORD src1_sel:BYTE_1
	v_add_u16_e32 v89, 0xf000, v89
	v_add_u16_sdwa v86, v86, s15 dst_sel:WORD_1 dst_unused:UNUSED_PAD src0_sel:DWORD src1_sel:DWORD
	v_lshrrev_b32_e32 v90, 12, v84
	v_lshrrev_b32_e32 v93, 5, v84
	v_lshlrev_b32_e32 v95, 2, v84
	v_or_b32_e32 v86, v89, v86
	v_lshrrev_b32_e32 v89, 4, v104
	v_and_b32_e32 v90, 16, v90
	v_and_b32_e32 v93, 0x1000, v93
	;; [unrolled: 1-line block ×3, first 2 shown]
	v_lshlrev_b32_e32 v84, 9, v84
	v_and_b32_e32 v89, 0xf0f0f0f, v89
	v_and_b32_e32 v84, 0x10000000, v84
	v_or3_b32 v90, v93, v90, v95
	v_or3_b32 v84, v90, v84, v89
	v_lshlrev_b16_e32 v90, 8, v84
	v_and_b32_e32 v89, 0x1f00, v84
	v_add_i16 v90, v90, s15 clamp
	v_or_b32_sdwa v89, v89, v90 dst_sel:DWORD dst_unused:UNUSED_PAD src0_sel:DWORD src1_sel:BYTE_1
	v_and_b32_sdwa v90, v84, s16 dst_sel:DWORD dst_unused:UNUSED_PAD src0_sel:WORD_1 src1_sel:DWORD
	v_add_i16 v90, v90, s15 clamp
	v_lshlrev_b16_sdwa v84, v151, v84 dst_sel:DWORD dst_unused:UNUSED_PAD src0_sel:DWORD src1_sel:WORD_1
	v_and_b32_e32 v90, 0xffffff00, v90
	v_add_i16 v84, v84, s15 clamp
	v_add_u16_e32 v89, 0xf000, v89
	v_or_b32_sdwa v84, v84, v90 dst_sel:WORD_1 dst_unused:UNUSED_PAD src0_sel:BYTE_1 src1_sel:DWORD
	v_or_b32_e32 v84, v89, v84
	ds_write2_b32 v61, v86, v84 offset1:1
	s_waitcnt vmcnt(0)
	v_ashrrev_i32_e32 v84, v32, v88
	v_lshlrev_b32_e32 v88, 4, v84
	v_lshlrev_b32_e32 v89, 11, v84
	v_and_b32_e32 v86, 0xf0f0f0f, v92
	v_and_b32_e32 v88, 16, v88
	;; [unrolled: 1-line block ×3, first 2 shown]
	v_or3_b32 v88, v88, v86, v89
	v_lshlrev_b32_e32 v89, 18, v84
	v_lshlrev_b32_e32 v90, 25, v84
	v_and_b32_e32 v89, 0x100000, v89
	v_and_b32_e32 v90, 0x10000000, v90
	v_or3_b32 v86, v86, v89, v90
	v_and_b32_e32 v89, 0x1f00, v88
	v_lshlrev_b16_e32 v88, 8, v88
	v_add_u16_e32 v88, 0xf000, v88
	v_or_b32_sdwa v88, v89, v88 dst_sel:DWORD dst_unused:UNUSED_PAD src0_sel:DWORD src1_sel:BYTE_1
	v_and_b32_sdwa v89, v86, s1 dst_sel:DWORD dst_unused:UNUSED_PAD src0_sel:WORD_1 src1_sel:DWORD
	v_lshlrev_b16_sdwa v86, v151, v86 dst_sel:DWORD dst_unused:UNUSED_PAD src0_sel:DWORD src1_sel:WORD_1
	v_add_u16_e32 v86, 0xf000, v86
	v_or_b32_sdwa v86, v89, v86 dst_sel:DWORD dst_unused:UNUSED_PAD src0_sel:DWORD src1_sel:BYTE_1
	v_add_u16_e32 v88, 0xf000, v88
	v_add_u16_sdwa v86, v86, s15 dst_sel:WORD_1 dst_unused:UNUSED_PAD src0_sel:DWORD src1_sel:DWORD
	v_or_b32_e32 v86, v88, v86
	v_lshrrev_b32_e32 v88, 4, v92
	v_lshrrev_b32_e32 v89, 12, v84
	;; [unrolled: 1-line block ×3, first 2 shown]
	v_lshlrev_b32_e32 v92, 2, v84
	v_and_b32_e32 v89, 16, v89
	v_and_b32_e32 v90, 0x1000, v90
	;; [unrolled: 1-line block ×3, first 2 shown]
	v_lshlrev_b32_e32 v84, 9, v84
	v_and_b32_e32 v88, 0xf0f0f0f, v88
	v_and_b32_e32 v84, 0x10000000, v84
	v_or3_b32 v89, v90, v89, v92
	v_or3_b32 v84, v89, v84, v88
	v_lshlrev_b16_e32 v89, 8, v84
	v_and_b32_e32 v88, 0x1f00, v84
	v_add_i16 v89, v89, s15 clamp
	v_or_b32_sdwa v88, v88, v89 dst_sel:DWORD dst_unused:UNUSED_PAD src0_sel:DWORD src1_sel:BYTE_1
	v_and_b32_sdwa v89, v84, s16 dst_sel:DWORD dst_unused:UNUSED_PAD src0_sel:WORD_1 src1_sel:DWORD
	v_add_i16 v89, v89, s15 clamp
	v_lshlrev_b16_sdwa v84, v151, v84 dst_sel:DWORD dst_unused:UNUSED_PAD src0_sel:DWORD src1_sel:WORD_1
	v_and_b32_e32 v89, 0xffffff00, v89
	v_add_i16 v84, v84, s15 clamp
	v_add_u16_e32 v88, 0xf000, v88
	v_or_b32_sdwa v84, v84, v89 dst_sel:WORD_1 dst_unused:UNUSED_PAD src0_sel:BYTE_1 src1_sel:DWORD
	v_or_b32_e32 v84, v88, v84
	ds_write2_b32 v63, v86, v84 offset1:1
	v_ashrrev_i32_e32 v84, v32, v94
	v_lshlrev_b32_e32 v88, 4, v84
	v_lshlrev_b32_e32 v89, 11, v84
	v_and_b32_e32 v86, 0xf0f0f0f, v96
	v_and_b32_e32 v88, 16, v88
	;; [unrolled: 1-line block ×3, first 2 shown]
	v_or3_b32 v88, v88, v86, v89
	v_lshlrev_b32_e32 v89, 18, v84
	v_lshlrev_b32_e32 v90, 25, v84
	v_and_b32_e32 v89, 0x100000, v89
	v_and_b32_e32 v90, 0x10000000, v90
	v_or3_b32 v86, v86, v89, v90
	v_and_b32_e32 v89, 0x1f00, v88
	v_lshlrev_b16_e32 v88, 8, v88
	v_add_u16_e32 v88, 0xf000, v88
	v_or_b32_sdwa v88, v89, v88 dst_sel:DWORD dst_unused:UNUSED_PAD src0_sel:DWORD src1_sel:BYTE_1
	v_and_b32_sdwa v89, v86, s1 dst_sel:DWORD dst_unused:UNUSED_PAD src0_sel:WORD_1 src1_sel:DWORD
	v_lshlrev_b16_sdwa v86, v151, v86 dst_sel:DWORD dst_unused:UNUSED_PAD src0_sel:DWORD src1_sel:WORD_1
	v_add_u16_e32 v86, 0xf000, v86
	v_or_b32_sdwa v86, v89, v86 dst_sel:DWORD dst_unused:UNUSED_PAD src0_sel:DWORD src1_sel:BYTE_1
	v_add_u16_e32 v88, 0xf000, v88
	v_add_u16_sdwa v86, v86, s15 dst_sel:WORD_1 dst_unused:UNUSED_PAD src0_sel:DWORD src1_sel:DWORD
	v_lshrrev_b32_e32 v89, 12, v84
	v_lshrrev_b32_e32 v90, 5, v84
	v_lshlrev_b32_e32 v92, 2, v84
	v_or_b32_e32 v86, v88, v86
	v_lshrrev_b32_e32 v88, 4, v96
	v_and_b32_e32 v89, 16, v89
	v_and_b32_e32 v90, 0x1000, v90
	;; [unrolled: 1-line block ×3, first 2 shown]
	v_lshlrev_b32_e32 v84, 9, v84
	v_and_b32_e32 v88, 0xf0f0f0f, v88
	v_and_b32_e32 v84, 0x10000000, v84
	v_or3_b32 v89, v90, v89, v92
	v_or3_b32 v84, v89, v84, v88
	v_lshlrev_b16_e32 v89, 8, v84
	v_and_b32_e32 v88, 0x1f00, v84
	v_add_i16 v89, v89, s15 clamp
	v_or_b32_sdwa v88, v88, v89 dst_sel:DWORD dst_unused:UNUSED_PAD src0_sel:DWORD src1_sel:BYTE_1
	v_and_b32_sdwa v89, v84, s16 dst_sel:DWORD dst_unused:UNUSED_PAD src0_sel:WORD_1 src1_sel:DWORD
	v_add_i16 v89, v89, s15 clamp
	v_lshlrev_b16_sdwa v84, v151, v84 dst_sel:DWORD dst_unused:UNUSED_PAD src0_sel:DWORD src1_sel:WORD_1
	v_and_b32_e32 v89, 0xffffff00, v89
	v_add_i16 v84, v84, s15 clamp
	v_add_u16_e32 v88, 0xf000, v88
	v_or_b32_sdwa v84, v84, v89 dst_sel:WORD_1 dst_unused:UNUSED_PAD src0_sel:BYTE_1 src1_sel:DWORD
	v_or_b32_e32 v84, v88, v84
	v_ashrrev_i32_e32 v83, v32, v83
	ds_write2_b32 v65, v86, v84 offset1:1
	v_lshlrev_b32_e32 v86, 4, v83
	v_lshlrev_b32_e32 v88, 11, v83
	v_and_b32_e32 v84, 0xf0f0f0f, v82
	v_and_b32_e32 v86, 16, v86
	;; [unrolled: 1-line block ×3, first 2 shown]
	v_or3_b32 v86, v86, v84, v88
	v_lshlrev_b32_e32 v88, 18, v83
	v_lshlrev_b32_e32 v89, 25, v83
	v_and_b32_e32 v88, 0x100000, v88
	v_and_b32_e32 v89, 0x10000000, v89
	v_or3_b32 v84, v84, v88, v89
	v_and_b32_e32 v88, 0x1f00, v86
	v_lshlrev_b16_e32 v86, 8, v86
	v_add_u16_e32 v86, 0xf000, v86
	v_or_b32_sdwa v86, v88, v86 dst_sel:DWORD dst_unused:UNUSED_PAD src0_sel:DWORD src1_sel:BYTE_1
	v_and_b32_sdwa v88, v84, s1 dst_sel:DWORD dst_unused:UNUSED_PAD src0_sel:WORD_1 src1_sel:DWORD
	v_lshlrev_b16_sdwa v84, v151, v84 dst_sel:DWORD dst_unused:UNUSED_PAD src0_sel:DWORD src1_sel:WORD_1
	v_add_u16_e32 v84, 0xf000, v84
	v_or_b32_sdwa v84, v88, v84 dst_sel:DWORD dst_unused:UNUSED_PAD src0_sel:DWORD src1_sel:BYTE_1
	v_add_u16_e32 v86, 0xf000, v86
	v_add_u16_sdwa v84, v84, s15 dst_sel:WORD_1 dst_unused:UNUSED_PAD src0_sel:DWORD src1_sel:DWORD
	v_lshrrev_b32_e32 v82, 4, v82
	v_or_b32_e32 v84, v86, v84
	v_and_b32_e32 v86, 0xf0f0f0f, v82
	v_lshrrev_b32_e32 v82, 12, v83
	v_and_b32_e32 v90, 16, v82
	v_lshrrev_b32_e32 v82, 5, v83
	v_and_b32_e32 v110, 0x1000, v82
	v_lshlrev_b32_e32 v82, 2, v83
	v_and_b32_e32 v111, 0x100000, v82
	v_lshlrev_b32_e32 v82, 9, v83
	v_and_b32_e32 v112, 0x10000000, v82
	v_mad_u64_u32 v[82:83], s[4:5], v68, 22, s[4:5]
	v_mad_u64_u32 v[88:89], s[4:5], v70, 22, v[82:83]
	;; [unrolled: 1-line block ×5, first 2 shown]
	v_add_u32_e32 v104, s0, v71
	global_load_ushort v113, v[88:89], off
	global_load_ushort v114, v[92:93], off
	global_load_ushort v115, v[94:95], off
	s_nop 0
	global_load_ushort v82, v[82:83], off
	v_add_u32_e32 v88, v104, v75
	v_add_u32_e32 v92, v104, v81
	;; [unrolled: 1-line block ×6, first 2 shown]
	v_mad_i64_i32 v[88:89], s[4:5], v88, 36, v[78:79]
	v_mad_i64_i32 v[92:93], s[4:5], v92, 36, v[78:79]
	v_mad_i64_i32 v[94:95], s[4:5], v94, 36, v[78:79]
	v_mad_i64_i32 v[96:97], s[4:5], v96, 36, v[78:79]
	v_mad_i64_i32 v[98:99], s[4:5], v98, 36, v[78:79]
	v_add_u32_e32 v100, v104, v128
	v_add_u32_e32 v102, v104, v130
	;; [unrolled: 1-line block ×3, first 2 shown]
	v_mad_i64_i32 v[100:101], s[4:5], v100, 36, v[78:79]
	v_mad_i64_i32 v[102:103], s[4:5], v102, 36, v[78:79]
	;; [unrolled: 1-line block ×3, first 2 shown]
	v_mad_u64_u32 v[106:107], s[4:5], v83, 36, s[2:3]
	global_load_dword v88, v[88:89], off offset:4
	s_nop 0
	global_load_dword v89, v[92:93], off offset:4
	s_nop 0
	global_load_dword v92, v[94:95], off offset:4
	global_load_dword v93, v[96:97], off offset:4
	s_nop 0
	global_load_dword v94, v[98:99], off offset:4
	global_load_dword v95, v[106:107], off
	global_load_dword v96, v[100:101], off offset:4
	global_load_dword v97, v[102:103], off offset:4
	s_nop 0
	global_load_dword v98, v[104:105], off offset:4
	v_or3_b32 v90, v110, v90, v111
	v_or3_b32 v86, v90, v112, v86
	v_lshlrev_b16_e32 v99, 8, v86
	v_and_b32_e32 v90, 0x1f00, v86
	v_add_i16 v99, v99, s15 clamp
	v_or_b32_sdwa v90, v90, v99 dst_sel:DWORD dst_unused:UNUSED_PAD src0_sel:DWORD src1_sel:BYTE_1
	v_and_b32_sdwa v99, v86, s16 dst_sel:DWORD dst_unused:UNUSED_PAD src0_sel:WORD_1 src1_sel:DWORD
	v_add_i16 v99, v99, s15 clamp
	v_lshlrev_b16_sdwa v86, v151, v86 dst_sel:DWORD dst_unused:UNUSED_PAD src0_sel:DWORD src1_sel:WORD_1
	v_and_b32_e32 v99, 0xffffff00, v99
	v_add_i16 v86, v86, s15 clamp
	v_add_u16_e32 v90, 0xf000, v90
	v_or_b32_sdwa v86, v86, v99 dst_sel:WORD_1 dst_unused:UNUSED_PAD src0_sel:BYTE_1 src1_sel:DWORD
	v_or_b32_e32 v86, v90, v86
	ds_write2_b32 v67, v84, v86 offset1:1
	v_ashrrev_i32_e32 v84, v32, v109
	v_lshlrev_b32_e32 v90, 4, v84
	v_lshlrev_b32_e32 v99, 11, v84
	v_and_b32_e32 v86, 0xf0f0f0f, v108
	v_and_b32_e32 v90, 16, v90
	;; [unrolled: 1-line block ×3, first 2 shown]
	v_or3_b32 v90, v90, v86, v99
	v_lshlrev_b32_e32 v99, 18, v84
	v_lshlrev_b32_e32 v100, 25, v84
	v_and_b32_e32 v99, 0x100000, v99
	v_and_b32_e32 v100, 0x10000000, v100
	v_or3_b32 v86, v86, v99, v100
	v_and_b32_e32 v99, 0x1f00, v90
	v_lshlrev_b16_e32 v90, 8, v90
	v_add_u16_e32 v90, 0xf000, v90
	v_or_b32_sdwa v90, v99, v90 dst_sel:DWORD dst_unused:UNUSED_PAD src0_sel:DWORD src1_sel:BYTE_1
	v_and_b32_sdwa v99, v86, s1 dst_sel:DWORD dst_unused:UNUSED_PAD src0_sel:WORD_1 src1_sel:DWORD
	v_lshlrev_b16_sdwa v86, v151, v86 dst_sel:DWORD dst_unused:UNUSED_PAD src0_sel:DWORD src1_sel:WORD_1
	v_add_u16_e32 v86, 0xf000, v86
	v_or_b32_sdwa v86, v99, v86 dst_sel:DWORD dst_unused:UNUSED_PAD src0_sel:DWORD src1_sel:BYTE_1
	v_add_u16_e32 v90, 0xf000, v90
	v_add_u16_sdwa v86, v86, s15 dst_sel:WORD_1 dst_unused:UNUSED_PAD src0_sel:DWORD src1_sel:DWORD
	v_lshrrev_b32_e32 v99, 12, v84
	v_lshrrev_b32_e32 v100, 5, v84
	v_lshlrev_b32_e32 v101, 2, v84
	v_or_b32_e32 v86, v90, v86
	v_lshrrev_b32_e32 v90, 4, v108
	v_and_b32_e32 v99, 16, v99
	v_and_b32_e32 v100, 0x1000, v100
	;; [unrolled: 1-line block ×3, first 2 shown]
	v_lshlrev_b32_e32 v84, 9, v84
	v_and_b32_e32 v90, 0xf0f0f0f, v90
	v_and_b32_e32 v84, 0x10000000, v84
	v_or3_b32 v99, v100, v99, v101
	v_or3_b32 v84, v99, v84, v90
	v_lshlrev_b16_e32 v99, 8, v84
	v_and_b32_e32 v90, 0x1f00, v84
	v_add_i16 v99, v99, s15 clamp
	v_or_b32_sdwa v90, v90, v99 dst_sel:DWORD dst_unused:UNUSED_PAD src0_sel:DWORD src1_sel:BYTE_1
	v_and_b32_sdwa v99, v84, s16 dst_sel:DWORD dst_unused:UNUSED_PAD src0_sel:WORD_1 src1_sel:DWORD
	v_add_i16 v99, v99, s15 clamp
	v_lshlrev_b16_sdwa v84, v151, v84 dst_sel:DWORD dst_unused:UNUSED_PAD src0_sel:DWORD src1_sel:WORD_1
	v_and_b32_e32 v99, 0xffffff00, v99
	v_add_i16 v84, v84, s15 clamp
	v_add_u16_e32 v90, 0xf000, v90
	v_or_b32_sdwa v84, v84, v99 dst_sel:WORD_1 dst_unused:UNUSED_PAD src0_sel:BYTE_1 src1_sel:DWORD
	v_or_b32_e32 v84, v90, v84
	ds_write2_b32 v69, v86, v84 offset1:1
	s_waitcnt vmcnt(12)
	v_cvt_f32_f16_e32 v84, v113
	s_waitcnt vmcnt(11)
	v_cvt_f32_f16_e32 v86, v114
	;; [unrolled: 2-line block ×4, first 2 shown]
	ds_write_b32 v147, v84
	ds_write_b32 v148, v86
	;; [unrolled: 1-line block ×4, first 2 shown]
	s_waitcnt vmcnt(8)
	ds_write_b32 v77, v88
	s_waitcnt vmcnt(7)
	ds_write_b32 v85, v89
	;; [unrolled: 2-line block ×5, first 2 shown]
	s_waitcnt vmcnt(3)
	v_cvt_f32_f16_e32 v82, v95
	s_mov_b32 s4, -4
	s_waitcnt vmcnt(2)
	ds_write_b32 v129, v96
	s_waitcnt vmcnt(1)
	ds_write_b32 v131, v97
	;; [unrolled: 2-line block ×3, first 2 shown]
	ds_write_b32 v73, v82
	s_waitcnt lgkmcnt(0)
	s_barrier
.LBB141_7:                              ;   Parent Loop BB141_6 Depth=1
                                        ; =>  This Inner Loop Header: Depth=2
	v_add_u32_e32 v84, 0x2080, v154
	ds_read_b128 v[160:163], v153
	ds_read_b128 v[164:167], v153 offset:16
	ds_read2_b32 v[122:123], v152 offset1:32
	ds_read_b32 v86, v155
	ds_read2_b32 v[94:95], v154 offset1:1
	ds_read2_b32 v[102:103], v154 offset0:2 offset1:3
	ds_read2_b32 v[108:109], v154 offset0:4 offset1:5
	;; [unrolled: 1-line block ×3, first 2 shown]
	ds_read_b32 v82, v156
	ds_read2_b32 v[88:89], v84 offset1:1
	v_add_u32_e32 v84, 0x2088, v154
	ds_read2_b32 v[96:97], v84 offset1:1
	v_add_u32_e32 v84, 0x2090, v154
	;; [unrolled: 2-line block ×3, first 2 shown]
	v_add_u32_e32 v90, 0x4100, v154
	ds_read2_b32 v[114:115], v84 offset1:1
	ds_read_b32 v84, v157
	ds_read2_b32 v[92:93], v90 offset1:1
	v_add_u32_e32 v90, 0x4108, v154
	ds_read2_b32 v[100:101], v90 offset1:1
	v_add_u32_e32 v90, 0x4110, v154
	;; [unrolled: 2-line block ×3, first 2 shown]
	v_add_u32_e32 v98, 0x6180, v154
	ds_read2_b32 v[118:119], v90 offset1:1
	ds_read_b32 v90, v158
	ds_read2_b32 v[98:99], v98 offset1:1
	v_add_u32_e32 v106, 0x6188, v154
	ds_read2_b32 v[106:107], v106 offset1:1
	v_add_u32_e32 v116, 0x6190, v154
	ds_read2_b32 v[116:117], v116 offset1:1
	v_mov_b32_e32 v159, 0
	v_mov_b32_e32 v172, 0
	;; [unrolled: 1-line block ×4, first 2 shown]
	s_waitcnt lgkmcnt(14)
	v_dot4c_i32_i8_e32 v159, v94, v160
	s_waitcnt lgkmcnt(12)
	v_dot4c_i32_i8_e32 v172, v88, v160
	;; [unrolled: 2-line block ×4, first 2 shown]
	v_add_u32_e32 v120, 0x6198, v154
	ds_read2_b32 v[120:121], v120 offset1:1
	v_dot4c_i32_i8_e32 v159, v95, v164
	v_dot4c_i32_i8_e32 v172, v89, v164
	v_dot4c_i32_i8_e32 v173, v93, v164
	v_dot4c_i32_i8_e32 v174, v99, v164
	v_dot4c_i32_i8_e32 v159, v102, v161
	v_dot4c_i32_i8_e32 v172, v96, v161
	v_dot4c_i32_i8_e32 v173, v100, v161
	s_waitcnt lgkmcnt(2)
	v_dot4c_i32_i8_e32 v174, v106, v161
	v_dot4c_i32_i8_e32 v159, v103, v165
	v_dot4c_i32_i8_e32 v172, v97, v165
	v_dot4c_i32_i8_e32 v173, v101, v165
	v_dot4c_i32_i8_e32 v174, v107, v165
	v_dot4c_i32_i8_e32 v159, v108, v162
	v_dot4c_i32_i8_e32 v172, v104, v162
	v_dot4c_i32_i8_e32 v173, v110, v162
	s_waitcnt lgkmcnt(1)
	v_dot4c_i32_i8_e32 v174, v116, v162
	;; [unrolled: 9-line block ×3, first 2 shown]
	v_dot4c_i32_i8_e32 v159, v113, v167
	v_dot4c_i32_i8_e32 v172, v115, v167
	;; [unrolled: 1-line block ×4, first 2 shown]
	ds_read_b128 v[160:163], v153 offset:1024
	ds_read_b128 v[164:167], v153 offset:1040
	v_mov_b32_e32 v170, 0
	v_pk_mul_f32 v[168:169], v[86:87], v[122:123] op_sel_hi:[0,1]
	s_add_i32 s4, s4, 4
	s_waitcnt lgkmcnt(1)
	v_dot4c_i32_i8_e32 v170, v94, v160
	s_waitcnt lgkmcnt(0)
	v_dot4c_i32_i8_e32 v170, v95, v164
	v_dot4c_i32_i8_e32 v170, v102, v161
	;; [unrolled: 1-line block ×7, first 2 shown]
	v_add_u32_e32 v158, 4, v158
	v_add_u32_e32 v157, 4, v157
	;; [unrolled: 1-line block ×3, first 2 shown]
	v_cvt_f32_i32_e32 v171, v170
	v_cvt_f32_i32_e32 v170, v159
	v_mov_b32_e32 v159, 0
	v_dot4c_i32_i8_e32 v159, v88, v160
	v_dot4c_i32_i8_e32 v159, v89, v164
	;; [unrolled: 1-line block ×8, first 2 shown]
	v_pk_fma_f32 v[34:35], v[168:169], v[170:171], v[34:35]
	v_cvt_f32_i32_e32 v170, v172
	v_pk_mul_f32 v[168:169], v[82:83], v[122:123] op_sel_hi:[0,1]
	v_cvt_f32_i32_e32 v171, v159
	v_mov_b32_e32 v159, 0
	v_dot4c_i32_i8_e32 v159, v92, v160
	v_dot4c_i32_i8_e32 v159, v93, v164
	;; [unrolled: 1-line block ×8, first 2 shown]
	v_pk_fma_f32 v[30:31], v[168:169], v[170:171], v[30:31]
	v_pk_mul_f32 v[168:169], v[84:85], v[122:123] op_sel_hi:[0,1]
	v_pk_mul_f32 v[122:123], v[90:91], v[122:123] op_sel_hi:[0,1]
	v_cvt_f32_i32_e32 v171, v159
	v_mov_b32_e32 v159, 0
	v_dot4c_i32_i8_e32 v159, v98, v160
	v_dot4c_i32_i8_e32 v159, v99, v164
	;; [unrolled: 1-line block ×8, first 2 shown]
	v_cvt_f32_i32_e32 v160, v174
	v_cvt_f32_i32_e32 v170, v173
	v_mov_b32_e32 v172, 0
	v_cvt_f32_i32_e32 v161, v159
	v_mov_b32_e32 v159, 0
	v_mov_b32_e32 v173, 0
	;; [unrolled: 1-line block ×3, first 2 shown]
	v_pk_fma_f32 v[26:27], v[122:123], v[160:161], v[26:27]
	ds_read_b128 v[160:163], v153 offset:2048
	ds_read_b128 v[164:167], v153 offset:2064
	ds_read2_b32 v[122:123], v152 offset0:64 offset1:96
	v_pk_fma_f32 v[28:29], v[168:169], v[170:171], v[28:29]
	v_mov_b32_e32 v170, 0
	s_waitcnt lgkmcnt(2)
	v_dot4c_i32_i8_e32 v159, v94, v160
	v_dot4c_i32_i8_e32 v172, v88, v160
	;; [unrolled: 1-line block ×4, first 2 shown]
	s_waitcnt lgkmcnt(1)
	v_dot4c_i32_i8_e32 v159, v95, v164
	v_dot4c_i32_i8_e32 v172, v89, v164
	;; [unrolled: 1-line block ×28, first 2 shown]
	ds_read_b128 v[160:163], v153 offset:3072
	ds_read_b128 v[164:167], v153 offset:3088
	s_waitcnt lgkmcnt(2)
	v_pk_mul_f32 v[168:169], v[86:87], v[122:123] op_sel_hi:[0,1]
	v_add_u32_e32 v155, 4, v155
	v_add_u32_e32 v154, 32, v154
	s_waitcnt lgkmcnt(1)
	v_dot4c_i32_i8_e32 v170, v94, v160
	s_waitcnt lgkmcnt(0)
	v_dot4c_i32_i8_e32 v170, v95, v164
	v_dot4c_i32_i8_e32 v170, v102, v161
	;; [unrolled: 1-line block ×7, first 2 shown]
	s_cmp_lt_u32 s4, 12
	s_nop 1
	v_cvt_f32_i32_e32 v171, v170
	v_cvt_f32_i32_e32 v170, v159
	v_mov_b32_e32 v159, 0
	v_dot4c_i32_i8_e32 v159, v88, v160
	v_dot4c_i32_i8_e32 v159, v89, v164
	;; [unrolled: 1-line block ×8, first 2 shown]
	v_pk_fma_f32 v[24:25], v[168:169], v[170:171], v[24:25]
	v_cvt_f32_i32_e32 v170, v172
	v_pk_mul_f32 v[168:169], v[82:83], v[122:123] op_sel_hi:[0,1]
	v_cvt_f32_i32_e32 v171, v159
	v_mov_b32_e32 v159, 0
	v_dot4c_i32_i8_e32 v159, v92, v160
	v_dot4c_i32_i8_e32 v159, v93, v164
	v_dot4c_i32_i8_e32 v159, v100, v161
	v_dot4c_i32_i8_e32 v159, v101, v165
	v_dot4c_i32_i8_e32 v159, v110, v162
	v_dot4c_i32_i8_e32 v159, v111, v166
	v_dot4c_i32_i8_e32 v159, v118, v163
	v_dot4c_i32_i8_e32 v159, v119, v167
	v_pk_fma_f32 v[22:23], v[168:169], v[170:171], v[22:23]
	v_pk_mul_f32 v[168:169], v[84:85], v[122:123] op_sel_hi:[0,1]
	v_pk_mul_f32 v[122:123], v[90:91], v[122:123] op_sel_hi:[0,1]
	v_cvt_f32_i32_e32 v171, v159
	v_mov_b32_e32 v159, 0
	v_dot4c_i32_i8_e32 v159, v98, v160
	v_dot4c_i32_i8_e32 v159, v99, v164
	;; [unrolled: 1-line block ×8, first 2 shown]
	v_cvt_f32_i32_e32 v160, v174
	v_cvt_f32_i32_e32 v170, v173
	v_mov_b32_e32 v172, 0
	v_cvt_f32_i32_e32 v161, v159
	v_mov_b32_e32 v159, 0
	v_mov_b32_e32 v173, 0
	;; [unrolled: 1-line block ×3, first 2 shown]
	v_pk_fma_f32 v[18:19], v[122:123], v[160:161], v[18:19]
	ds_read_b128 v[160:163], v153 offset:4096
	ds_read_b128 v[164:167], v153 offset:4112
	ds_read2_b32 v[122:123], v152 offset0:128 offset1:160
	v_pk_fma_f32 v[20:21], v[168:169], v[170:171], v[20:21]
	v_mov_b32_e32 v170, 0
	s_waitcnt lgkmcnt(2)
	v_dot4c_i32_i8_e32 v159, v94, v160
	v_dot4c_i32_i8_e32 v172, v88, v160
	;; [unrolled: 1-line block ×4, first 2 shown]
	s_waitcnt lgkmcnt(1)
	v_dot4c_i32_i8_e32 v159, v95, v164
	v_dot4c_i32_i8_e32 v172, v89, v164
	;; [unrolled: 1-line block ×28, first 2 shown]
	ds_read_b128 v[160:163], v153 offset:5120
	ds_read_b128 v[164:167], v153 offset:5136
	s_waitcnt lgkmcnt(2)
	v_pk_mul_f32 v[168:169], v[86:87], v[122:123] op_sel_hi:[0,1]
	s_waitcnt lgkmcnt(1)
	v_dot4c_i32_i8_e32 v170, v94, v160
	s_waitcnt lgkmcnt(0)
	v_dot4c_i32_i8_e32 v170, v95, v164
	v_dot4c_i32_i8_e32 v170, v102, v161
	;; [unrolled: 1-line block ×7, first 2 shown]
	s_nop 2
	v_cvt_f32_i32_e32 v171, v170
	v_cvt_f32_i32_e32 v170, v159
	v_mov_b32_e32 v159, 0
	v_dot4c_i32_i8_e32 v159, v88, v160
	v_dot4c_i32_i8_e32 v159, v89, v164
	;; [unrolled: 1-line block ×8, first 2 shown]
	v_pk_fma_f32 v[16:17], v[168:169], v[170:171], v[16:17]
	v_cvt_f32_i32_e32 v170, v172
	v_pk_mul_f32 v[168:169], v[82:83], v[122:123] op_sel_hi:[0,1]
	v_cvt_f32_i32_e32 v171, v159
	v_mov_b32_e32 v159, 0
	v_dot4c_i32_i8_e32 v159, v92, v160
	v_dot4c_i32_i8_e32 v159, v93, v164
	v_dot4c_i32_i8_e32 v159, v100, v161
	v_dot4c_i32_i8_e32 v159, v101, v165
	v_dot4c_i32_i8_e32 v159, v110, v162
	v_dot4c_i32_i8_e32 v159, v111, v166
	v_dot4c_i32_i8_e32 v159, v118, v163
	v_dot4c_i32_i8_e32 v159, v119, v167
	v_pk_fma_f32 v[14:15], v[168:169], v[170:171], v[14:15]
	v_cvt_f32_i32_e32 v170, v173
	v_pk_mul_f32 v[168:169], v[84:85], v[122:123] op_sel_hi:[0,1]
	v_cvt_f32_i32_e32 v171, v159
	v_mov_b32_e32 v159, 0
	v_dot4c_i32_i8_e32 v159, v98, v160
	v_dot4c_i32_i8_e32 v159, v99, v164
	;; [unrolled: 1-line block ×8, first 2 shown]
	v_cvt_f32_i32_e32 v160, v174
	v_pk_mul_f32 v[122:123], v[90:91], v[122:123] op_sel_hi:[0,1]
	v_pk_fma_f32 v[12:13], v[168:169], v[170:171], v[12:13]
	v_cvt_f32_i32_e32 v161, v159
	v_mov_b32_e32 v159, 0
	v_mov_b32_e32 v168, 0
	;; [unrolled: 1-line block ×3, first 2 shown]
	v_pk_fma_f32 v[10:11], v[122:123], v[160:161], v[10:11]
	ds_read_b128 v[160:163], v153 offset:6144
	ds_read_b128 v[164:167], v153 offset:6160
	ds_read2_b32 v[122:123], v152 offset0:192 offset1:224
	v_mov_b32_e32 v170, 0
	v_mov_b32_e32 v171, 0
	s_waitcnt lgkmcnt(2)
	v_dot4c_i32_i8_e32 v159, v94, v160
	v_dot4c_i32_i8_e32 v168, v88, v160
	;; [unrolled: 1-line block ×4, first 2 shown]
	s_waitcnt lgkmcnt(1)
	v_dot4c_i32_i8_e32 v159, v95, v164
	v_dot4c_i32_i8_e32 v168, v89, v164
	;; [unrolled: 1-line block ×28, first 2 shown]
	ds_read_b128 v[160:163], v153 offset:7168
	ds_read_b128 v[164:167], v153 offset:7184
	v_add_u32_e32 v153, 32, v153
	v_add_u32_e32 v152, 4, v152
	s_waitcnt lgkmcnt(1)
	v_dot4c_i32_i8_e32 v171, v94, v160
	s_waitcnt lgkmcnt(0)
	v_dot4c_i32_i8_e32 v171, v95, v164
	v_pk_mul_f32 v[94:95], v[86:87], v[122:123] op_sel_hi:[0,1]
	v_mov_b32_e32 v86, 0
	v_dot4c_i32_i8_e32 v86, v88, v160
	v_dot4c_i32_i8_e32 v86, v89, v164
	v_pk_mul_f32 v[88:89], v[82:83], v[122:123] op_sel_hi:[0,1]
	v_mov_b32_e32 v82, 0
	v_dot4c_i32_i8_e32 v82, v92, v160
	v_dot4c_i32_i8_e32 v82, v93, v164
	;; [unrolled: 1-line block ×16, first 2 shown]
	v_cvt_f32_i32_e32 v102, v159
	v_cvt_f32_i32_e32 v103, v171
	v_dot4c_i32_i8_e32 v86, v104, v162
	v_cvt_f32_i32_e32 v93, v82
	v_mov_b32_e32 v82, 0
	v_dot4c_i32_i8_e32 v86, v105, v166
	v_dot4c_i32_i8_e32 v82, v98, v160
	;; [unrolled: 1-line block ×6, first 2 shown]
	v_pk_fma_f32 v[8:9], v[94:95], v[102:103], v[8:9]
	v_cvt_f32_i32_e32 v94, v168
	v_cvt_f32_i32_e32 v95, v86
	v_dot4c_i32_i8_e32 v82, v107, v165
	v_cvt_f32_i32_e32 v92, v169
	v_dot4c_i32_i8_e32 v82, v116, v162
	v_dot4c_i32_i8_e32 v82, v117, v166
	;; [unrolled: 1-line block ×3, first 2 shown]
	v_pk_fma_f32 v[6:7], v[88:89], v[94:95], v[6:7]
	v_pk_mul_f32 v[88:89], v[84:85], v[122:123] op_sel_hi:[0,1]
	v_dot4c_i32_i8_e32 v82, v121, v167
	v_pk_fma_f32 v[4:5], v[88:89], v[92:93], v[4:5]
	v_cvt_f32_i32_e32 v92, v170
	v_pk_mul_f32 v[88:89], v[90:91], v[122:123] op_sel_hi:[0,1]
	v_cvt_f32_i32_e32 v93, v82
	v_pk_fma_f32 v[2:3], v[88:89], v[92:93], v[2:3]
	s_cbranch_scc1 .LBB141_7
; %bb.8:                                ;   in Loop: Header=BB141_6 Depth=1
	s_or_b32 s4, s0, 4
	s_cmp_ge_i32 s4, s7
	s_barrier
	s_cbranch_scc1 .LBB141_5
; %bb.9:                                ;   in Loop: Header=BB141_6 Depth=1
	v_add_u32_e32 v82, s0, v135
	v_add_u32_e32 v84, v82, v75
	v_mad_i64_i32 v[88:89], s[4:5], v84, 36, v[78:79]
	v_add_u32_e32 v84, v82, v81
	v_mad_i64_i32 v[92:93], s[4:5], v84, 36, v[78:79]
	;; [unrolled: 2-line block ×6, first 2 shown]
	v_add_u32_e32 v84, v82, v130
	v_add_u32_e32 v82, v82, v132
	v_mad_i64_i32 v[104:105], s[4:5], v82, 36, v[78:79]
	v_add_u32_e32 v82, 4, v83
	v_mad_u64_u32 v[82:83], s[4:5], v82, 36, s[2:3]
	v_mad_i64_i32 v[102:103], s[4:5], v84, 36, v[78:79]
	global_load_dword v82, v[82:83], off
	s_nop 0
	global_load_dword v84, v[88:89], off offset:4
	global_load_dword v86, v[92:93], off offset:4
	s_nop 0
	global_load_dword v88, v[94:95], off offset:4
	global_load_dword v89, v[96:97], off offset:4
	;; [unrolled: 1-line block ×4, first 2 shown]
                                        ; kill: killed $vgpr100_vgpr101
                                        ; kill: killed $vgpr98_vgpr99
	global_load_dword v93, v[102:103], off offset:4
	s_nop 0
	global_load_dword v94, v[104:105], off offset:4
	s_mov_b32 s4, 12
	v_mov_b32_e32 v83, v141
	v_mov_b32_e32 v152, v140
	;; [unrolled: 1-line block ×7, first 2 shown]
	s_waitcnt vmcnt(8)
	v_cvt_f32_f16_e32 v82, v82
	s_waitcnt vmcnt(7)
	ds_write_b32 v77, v84
	s_waitcnt vmcnt(6)
	ds_write_b32 v85, v86
	;; [unrolled: 2-line block ×8, first 2 shown]
	ds_write_b32 v73, v82
	s_waitcnt lgkmcnt(0)
	s_barrier
.LBB141_10:                             ;   Parent Loop BB141_6 Depth=1
                                        ; =>  This Inner Loop Header: Depth=2
	v_add_u32_e32 v84, 0x2080, v153
	ds_read_b128 v[158:161], v152
	ds_read_b128 v[162:165], v152 offset:16
	ds_read2_b32 v[122:123], v83 offset1:32
	ds_read_b32 v86, v154
	ds_read2_b32 v[94:95], v153 offset1:1
	ds_read2_b32 v[102:103], v153 offset0:2 offset1:3
	ds_read2_b32 v[108:109], v153 offset0:4 offset1:5
	;; [unrolled: 1-line block ×3, first 2 shown]
	ds_read_b32 v82, v155
	ds_read2_b32 v[88:89], v84 offset1:1
	v_add_u32_e32 v84, 0x2088, v153
	ds_read2_b32 v[96:97], v84 offset1:1
	v_add_u32_e32 v84, 0x2090, v153
	;; [unrolled: 2-line block ×3, first 2 shown]
	v_add_u32_e32 v90, 0x4100, v153
	ds_read2_b32 v[114:115], v84 offset1:1
	ds_read_b32 v84, v156
	ds_read2_b32 v[92:93], v90 offset1:1
	v_add_u32_e32 v90, 0x4108, v153
	ds_read2_b32 v[100:101], v90 offset1:1
	v_add_u32_e32 v90, 0x4110, v153
	;; [unrolled: 2-line block ×3, first 2 shown]
	v_add_u32_e32 v98, 0x6180, v153
	ds_read2_b32 v[118:119], v90 offset1:1
	ds_read_b32 v90, v157
	ds_read2_b32 v[98:99], v98 offset1:1
	v_add_u32_e32 v106, 0x6188, v153
	ds_read2_b32 v[106:107], v106 offset1:1
	v_add_u32_e32 v116, 0x6190, v153
	ds_read2_b32 v[116:117], v116 offset1:1
	v_mov_b32_e32 v168, 0
	v_mov_b32_e32 v170, 0
	;; [unrolled: 1-line block ×4, first 2 shown]
	s_waitcnt lgkmcnt(14)
	v_dot4c_i32_i8_e32 v168, v94, v158
	s_waitcnt lgkmcnt(12)
	v_dot4c_i32_i8_e32 v170, v88, v158
	;; [unrolled: 2-line block ×4, first 2 shown]
	v_add_u32_e32 v120, 0x6198, v153
	ds_read2_b32 v[120:121], v120 offset1:1
	v_dot4c_i32_i8_e32 v168, v95, v162
	v_dot4c_i32_i8_e32 v170, v89, v162
	v_dot4c_i32_i8_e32 v171, v93, v162
	v_dot4c_i32_i8_e32 v172, v99, v162
	v_dot4c_i32_i8_e32 v168, v102, v159
	v_dot4c_i32_i8_e32 v170, v96, v159
	v_dot4c_i32_i8_e32 v171, v100, v159
	s_waitcnt lgkmcnt(2)
	v_dot4c_i32_i8_e32 v172, v106, v159
	v_dot4c_i32_i8_e32 v168, v103, v163
	v_dot4c_i32_i8_e32 v170, v97, v163
	v_dot4c_i32_i8_e32 v171, v101, v163
	v_dot4c_i32_i8_e32 v172, v107, v163
	v_dot4c_i32_i8_e32 v168, v108, v160
	v_dot4c_i32_i8_e32 v170, v104, v160
	v_dot4c_i32_i8_e32 v171, v110, v160
	s_waitcnt lgkmcnt(1)
	v_dot4c_i32_i8_e32 v172, v116, v160
	;; [unrolled: 9-line block ×3, first 2 shown]
	v_dot4c_i32_i8_e32 v168, v113, v165
	v_dot4c_i32_i8_e32 v170, v115, v165
	;; [unrolled: 1-line block ×4, first 2 shown]
	ds_read_b128 v[158:161], v152 offset:1024
	ds_read_b128 v[162:165], v152 offset:1040
	v_mov_b32_e32 v169, 0
	v_cvt_f32_i32_e32 v168, v168
	v_pk_mul_f32 v[166:167], v[86:87], v[122:123] op_sel_hi:[0,1]
	s_waitcnt lgkmcnt(1)
	v_dot4c_i32_i8_e32 v169, v94, v158
	s_waitcnt lgkmcnt(0)
	v_dot4c_i32_i8_e32 v169, v95, v162
	v_dot4c_i32_i8_e32 v169, v102, v159
	;; [unrolled: 1-line block ×7, first 2 shown]
	s_add_i32 s4, s4, 4
	v_add_u32_e32 v157, 4, v157
	v_add_u32_e32 v156, 4, v156
	v_cvt_f32_i32_e32 v169, v169
	v_add_u32_e32 v155, 4, v155
	v_add_u32_e32 v154, 4, v154
	;; [unrolled: 1-line block ×3, first 2 shown]
	v_pk_fma_f32 v[34:35], v[166:167], v[168:169], v[34:35]
	v_mov_b32_e32 v168, 0
	v_dot4c_i32_i8_e32 v168, v88, v158
	v_dot4c_i32_i8_e32 v168, v89, v162
	;; [unrolled: 1-line block ×8, first 2 shown]
	v_pk_mul_f32 v[166:167], v[82:83], v[122:123] op_sel_hi:[0,1]
	s_cmp_lt_u32 s4, 28
	s_nop 0
	v_cvt_f32_i32_e32 v169, v168
	v_cvt_f32_i32_e32 v168, v170
	v_mov_b32_e32 v170, 0
	v_pk_fma_f32 v[30:31], v[166:167], v[168:169], v[30:31]
	v_mov_b32_e32 v168, 0
	v_dot4c_i32_i8_e32 v168, v92, v158
	v_dot4c_i32_i8_e32 v168, v93, v162
	;; [unrolled: 1-line block ×8, first 2 shown]
	v_pk_mul_f32 v[166:167], v[84:85], v[122:123] op_sel_hi:[0,1]
	v_pk_mul_f32 v[122:123], v[90:91], v[122:123] op_sel_hi:[0,1]
	s_nop 0
	v_cvt_f32_i32_e32 v169, v168
	v_cvt_f32_i32_e32 v168, v171
	v_mov_b32_e32 v171, 0
	v_pk_fma_f32 v[28:29], v[166:167], v[168:169], v[28:29]
	v_mov_b32_e32 v166, 0
	v_dot4c_i32_i8_e32 v166, v98, v158
	v_dot4c_i32_i8_e32 v166, v99, v162
	;; [unrolled: 1-line block ×8, first 2 shown]
	v_cvt_f32_i32_e32 v158, v172
	v_mov_b32_e32 v168, 0
	v_mov_b32_e32 v172, 0
	v_cvt_f32_i32_e32 v159, v166
	v_mov_b32_e32 v169, 0
	v_pk_fma_f32 v[26:27], v[122:123], v[158:159], v[26:27]
	ds_read_b128 v[158:161], v152 offset:2048
	ds_read_b128 v[162:165], v152 offset:2064
	ds_read2_b32 v[122:123], v83 offset0:64 offset1:96
	s_waitcnt lgkmcnt(2)
	v_dot4c_i32_i8_e32 v168, v94, v158
	v_dot4c_i32_i8_e32 v170, v88, v158
	;; [unrolled: 1-line block ×4, first 2 shown]
	s_waitcnt lgkmcnt(1)
	v_dot4c_i32_i8_e32 v168, v95, v162
	v_dot4c_i32_i8_e32 v170, v89, v162
	;; [unrolled: 1-line block ×28, first 2 shown]
	ds_read_b128 v[158:161], v152 offset:3072
	ds_read_b128 v[162:165], v152 offset:3088
	v_cvt_f32_i32_e32 v168, v168
	s_waitcnt lgkmcnt(2)
	v_pk_mul_f32 v[166:167], v[86:87], v[122:123] op_sel_hi:[0,1]
	s_waitcnt lgkmcnt(1)
	v_dot4c_i32_i8_e32 v169, v94, v158
	s_waitcnt lgkmcnt(0)
	v_dot4c_i32_i8_e32 v169, v95, v162
	v_dot4c_i32_i8_e32 v169, v102, v159
	;; [unrolled: 1-line block ×7, first 2 shown]
	s_nop 2
	v_cvt_f32_i32_e32 v169, v169
	v_pk_fma_f32 v[24:25], v[166:167], v[168:169], v[24:25]
	v_mov_b32_e32 v168, 0
	v_dot4c_i32_i8_e32 v168, v88, v158
	v_dot4c_i32_i8_e32 v168, v89, v162
	;; [unrolled: 1-line block ×8, first 2 shown]
	v_pk_mul_f32 v[166:167], v[82:83], v[122:123] op_sel_hi:[0,1]
	s_nop 1
	v_cvt_f32_i32_e32 v169, v168
	v_cvt_f32_i32_e32 v168, v170
	v_mov_b32_e32 v170, 0
	v_pk_fma_f32 v[22:23], v[166:167], v[168:169], v[22:23]
	v_mov_b32_e32 v168, 0
	v_dot4c_i32_i8_e32 v168, v92, v158
	v_dot4c_i32_i8_e32 v168, v93, v162
	;; [unrolled: 1-line block ×8, first 2 shown]
	v_pk_mul_f32 v[166:167], v[84:85], v[122:123] op_sel_hi:[0,1]
	v_pk_mul_f32 v[122:123], v[90:91], v[122:123] op_sel_hi:[0,1]
	s_nop 0
	v_cvt_f32_i32_e32 v169, v168
	v_cvt_f32_i32_e32 v168, v171
	v_mov_b32_e32 v171, 0
	v_pk_fma_f32 v[20:21], v[166:167], v[168:169], v[20:21]
	v_mov_b32_e32 v166, 0
	v_dot4c_i32_i8_e32 v166, v98, v158
	v_dot4c_i32_i8_e32 v166, v99, v162
	;; [unrolled: 1-line block ×8, first 2 shown]
	v_cvt_f32_i32_e32 v158, v172
	v_mov_b32_e32 v168, 0
	v_mov_b32_e32 v172, 0
	v_cvt_f32_i32_e32 v159, v166
	v_mov_b32_e32 v169, 0
	v_pk_fma_f32 v[18:19], v[122:123], v[158:159], v[18:19]
	ds_read_b128 v[158:161], v152 offset:4096
	ds_read_b128 v[162:165], v152 offset:4112
	ds_read2_b32 v[122:123], v83 offset0:128 offset1:160
	s_waitcnt lgkmcnt(2)
	v_dot4c_i32_i8_e32 v168, v94, v158
	v_dot4c_i32_i8_e32 v170, v88, v158
	;; [unrolled: 1-line block ×4, first 2 shown]
	s_waitcnt lgkmcnt(1)
	v_dot4c_i32_i8_e32 v168, v95, v162
	v_dot4c_i32_i8_e32 v170, v89, v162
	;; [unrolled: 1-line block ×28, first 2 shown]
	ds_read_b128 v[158:161], v152 offset:5120
	ds_read_b128 v[162:165], v152 offset:5136
	v_cvt_f32_i32_e32 v168, v168
	s_waitcnt lgkmcnt(2)
	v_pk_mul_f32 v[166:167], v[86:87], v[122:123] op_sel_hi:[0,1]
	s_waitcnt lgkmcnt(1)
	v_dot4c_i32_i8_e32 v169, v94, v158
	s_waitcnt lgkmcnt(0)
	v_dot4c_i32_i8_e32 v169, v95, v162
	v_dot4c_i32_i8_e32 v169, v102, v159
	;; [unrolled: 1-line block ×7, first 2 shown]
	s_nop 2
	v_cvt_f32_i32_e32 v169, v169
	v_pk_fma_f32 v[16:17], v[166:167], v[168:169], v[16:17]
	v_mov_b32_e32 v168, 0
	v_dot4c_i32_i8_e32 v168, v88, v158
	v_dot4c_i32_i8_e32 v168, v89, v162
	;; [unrolled: 1-line block ×8, first 2 shown]
	v_pk_mul_f32 v[166:167], v[82:83], v[122:123] op_sel_hi:[0,1]
	s_nop 1
	v_cvt_f32_i32_e32 v169, v168
	v_cvt_f32_i32_e32 v168, v170
	v_mov_b32_e32 v170, 0
	v_pk_fma_f32 v[14:15], v[166:167], v[168:169], v[14:15]
	v_mov_b32_e32 v168, 0
	v_dot4c_i32_i8_e32 v168, v92, v158
	v_dot4c_i32_i8_e32 v168, v93, v162
	;; [unrolled: 1-line block ×8, first 2 shown]
	v_pk_mul_f32 v[166:167], v[84:85], v[122:123] op_sel_hi:[0,1]
	v_pk_mul_f32 v[122:123], v[90:91], v[122:123] op_sel_hi:[0,1]
	s_nop 0
	v_cvt_f32_i32_e32 v169, v168
	v_cvt_f32_i32_e32 v168, v171
	v_pk_fma_f32 v[12:13], v[166:167], v[168:169], v[12:13]
	v_mov_b32_e32 v166, 0
	v_dot4c_i32_i8_e32 v166, v98, v158
	v_dot4c_i32_i8_e32 v166, v99, v162
	;; [unrolled: 1-line block ×8, first 2 shown]
	v_cvt_f32_i32_e32 v158, v172
	v_mov_b32_e32 v167, 0
	v_mov_b32_e32 v168, 0
	v_cvt_f32_i32_e32 v159, v166
	v_mov_b32_e32 v166, 0
	v_mov_b32_e32 v169, 0
	v_pk_fma_f32 v[10:11], v[122:123], v[158:159], v[10:11]
	ds_read_b128 v[158:161], v152 offset:6144
	ds_read_b128 v[162:165], v152 offset:6160
	ds_read2_b32 v[122:123], v83 offset0:192 offset1:224
	s_waitcnt lgkmcnt(2)
	v_dot4c_i32_i8_e32 v166, v94, v158
	v_dot4c_i32_i8_e32 v167, v88, v158
	;; [unrolled: 1-line block ×4, first 2 shown]
	s_waitcnt lgkmcnt(1)
	v_dot4c_i32_i8_e32 v166, v95, v162
	v_dot4c_i32_i8_e32 v167, v89, v162
	;; [unrolled: 1-line block ×28, first 2 shown]
	ds_read_b128 v[158:161], v152 offset:7168
	ds_read_b128 v[162:165], v152 offset:7184
	v_add_u32_e32 v152, 32, v152
	s_waitcnt lgkmcnt(1)
	v_dot4c_i32_i8_e32 v170, v94, v158
	s_waitcnt lgkmcnt(0)
	v_dot4c_i32_i8_e32 v170, v95, v162
	v_pk_mul_f32 v[94:95], v[86:87], v[122:123] op_sel_hi:[0,1]
	v_mov_b32_e32 v86, 0
	v_dot4c_i32_i8_e32 v86, v88, v158
	v_dot4c_i32_i8_e32 v86, v89, v162
	v_pk_mul_f32 v[88:89], v[82:83], v[122:123] op_sel_hi:[0,1]
	v_mov_b32_e32 v82, 0
	v_dot4c_i32_i8_e32 v82, v92, v158
	v_dot4c_i32_i8_e32 v82, v93, v162
	;; [unrolled: 1-line block ×16, first 2 shown]
	v_cvt_f32_i32_e32 v102, v166
	v_cvt_f32_i32_e32 v103, v170
	v_dot4c_i32_i8_e32 v86, v104, v160
	v_cvt_f32_i32_e32 v93, v82
	v_mov_b32_e32 v82, 0
	v_dot4c_i32_i8_e32 v86, v105, v164
	v_dot4c_i32_i8_e32 v82, v98, v158
	;; [unrolled: 1-line block ×6, first 2 shown]
	v_pk_fma_f32 v[8:9], v[94:95], v[102:103], v[8:9]
	v_cvt_f32_i32_e32 v94, v167
	v_cvt_f32_i32_e32 v95, v86
	v_dot4c_i32_i8_e32 v82, v107, v163
	v_cvt_f32_i32_e32 v92, v168
	v_dot4c_i32_i8_e32 v82, v116, v160
	v_dot4c_i32_i8_e32 v82, v117, v164
	;; [unrolled: 1-line block ×3, first 2 shown]
	v_pk_fma_f32 v[6:7], v[88:89], v[94:95], v[6:7]
	v_pk_mul_f32 v[88:89], v[84:85], v[122:123] op_sel_hi:[0,1]
	v_dot4c_i32_i8_e32 v82, v121, v165
	v_pk_fma_f32 v[4:5], v[88:89], v[92:93], v[4:5]
	v_cvt_f32_i32_e32 v92, v169
	v_pk_mul_f32 v[88:89], v[90:91], v[122:123] op_sel_hi:[0,1]
	v_cvt_f32_i32_e32 v93, v82
	v_add_u32_e32 v83, 4, v83
	v_pk_fma_f32 v[2:3], v[88:89], v[92:93], v[2:3]
	s_cbranch_scc1 .LBB141_10
; %bb.11:                               ;   in Loop: Header=BB141_6 Depth=1
	s_barrier
	s_branch .LBB141_5
.LBB141_12:
	v_mov_b32_e32 v32, v33
.LBB141_13:
	v_cmp_gt_u32_e32 vcc, s8, v37
	s_and_saveexec_b64 s[0:1], vcc
	s_cbranch_execz .LBB141_64
; %bb.14:
	v_add_u32_e32 v0, s6, v1
	v_mul_lo_u32 v33, v37, s10
	v_cmp_gt_u32_e32 vcc, s10, v0
	s_and_saveexec_b64 s[2:3], vcc
	s_cbranch_execz .LBB141_16
; %bb.15:
	v_add_u32_e32 v36, v0, v33
	v_mov_b32_e32 v37, 0
	v_cvt_f16_f32_e32 v34, v34
	v_lshlrev_b64 v[36:37], 1, v[36:37]
	s_waitcnt lgkmcnt(0)
	v_mov_b32_e32 v1, s13
	v_add_co_u32_e64 v36, s[0:1], s12, v36
	v_addc_co_u32_e64 v37, s[0:1], v1, v37, s[0:1]
	global_store_short v[36:37], v34, off
.LBB141_16:
	s_or_b64 exec, exec, s[2:3]
	v_add_u32_e32 v1, 32, v0
	v_cmp_gt_u32_e64 s[0:1], s10, v1
	s_and_saveexec_b64 s[4:5], s[0:1]
	s_cbranch_execz .LBB141_18
; %bb.17:
	v_add_u32_e32 v36, v1, v33
	v_mov_b32_e32 v37, 0
	v_cvt_f16_f32_e32 v30, v30
	v_lshlrev_b64 v[36:37], 1, v[36:37]
	s_waitcnt lgkmcnt(0)
	v_mov_b32_e32 v34, s13
	v_add_co_u32_e64 v36, s[2:3], s12, v36
	v_addc_co_u32_e64 v37, s[2:3], v34, v37, s[2:3]
	global_store_short v[36:37], v30, off
.LBB141_18:
	s_or_b64 exec, exec, s[4:5]
	v_add_u32_e32 v30, 64, v0
	v_cmp_gt_u32_e64 s[2:3], s10, v30
	s_and_saveexec_b64 s[6:7], s[2:3]
	;; [unrolled: 16-line block ×3, first 2 shown]
	s_cbranch_execz .LBB141_22
; %bb.21:
	v_add_u32_e32 v36, v28, v33
	v_mov_b32_e32 v37, 0
	v_cvt_f16_f32_e32 v26, v26
	v_lshlrev_b64 v[36:37], 1, v[36:37]
	s_waitcnt lgkmcnt(0)
	v_mov_b32_e32 v33, s13
	v_add_co_u32_e64 v36, s[6:7], s12, v36
	v_addc_co_u32_e64 v37, s[6:7], v33, v37, s[6:7]
	global_store_short v[36:37], v26, off
.LBB141_22:
	s_or_b64 exec, exec, s[14:15]
	v_add3_u32 v26, v32, s11, 8
	v_cmp_gt_u32_e64 s[6:7], s8, v26
	s_and_b64 exec, exec, s[6:7]
	s_cbranch_execz .LBB141_64
; %bb.23:
	v_mul_lo_u32 v26, v26, s10
	s_and_saveexec_b64 s[14:15], vcc
	s_cbranch_execnz .LBB141_65
; %bb.24:
	s_or_b64 exec, exec, s[14:15]
	s_and_saveexec_b64 s[14:15], s[0:1]
	s_cbranch_execnz .LBB141_66
.LBB141_25:
	s_or_b64 exec, exec, s[14:15]
	s_and_saveexec_b64 s[14:15], s[2:3]
	s_cbranch_execnz .LBB141_67
.LBB141_26:
	s_or_b64 exec, exec, s[14:15]
	s_and_saveexec_b64 s[14:15], s[4:5]
	s_cbranch_execz .LBB141_28
.LBB141_27:
	v_add_u32_e32 v34, v26, v28
	v_mov_b32_e32 v35, 0
	v_cvt_f16_f32_e32 v31, v27
	v_lshlrev_b64 v[34:35], 1, v[34:35]
	s_waitcnt lgkmcnt(0)
	v_mov_b32_e32 v29, s13
	v_add_co_u32_e64 v26, s[6:7], s12, v34
	v_addc_co_u32_e64 v27, s[6:7], v29, v35, s[6:7]
	global_store_short v[26:27], v31, off
.LBB141_28:
	s_or_b64 exec, exec, s[14:15]
	v_add3_u32 v26, v32, s11, 16
	v_cmp_gt_u32_e64 s[6:7], s8, v26
	s_and_b64 exec, exec, s[6:7]
	s_cbranch_execz .LBB141_64
; %bb.29:
	v_mul_lo_u32 v26, v26, s10
	s_and_saveexec_b64 s[14:15], vcc
	s_cbranch_execnz .LBB141_68
; %bb.30:
	s_or_b64 exec, exec, s[14:15]
	s_and_saveexec_b64 s[14:15], s[0:1]
	s_cbranch_execnz .LBB141_69
.LBB141_31:
	s_or_b64 exec, exec, s[14:15]
	s_and_saveexec_b64 s[14:15], s[2:3]
	s_cbranch_execnz .LBB141_70
.LBB141_32:
	s_or_b64 exec, exec, s[14:15]
	s_and_saveexec_b64 s[14:15], s[4:5]
	s_cbranch_execz .LBB141_34
.LBB141_33:
	v_add_u32_e32 v26, v26, v28
	v_mov_b32_e32 v27, 0
	v_cvt_f16_f32_e32 v18, v18
	v_lshlrev_b64 v[26:27], 1, v[26:27]
	s_waitcnt lgkmcnt(0)
	v_mov_b32_e32 v20, s13
	v_add_co_u32_e64 v26, s[6:7], s12, v26
	v_addc_co_u32_e64 v27, s[6:7], v20, v27, s[6:7]
	global_store_short v[26:27], v18, off
.LBB141_34:
	s_or_b64 exec, exec, s[14:15]
	v_add3_u32 v18, v32, s11, 24
	v_cmp_gt_u32_e64 s[6:7], s8, v18
	s_and_b64 exec, exec, s[6:7]
	s_cbranch_execz .LBB141_64
; %bb.35:
	v_mul_lo_u32 v18, v18, s10
	s_and_saveexec_b64 s[14:15], vcc
	s_cbranch_execnz .LBB141_71
; %bb.36:
	s_or_b64 exec, exec, s[14:15]
	s_and_saveexec_b64 s[14:15], s[0:1]
	s_cbranch_execnz .LBB141_72
.LBB141_37:
	s_or_b64 exec, exec, s[14:15]
	s_and_saveexec_b64 s[14:15], s[2:3]
	s_cbranch_execnz .LBB141_73
.LBB141_38:
	s_or_b64 exec, exec, s[14:15]
	s_and_saveexec_b64 s[14:15], s[4:5]
	s_cbranch_execz .LBB141_40
.LBB141_39:
	v_add_u32_e32 v20, v18, v28
	v_mov_b32_e32 v21, 0
	v_cvt_f16_f32_e32 v23, v19
	v_lshlrev_b64 v[20:21], 1, v[20:21]
	s_waitcnt lgkmcnt(0)
	v_mov_b32_e32 v22, s13
	v_add_co_u32_e64 v18, s[6:7], s12, v20
	v_addc_co_u32_e64 v19, s[6:7], v22, v21, s[6:7]
	global_store_short v[18:19], v23, off
.LBB141_40:
	s_or_b64 exec, exec, s[14:15]
	v_add3_u32 v18, v32, s11, 32
	v_cmp_gt_u32_e64 s[6:7], s8, v18
	s_and_b64 exec, exec, s[6:7]
	s_cbranch_execz .LBB141_64
; %bb.41:
	v_mul_lo_u32 v18, v18, s10
	s_and_saveexec_b64 s[14:15], vcc
	s_cbranch_execnz .LBB141_74
; %bb.42:
	s_or_b64 exec, exec, s[14:15]
	s_and_saveexec_b64 s[14:15], s[0:1]
	s_cbranch_execnz .LBB141_75
.LBB141_43:
	s_or_b64 exec, exec, s[14:15]
	s_and_saveexec_b64 s[14:15], s[2:3]
	s_cbranch_execnz .LBB141_76
.LBB141_44:
	s_or_b64 exec, exec, s[14:15]
	s_and_saveexec_b64 s[14:15], s[4:5]
	s_cbranch_execz .LBB141_46
.LBB141_45:
	v_add_u32_e32 v18, v18, v28
	v_mov_b32_e32 v19, 0
	v_cvt_f16_f32_e32 v10, v10
	v_lshlrev_b64 v[18:19], 1, v[18:19]
	s_waitcnt lgkmcnt(0)
	v_mov_b32_e32 v12, s13
	v_add_co_u32_e64 v18, s[6:7], s12, v18
	v_addc_co_u32_e64 v19, s[6:7], v12, v19, s[6:7]
	global_store_short v[18:19], v10, off
.LBB141_46:
	s_or_b64 exec, exec, s[14:15]
	v_add3_u32 v10, v32, s11, 40
	v_cmp_gt_u32_e64 s[6:7], s8, v10
	s_and_b64 exec, exec, s[6:7]
	s_cbranch_execz .LBB141_64
; %bb.47:
	v_mul_lo_u32 v10, v10, s10
	s_and_saveexec_b64 s[14:15], vcc
	s_cbranch_execnz .LBB141_77
; %bb.48:
	s_or_b64 exec, exec, s[14:15]
	s_and_saveexec_b64 s[14:15], s[0:1]
	s_cbranch_execnz .LBB141_78
.LBB141_49:
	s_or_b64 exec, exec, s[14:15]
	s_and_saveexec_b64 s[14:15], s[2:3]
	s_cbranch_execnz .LBB141_79
.LBB141_50:
	s_or_b64 exec, exec, s[14:15]
	s_and_saveexec_b64 s[14:15], s[4:5]
	s_cbranch_execz .LBB141_52
.LBB141_51:
	v_add_u32_e32 v12, v10, v28
	v_mov_b32_e32 v13, 0
	v_cvt_f16_f32_e32 v15, v11
	v_lshlrev_b64 v[12:13], 1, v[12:13]
	s_waitcnt lgkmcnt(0)
	v_mov_b32_e32 v14, s13
	v_add_co_u32_e64 v10, s[6:7], s12, v12
	v_addc_co_u32_e64 v11, s[6:7], v14, v13, s[6:7]
	global_store_short v[10:11], v15, off
.LBB141_52:
	s_or_b64 exec, exec, s[14:15]
	v_add3_u32 v10, v32, s11, 48
	v_cmp_gt_u32_e64 s[6:7], s8, v10
	s_and_b64 exec, exec, s[6:7]
	s_cbranch_execz .LBB141_64
; %bb.53:
	v_mul_lo_u32 v10, v10, s10
	s_and_saveexec_b64 s[14:15], vcc
	s_cbranch_execnz .LBB141_80
; %bb.54:
	s_or_b64 exec, exec, s[14:15]
	s_and_saveexec_b64 s[14:15], s[0:1]
	s_cbranch_execnz .LBB141_81
.LBB141_55:
	s_or_b64 exec, exec, s[14:15]
	s_and_saveexec_b64 s[14:15], s[2:3]
	s_cbranch_execnz .LBB141_82
.LBB141_56:
	s_or_b64 exec, exec, s[14:15]
	s_and_saveexec_b64 s[14:15], s[4:5]
	s_cbranch_execz .LBB141_58
.LBB141_57:
	v_add_u32_e32 v10, v10, v28
	v_mov_b32_e32 v11, 0
	v_cvt_f16_f32_e32 v2, v2
	v_lshlrev_b64 v[10:11], 1, v[10:11]
	s_waitcnt lgkmcnt(0)
	v_mov_b32_e32 v4, s13
	v_add_co_u32_e64 v10, s[6:7], s12, v10
	v_addc_co_u32_e64 v11, s[6:7], v4, v11, s[6:7]
	global_store_short v[10:11], v2, off
.LBB141_58:
	s_or_b64 exec, exec, s[14:15]
	v_add3_u32 v2, v32, s11, 56
	v_cmp_gt_u32_e64 s[6:7], s8, v2
	s_and_b64 exec, exec, s[6:7]
	s_cbranch_execz .LBB141_64
; %bb.59:
	v_mul_lo_u32 v2, v2, s10
	s_and_saveexec_b64 s[6:7], vcc
	s_cbranch_execnz .LBB141_83
; %bb.60:
	s_or_b64 exec, exec, s[6:7]
	s_and_saveexec_b64 s[6:7], s[0:1]
	s_cbranch_execnz .LBB141_84
.LBB141_61:
	s_or_b64 exec, exec, s[6:7]
	s_and_saveexec_b64 s[0:1], s[2:3]
	s_cbranch_execnz .LBB141_85
.LBB141_62:
	s_or_b64 exec, exec, s[0:1]
	s_and_b64 exec, exec, s[4:5]
	s_cbranch_execz .LBB141_64
.LBB141_63:
	v_add_u32_e32 v0, v2, v28
	v_mov_b32_e32 v1, 0
	v_cvt_f16_f32_e32 v3, v3
	v_lshlrev_b64 v[0:1], 1, v[0:1]
	s_waitcnt lgkmcnt(0)
	v_mov_b32_e32 v2, s13
	v_add_co_u32_e32 v0, vcc, s12, v0
	v_addc_co_u32_e32 v1, vcc, v2, v1, vcc
	global_store_short v[0:1], v3, off
.LBB141_64:
	s_endpgm
.LBB141_65:
	v_add_u32_e32 v36, v26, v0
	v_mov_b32_e32 v37, 0
	v_cvt_f16_f32_e32 v38, v35
	v_lshlrev_b64 v[36:37], 1, v[36:37]
	s_waitcnt lgkmcnt(0)
	v_mov_b32_e32 v33, s13
	v_add_co_u32_e64 v34, s[6:7], s12, v36
	v_addc_co_u32_e64 v35, s[6:7], v33, v37, s[6:7]
	global_store_short v[34:35], v38, off
	s_or_b64 exec, exec, s[14:15]
	s_and_saveexec_b64 s[14:15], s[0:1]
	s_cbranch_execz .LBB141_25
.LBB141_66:
	v_add_u32_e32 v34, v26, v1
	v_mov_b32_e32 v35, 0
	v_cvt_f16_f32_e32 v31, v31
	v_lshlrev_b64 v[34:35], 1, v[34:35]
	s_waitcnt lgkmcnt(0)
	v_mov_b32_e32 v33, s13
	v_add_co_u32_e64 v34, s[6:7], s12, v34
	v_addc_co_u32_e64 v35, s[6:7], v33, v35, s[6:7]
	global_store_short v[34:35], v31, off
	s_or_b64 exec, exec, s[14:15]
	s_and_saveexec_b64 s[14:15], s[2:3]
	s_cbranch_execz .LBB141_26
.LBB141_67:
	v_add_u32_e32 v34, v26, v30
	v_mov_b32_e32 v35, 0
	v_cvt_f16_f32_e32 v29, v29
	v_lshlrev_b64 v[34:35], 1, v[34:35]
	s_waitcnt lgkmcnt(0)
	v_mov_b32_e32 v31, s13
	v_add_co_u32_e64 v34, s[6:7], s12, v34
	v_addc_co_u32_e64 v35, s[6:7], v31, v35, s[6:7]
	global_store_short v[34:35], v29, off
	s_or_b64 exec, exec, s[14:15]
	s_and_saveexec_b64 s[14:15], s[4:5]
	s_cbranch_execnz .LBB141_27
	s_branch .LBB141_28
.LBB141_68:
	v_add_u32_e32 v34, v26, v0
	v_mov_b32_e32 v35, 0
	v_cvt_f16_f32_e32 v24, v24
	v_lshlrev_b64 v[34:35], 1, v[34:35]
	s_waitcnt lgkmcnt(0)
	v_mov_b32_e32 v27, s13
	v_add_co_u32_e64 v34, s[6:7], s12, v34
	v_addc_co_u32_e64 v35, s[6:7], v27, v35, s[6:7]
	global_store_short v[34:35], v24, off
	s_or_b64 exec, exec, s[14:15]
	s_and_saveexec_b64 s[14:15], s[0:1]
	s_cbranch_execz .LBB141_31
.LBB141_69:
	v_add_u32_e32 v34, v26, v1
	v_mov_b32_e32 v35, 0
	v_cvt_f16_f32_e32 v22, v22
	v_lshlrev_b64 v[34:35], 1, v[34:35]
	s_waitcnt lgkmcnt(0)
	v_mov_b32_e32 v24, s13
	v_add_co_u32_e64 v34, s[6:7], s12, v34
	v_addc_co_u32_e64 v35, s[6:7], v24, v35, s[6:7]
	global_store_short v[34:35], v22, off
	s_or_b64 exec, exec, s[14:15]
	s_and_saveexec_b64 s[14:15], s[2:3]
	s_cbranch_execz .LBB141_32
.LBB141_70:
	v_add_u32_e32 v34, v26, v30
	v_mov_b32_e32 v35, 0
	v_cvt_f16_f32_e32 v20, v20
	v_lshlrev_b64 v[34:35], 1, v[34:35]
	s_waitcnt lgkmcnt(0)
	v_mov_b32_e32 v22, s13
	v_add_co_u32_e64 v34, s[6:7], s12, v34
	v_addc_co_u32_e64 v35, s[6:7], v22, v35, s[6:7]
	global_store_short v[34:35], v20, off
	s_or_b64 exec, exec, s[14:15]
	s_and_saveexec_b64 s[14:15], s[4:5]
	s_cbranch_execnz .LBB141_33
	s_branch .LBB141_34
.LBB141_71:
	v_add_u32_e32 v26, v18, v0
	v_mov_b32_e32 v27, 0
	v_cvt_f16_f32_e32 v22, v25
	v_lshlrev_b64 v[26:27], 1, v[26:27]
	s_waitcnt lgkmcnt(0)
	v_mov_b32_e32 v20, s13
	v_add_co_u32_e64 v24, s[6:7], s12, v26
	v_addc_co_u32_e64 v25, s[6:7], v20, v27, s[6:7]
	global_store_short v[24:25], v22, off
	s_or_b64 exec, exec, s[14:15]
	s_and_saveexec_b64 s[14:15], s[0:1]
	s_cbranch_execz .LBB141_37
.LBB141_72:
	v_add_u32_e32 v24, v18, v1
	v_mov_b32_e32 v25, 0
	v_cvt_f16_f32_e32 v26, v23
	v_lshlrev_b64 v[24:25], 1, v[24:25]
	s_waitcnt lgkmcnt(0)
	v_mov_b32_e32 v20, s13
	v_add_co_u32_e64 v22, s[6:7], s12, v24
	v_addc_co_u32_e64 v23, s[6:7], v20, v25, s[6:7]
	global_store_short v[22:23], v26, off
	s_or_b64 exec, exec, s[14:15]
	s_and_saveexec_b64 s[14:15], s[2:3]
	s_cbranch_execz .LBB141_38
.LBB141_73:
	v_add_u32_e32 v22, v18, v30
	v_mov_b32_e32 v23, 0
	v_cvt_f16_f32_e32 v25, v21
	v_lshlrev_b64 v[22:23], 1, v[22:23]
	s_waitcnt lgkmcnt(0)
	v_mov_b32_e32 v24, s13
	v_add_co_u32_e64 v20, s[6:7], s12, v22
	v_addc_co_u32_e64 v21, s[6:7], v24, v23, s[6:7]
	global_store_short v[20:21], v25, off
	s_or_b64 exec, exec, s[14:15]
	s_and_saveexec_b64 s[14:15], s[4:5]
	s_cbranch_execnz .LBB141_39
	s_branch .LBB141_40
.LBB141_74:
	v_add_u32_e32 v20, v18, v0
	v_mov_b32_e32 v21, 0
	v_cvt_f16_f32_e32 v16, v16
	v_lshlrev_b64 v[20:21], 1, v[20:21]
	s_waitcnt lgkmcnt(0)
	v_mov_b32_e32 v19, s13
	v_add_co_u32_e64 v20, s[6:7], s12, v20
	v_addc_co_u32_e64 v21, s[6:7], v19, v21, s[6:7]
	global_store_short v[20:21], v16, off
	s_or_b64 exec, exec, s[14:15]
	s_and_saveexec_b64 s[14:15], s[0:1]
	s_cbranch_execz .LBB141_43
.LBB141_75:
	v_add_u32_e32 v20, v18, v1
	v_mov_b32_e32 v21, 0
	v_cvt_f16_f32_e32 v14, v14
	v_lshlrev_b64 v[20:21], 1, v[20:21]
	s_waitcnt lgkmcnt(0)
	v_mov_b32_e32 v16, s13
	v_add_co_u32_e64 v20, s[6:7], s12, v20
	v_addc_co_u32_e64 v21, s[6:7], v16, v21, s[6:7]
	global_store_short v[20:21], v14, off
	s_or_b64 exec, exec, s[14:15]
	s_and_saveexec_b64 s[14:15], s[2:3]
	s_cbranch_execz .LBB141_44
.LBB141_76:
	v_add_u32_e32 v20, v18, v30
	v_mov_b32_e32 v21, 0
	v_cvt_f16_f32_e32 v12, v12
	v_lshlrev_b64 v[20:21], 1, v[20:21]
	s_waitcnt lgkmcnt(0)
	v_mov_b32_e32 v14, s13
	v_add_co_u32_e64 v20, s[6:7], s12, v20
	v_addc_co_u32_e64 v21, s[6:7], v14, v21, s[6:7]
	global_store_short v[20:21], v12, off
	s_or_b64 exec, exec, s[14:15]
	s_and_saveexec_b64 s[14:15], s[4:5]
	s_cbranch_execnz .LBB141_45
	s_branch .LBB141_46
.LBB141_77:
	v_add_u32_e32 v18, v10, v0
	v_mov_b32_e32 v19, 0
	v_cvt_f16_f32_e32 v14, v17
	v_lshlrev_b64 v[18:19], 1, v[18:19]
	s_waitcnt lgkmcnt(0)
	v_mov_b32_e32 v12, s13
	v_add_co_u32_e64 v16, s[6:7], s12, v18
	v_addc_co_u32_e64 v17, s[6:7], v12, v19, s[6:7]
	global_store_short v[16:17], v14, off
	s_or_b64 exec, exec, s[14:15]
	s_and_saveexec_b64 s[14:15], s[0:1]
	s_cbranch_execz .LBB141_49
.LBB141_78:
	v_add_u32_e32 v16, v10, v1
	v_mov_b32_e32 v17, 0
	v_cvt_f16_f32_e32 v18, v15
	v_lshlrev_b64 v[16:17], 1, v[16:17]
	s_waitcnt lgkmcnt(0)
	v_mov_b32_e32 v12, s13
	v_add_co_u32_e64 v14, s[6:7], s12, v16
	v_addc_co_u32_e64 v15, s[6:7], v12, v17, s[6:7]
	global_store_short v[14:15], v18, off
	s_or_b64 exec, exec, s[14:15]
	s_and_saveexec_b64 s[14:15], s[2:3]
	s_cbranch_execz .LBB141_50
.LBB141_79:
	v_add_u32_e32 v14, v10, v30
	v_mov_b32_e32 v15, 0
	v_cvt_f16_f32_e32 v17, v13
	v_lshlrev_b64 v[14:15], 1, v[14:15]
	s_waitcnt lgkmcnt(0)
	v_mov_b32_e32 v16, s13
	v_add_co_u32_e64 v12, s[6:7], s12, v14
	v_addc_co_u32_e64 v13, s[6:7], v16, v15, s[6:7]
	global_store_short v[12:13], v17, off
	s_or_b64 exec, exec, s[14:15]
	s_and_saveexec_b64 s[14:15], s[4:5]
	s_cbranch_execnz .LBB141_51
	s_branch .LBB141_52
.LBB141_80:
	v_add_u32_e32 v12, v10, v0
	v_mov_b32_e32 v13, 0
	v_cvt_f16_f32_e32 v8, v8
	v_lshlrev_b64 v[12:13], 1, v[12:13]
	s_waitcnt lgkmcnt(0)
	v_mov_b32_e32 v11, s13
	v_add_co_u32_e64 v12, s[6:7], s12, v12
	v_addc_co_u32_e64 v13, s[6:7], v11, v13, s[6:7]
	global_store_short v[12:13], v8, off
	s_or_b64 exec, exec, s[14:15]
	s_and_saveexec_b64 s[14:15], s[0:1]
	s_cbranch_execz .LBB141_55
.LBB141_81:
	v_add_u32_e32 v12, v10, v1
	v_mov_b32_e32 v13, 0
	v_cvt_f16_f32_e32 v6, v6
	v_lshlrev_b64 v[12:13], 1, v[12:13]
	s_waitcnt lgkmcnt(0)
	v_mov_b32_e32 v8, s13
	v_add_co_u32_e64 v12, s[6:7], s12, v12
	v_addc_co_u32_e64 v13, s[6:7], v8, v13, s[6:7]
	global_store_short v[12:13], v6, off
	s_or_b64 exec, exec, s[14:15]
	s_and_saveexec_b64 s[14:15], s[2:3]
	s_cbranch_execz .LBB141_56
.LBB141_82:
	v_add_u32_e32 v12, v10, v30
	v_mov_b32_e32 v13, 0
	v_cvt_f16_f32_e32 v4, v4
	v_lshlrev_b64 v[12:13], 1, v[12:13]
	s_waitcnt lgkmcnt(0)
	v_mov_b32_e32 v6, s13
	v_add_co_u32_e64 v12, s[6:7], s12, v12
	v_addc_co_u32_e64 v13, s[6:7], v6, v13, s[6:7]
	global_store_short v[12:13], v4, off
	s_or_b64 exec, exec, s[14:15]
	s_and_saveexec_b64 s[14:15], s[4:5]
	s_cbranch_execnz .LBB141_57
	s_branch .LBB141_58
.LBB141_83:
	v_add_u32_e32 v10, v2, v0
	v_mov_b32_e32 v11, 0
	v_cvt_f16_f32_e32 v4, v9
	v_lshlrev_b64 v[10:11], 1, v[10:11]
	s_waitcnt lgkmcnt(0)
	v_mov_b32_e32 v0, s13
	v_add_co_u32_e32 v8, vcc, s12, v10
	v_addc_co_u32_e32 v9, vcc, v0, v11, vcc
	global_store_short v[8:9], v4, off
	s_or_b64 exec, exec, s[6:7]
	s_and_saveexec_b64 s[6:7], s[0:1]
	s_cbranch_execz .LBB141_61
.LBB141_84:
	v_add_u32_e32 v0, v2, v1
	v_mov_b32_e32 v1, 0
	v_cvt_f16_f32_e32 v6, v7
	v_lshlrev_b64 v[0:1], 1, v[0:1]
	s_waitcnt lgkmcnt(0)
	v_mov_b32_e32 v4, s13
	v_add_co_u32_e32 v0, vcc, s12, v0
	v_addc_co_u32_e32 v1, vcc, v4, v1, vcc
	global_store_short v[0:1], v6, off
	s_or_b64 exec, exec, s[6:7]
	s_and_saveexec_b64 s[0:1], s[2:3]
	s_cbranch_execz .LBB141_62
.LBB141_85:
	v_add_u32_e32 v0, v2, v30
	v_mov_b32_e32 v1, 0
	v_cvt_f16_f32_e32 v5, v5
	v_lshlrev_b64 v[0:1], 1, v[0:1]
	s_waitcnt lgkmcnt(0)
	v_mov_b32_e32 v4, s13
	v_add_co_u32_e32 v0, vcc, s12, v0
	v_addc_co_u32_e32 v1, vcc, v4, v1, vcc
	global_store_short v[0:1], v5, off
	s_or_b64 exec, exec, s[0:1]
	s_and_b64 exec, exec, s[4:5]
	s_cbranch_execnz .LBB141_63
	s_branch .LBB141_64
	.section	.rodata,"a",@progbits
	.p2align	6, 0x0
	.amdhsa_kernel _ZL12mul_mat_q5_0IN3c104HalfELb0EEvPKvS3_PT_iiiii
		.amdhsa_group_segment_fixed_size 46720
		.amdhsa_private_segment_fixed_size 0
		.amdhsa_kernarg_size 44
		.amdhsa_user_sgpr_count 6
		.amdhsa_user_sgpr_private_segment_buffer 1
		.amdhsa_user_sgpr_dispatch_ptr 0
		.amdhsa_user_sgpr_queue_ptr 0
		.amdhsa_user_sgpr_kernarg_segment_ptr 1
		.amdhsa_user_sgpr_dispatch_id 0
		.amdhsa_user_sgpr_flat_scratch_init 0
		.amdhsa_user_sgpr_kernarg_preload_length 0
		.amdhsa_user_sgpr_kernarg_preload_offset 0
		.amdhsa_user_sgpr_private_segment_size 0
		.amdhsa_uses_dynamic_stack 0
		.amdhsa_system_sgpr_private_segment_wavefront_offset 0
		.amdhsa_system_sgpr_workgroup_id_x 1
		.amdhsa_system_sgpr_workgroup_id_y 1
		.amdhsa_system_sgpr_workgroup_id_z 0
		.amdhsa_system_sgpr_workgroup_info 0
		.amdhsa_system_vgpr_workitem_id 1
		.amdhsa_next_free_vgpr 175
		.amdhsa_next_free_sgpr 20
		.amdhsa_accum_offset 176
		.amdhsa_reserve_vcc 1
		.amdhsa_reserve_flat_scratch 0
		.amdhsa_float_round_mode_32 0
		.amdhsa_float_round_mode_16_64 0
		.amdhsa_float_denorm_mode_32 3
		.amdhsa_float_denorm_mode_16_64 3
		.amdhsa_dx10_clamp 1
		.amdhsa_ieee_mode 1
		.amdhsa_fp16_overflow 0
		.amdhsa_tg_split 0
		.amdhsa_exception_fp_ieee_invalid_op 0
		.amdhsa_exception_fp_denorm_src 0
		.amdhsa_exception_fp_ieee_div_zero 0
		.amdhsa_exception_fp_ieee_overflow 0
		.amdhsa_exception_fp_ieee_underflow 0
		.amdhsa_exception_fp_ieee_inexact 0
		.amdhsa_exception_int_div_zero 0
	.end_amdhsa_kernel
	.section	.text._ZL12mul_mat_q5_0IN3c104HalfELb0EEvPKvS3_PT_iiiii,"axG",@progbits,_ZL12mul_mat_q5_0IN3c104HalfELb0EEvPKvS3_PT_iiiii,comdat
.Lfunc_end141:
	.size	_ZL12mul_mat_q5_0IN3c104HalfELb0EEvPKvS3_PT_iiiii, .Lfunc_end141-_ZL12mul_mat_q5_0IN3c104HalfELb0EEvPKvS3_PT_iiiii
                                        ; -- End function
	.section	.AMDGPU.csdata,"",@progbits
; Kernel info:
; codeLenInByte = 14852
; NumSgprs: 24
; NumVgprs: 175
; NumAgprs: 0
; TotalNumVgprs: 175
; ScratchSize: 0
; MemoryBound: 0
; FloatMode: 240
; IeeeMode: 1
; LDSByteSize: 46720 bytes/workgroup (compile time only)
; SGPRBlocks: 2
; VGPRBlocks: 21
; NumSGPRsForWavesPerEU: 24
; NumVGPRsForWavesPerEU: 175
; AccumOffset: 176
; Occupancy: 1
; WaveLimiterHint : 0
; COMPUTE_PGM_RSRC2:SCRATCH_EN: 0
; COMPUTE_PGM_RSRC2:USER_SGPR: 6
; COMPUTE_PGM_RSRC2:TRAP_HANDLER: 0
; COMPUTE_PGM_RSRC2:TGID_X_EN: 1
; COMPUTE_PGM_RSRC2:TGID_Y_EN: 1
; COMPUTE_PGM_RSRC2:TGID_Z_EN: 0
; COMPUTE_PGM_RSRC2:TIDIG_COMP_CNT: 1
; COMPUTE_PGM_RSRC3_GFX90A:ACCUM_OFFSET: 43
; COMPUTE_PGM_RSRC3_GFX90A:TG_SPLIT: 0
	.section	.text._ZL12mul_mat_q5_0IN3c104HalfELb1EEvPKvS3_PT_iiiii,"axG",@progbits,_ZL12mul_mat_q5_0IN3c104HalfELb1EEvPKvS3_PT_iiiii,comdat
	.globl	_ZL12mul_mat_q5_0IN3c104HalfELb1EEvPKvS3_PT_iiiii ; -- Begin function _ZL12mul_mat_q5_0IN3c104HalfELb1EEvPKvS3_PT_iiiii
	.p2align	8
	.type	_ZL12mul_mat_q5_0IN3c104HalfELb1EEvPKvS3_PT_iiiii,@function
_ZL12mul_mat_q5_0IN3c104HalfELb1EEvPKvS3_PT_iiiii: ; @_ZL12mul_mat_q5_0IN3c104HalfELb1EEvPKvS3_PT_iiiii
; %bb.0:
	s_load_dwordx4 s[8:11], s[4:5], 0x18
	s_load_dword s14, s[4:5], 0x28
	s_lshl_b32 s15, s7, 6
	v_bfe_u32 v29, v0, 10, 10
	s_waitcnt lgkmcnt(0)
	s_cmp_gt_i32 s8, 31
	s_cbranch_scc1 .LBB142_2
; %bb.1:
	v_bfe_u32 v28, v0, 10, 10
	s_mov_b32 s0, 0
	v_and_b32_e32 v1, 0x3ff, v0
	v_add_u32_e32 v31, s15, v28
	s_mov_b32 s1, s0
	s_mov_b64 s[2:3], 0
	s_branch .LBB142_3
.LBB142_2:
	s_mov_b64 s[2:3], -1
                                        ; implicit-def: $sgpr0_sgpr1
                                        ; implicit-def: $vgpr28
                                        ; implicit-def: $vgpr1
                                        ; implicit-def: $vgpr31
.LBB142_3:
	s_load_dwordx2 s[12:13], s[4:5], 0x10
	s_lshl_b32 s6, s6, 7
	s_andn2_b64 vcc, exec, s[2:3]
	v_pk_mov_b32 v[2:3], s[0:1], s[0:1] op_sel:[0,1]
	v_pk_mov_b32 v[10:11], s[0:1], s[0:1] op_sel:[0,1]
	;; [unrolled: 1-line block ×16, first 2 shown]
	s_cbranch_vccnz .LBB142_13
; %bb.4:
	s_load_dwordx4 s[0:3], s[4:5], 0x0
	s_ashr_i32 s4, s8, 31
	s_lshr_b32 s4, s4, 27
	s_add_i32 s4, s8, s4
	s_ashr_i32 s7, s4, 5
	s_ashr_i32 s4, s11, 31
	s_lshr_b32 s4, s4, 27
	s_add_i32 s4, s11, s4
	s_mul_i32 s5, s7, s6
	s_ashr_i32 s4, s4, 5
	s_mul_hi_i32 s11, s5, 22
	s_mul_i32 s5, s5, 22
	s_waitcnt lgkmcnt(0)
	s_add_u32 s8, s0, s5
	s_addc_u32 s11, s1, s11
	s_not_b32 s0, s6
	s_add_i32 s5, s0, s9
	v_and_b32_e32 v1, 0x3ff, v0
	v_min_i32_e32 v3, s5, v29
	v_lshlrev_b32_e32 v4, 3, v1
	s_movk_i32 s1, 0x104
	v_add_u32_e32 v6, 8, v29
	v_mul_lo_u32 v30, v3, s7
	v_mad_u64_u32 v[32:33], s[16:17], v3, s1, v[4:5]
	v_min_i32_e32 v3, s5, v6
	v_add_u32_e32 v7, 16, v29
	v_mul_lo_u32 v34, v3, s7
	v_mad_u64_u32 v[36:37], s[16:17], v3, s1, v[4:5]
	v_min_i32_e32 v3, s5, v7
	;; [unrolled: 4-line block ×7, first 2 shown]
	v_mul_lo_u32 v60, v3, s7
	v_mad_u64_u32 v[62:63], s[16:17], v3, s1, v[4:5]
	v_add_u32_e32 v3, 64, v29
	v_min_i32_e32 v3, s5, v3
	v_mul_lo_u32 v66, v3, s7
	v_mad_u64_u32 v[68:69], s[16:17], v3, s1, v[4:5]
	v_add_u32_e32 v3, 0x48, v29
	v_min_i32_e32 v3, s5, v3
	;; [unrolled: 4-line block ×8, first 2 shown]
	v_lshrrev_b32_e32 v33, 3, v1
	v_mul_lo_u32 v96, v3, s7
	v_mad_u64_u32 v[98:99], s[16:17], v3, s1, v[4:5]
	v_lshl_add_u32 v3, v29, 2, v33
	v_min_i32_e32 v4, s5, v3
	v_ashrrev_i32_e32 v5, 31, v4
	v_lshrrev_b32_e32 v5, 30, v5
	v_and_b32_e32 v100, 7, v1
	v_mul_lo_u32 v102, v4, s7
	v_add_u32_e32 v5, v4, v5
	v_lshlrev_b32_e32 v15, 5, v4
	v_add_u32_e32 v4, 32, v3
	v_and_b32_e32 v5, -4, v5
	v_lshlrev_b32_e32 v13, 2, v100
	s_mov_b32 s9, 0xa200
	v_min_i32_e32 v4, s5, v4
	v_add3_u32 v14, v5, v13, s9
	v_ashrrev_i32_e32 v5, 31, v4
	v_lshrrev_b32_e32 v5, 30, v5
	v_mul_lo_u32 v104, v4, s7
	v_add_u32_e32 v5, v4, v5
	v_lshlrev_b32_e32 v17, 5, v4
	v_add_u32_e32 v4, 64, v3
	v_and_b32_e32 v5, -4, v5
	v_min_i32_e32 v4, s5, v4
	v_add3_u32 v16, v5, v13, s9
	v_ashrrev_i32_e32 v5, 31, v4
	v_add_u32_e32 v3, 0x60, v3
	v_lshrrev_b32_e32 v5, 30, v5
	v_min_i32_e32 v3, s5, v3
	v_mul_lo_u32 v106, v4, s7
	v_add_u32_e32 v5, v4, v5
	v_lshlrev_b32_e32 v19, 5, v4
	v_ashrrev_i32_e32 v4, 31, v3
	v_lshrrev_b32_e32 v4, 30, v4
	v_mul_lo_u32 v108, v3, s7
	v_add_u32_e32 v4, v3, v4
	v_lshlrev_b32_e32 v20, 5, v3
	v_lshlrev_b32_e32 v3, 2, v1
	v_lshrrev_b32_e32 v0, 2, v1
	v_and_b32_e32 v3, 28, v3
	v_add_co_u32_e32 v110, vcc, s2, v3
	v_lshl_add_u32 v3, v29, 3, v0
	v_mov_b32_e32 v22, s3
	v_and_b32_e32 v3, 63, v3
	v_and_b32_e32 v2, 3, v1
	s_add_i32 s5, s10, -1
	v_addc_co_u32_e32 v111, vcc, 0, v22, vcc
	v_or_b32_e32 v22, s15, v3
	v_lshlrev_b32_e32 v28, 2, v2
	v_min_i32_e32 v22, s5, v22
	v_and_b32_e32 v5, -4, v5
	v_and_b32_e32 v4, -4, v4
	v_add_u32_e32 v31, s15, v29
	v_mad_u64_u32 v[112:113], s[16:17], v22, s4, v[2:3]
	v_lshl_or_b32 v2, v3, 4, v28
	v_add3_u32 v18, v5, v13, s9
	v_add3_u32 v13, v4, v13, s9
	v_cvt_f64_i32_e32 v[4:5], s5
	v_add_u32_e32 v35, 0xb280, v2
	v_cvt_f64_u32_e32 v[2:3], v31
	v_and_b32_e32 v21, 31, v1
	v_min_f64 v[2:3], v[2:3], v[4:5]
	v_cvt_i32_f64_e32 v2, v[2:3]
	v_lshlrev_b32_e32 v21, 2, v21
	v_lshlrev_b32_e32 v22, 7, v29
	v_mul_lo_u32 v37, s4, v2
	v_or_b32_e32 v2, v22, v21
	v_add_u32_e32 v39, 0x8200, v2
	v_add_u32_e32 v2, 8, v31
	v_cvt_f64_u32_e32 v[2:3], v2
	v_min_f64 v[2:3], v[2:3], v[4:5]
	v_cvt_i32_f64_e32 v2, v[2:3]
	v_mul_lo_u32 v41, s4, v2
	v_lshl_or_b32 v2, v6, 7, v21
	v_add_u32_e32 v43, 0x8200, v2
	v_add_u32_e32 v2, 16, v31
	v_cvt_f64_u32_e32 v[2:3], v2
	v_min_f64 v[2:3], v[2:3], v[4:5]
	v_cvt_i32_f64_e32 v2, v[2:3]
	v_mul_lo_u32 v47, s4, v2
	v_lshl_or_b32 v2, v7, 7, v21
	;; [unrolled: 7-line block ×7, first 2 shown]
	v_add_u32_e32 v71, 0x8200, v2
	v_add_u32_e32 v2, 32, v1
	v_lshlrev_b32_e32 v5, 5, v1
	v_lshrrev_b32_e32 v75, 3, v2
	v_and_b32_e32 v2, 0x1fc, v2
	v_add_u32_e32 v2, v5, v2
	s_mov_b32 s0, 0
	v_add_u32_e32 v3, 64, v1
	v_add_u32_e32 v4, 0x60, v1
	;; [unrolled: 1-line block ×4, first 2 shown]
	v_mov_b32_e32 v2, 0x80
	v_and_b32_e32 v4, 0x1fc, v4
	v_and_b32_e32 v3, 0x1fc, v3
	;; [unrolled: 1-line block ×3, first 2 shown]
	v_mad_u32_u24 v99, v1, s1, v2
	s_mov_b32 s1, s0
	v_add_u32_e32 v4, v5, v4
	v_add_u32_e32 v3, v5, v3
	;; [unrolled: 1-line block ×3, first 2 shown]
	v_mov_b32_e32 v6, 0xb280
	v_pk_mov_b32 v[76:77], s[0:1], s[0:1] op_sel:[0,1]
	v_mul_u32_u24_e32 v73, 0x104, v1
	v_add_u32_e32 v79, 0xae00, v4
	v_add_u32_e32 v81, 0xaa00, v3
	;; [unrolled: 1-line block ×4, first 2 shown]
	v_lshl_add_u32 v89, v29, 4, v6
	v_add_u32_e32 v91, 0xae10, v4
	v_add_u32_e32 v93, 0xaa10, v3
	;; [unrolled: 1-line block ×3, first 2 shown]
	s_movk_i32 s1, 0x1f00
	s_movk_i32 s9, 0xf000
	;; [unrolled: 1-line block ×3, first 2 shown]
	v_add_u32_e32 v101, v14, v15
	v_add_u32_e32 v103, v16, v17
	;; [unrolled: 1-line block ×4, first 2 shown]
	v_mov_b32_e32 v109, 8
	v_pk_mov_b32 v[24:25], v[76:77], v[76:77] op_sel:[0,1]
	v_pk_mov_b32 v[16:17], v[76:77], v[76:77] op_sel:[0,1]
	;; [unrolled: 1-line block ×15, first 2 shown]
	s_branch .LBB142_6
.LBB142_5:                              ;   in Loop: Header=BB142_6 Depth=1
	s_add_i32 s0, s0, 8
	s_cmp_ge_i32 s0, s7
	s_cbranch_scc1 .LBB142_12
.LBB142_6:                              ; =>This Loop Header: Depth=1
                                        ;     Child Loop BB142_7 Depth 2
                                        ;     Child Loop BB142_10 Depth 2
	s_mul_i32 s4, s0, 22
	s_mul_hi_u32 s5, s0, 22
	s_add_u32 s4, s8, s4
	s_addc_u32 s5, s11, s5
	v_mad_u64_u32 v[114:115], s[18:19], v0, 22, s[4:5]
	v_mad_i64_i32 v[116:117], s[18:19], v30, 22, v[114:115]
	v_add_co_u32_e32 v118, vcc, v116, v28
	v_addc_co_u32_e32 v119, vcc, 0, v117, vcc
	v_mad_i64_i32 v[124:125], s[18:19], v42, 22, v[114:115]
	v_mad_i64_i32 v[120:121], s[18:19], v34, 22, v[114:115]
	;; [unrolled: 1-line block ×3, first 2 shown]
	global_load_dword v113, v[124:125], off offset:2
	global_load_dword v126, v[122:123], off offset:2
	;; [unrolled: 1-line block ×3, first 2 shown]
	s_nop 0
	global_load_dword v118, v[118:119], off offset:6
	s_nop 0
	global_load_dword v119, v[116:117], off offset:2
	v_add_co_u32_e32 v116, vcc, v120, v28
	v_addc_co_u32_e32 v117, vcc, 0, v121, vcc
	global_load_dword v120, v[116:117], off offset:6
	v_add_co_u32_e32 v116, vcc, v122, v28
	v_addc_co_u32_e32 v117, vcc, 0, v123, vcc
	;; [unrolled: 3-line block ×3, first 2 shown]
	global_load_dword v133, v[116:117], off offset:6
	v_mov_b32_e32 v156, v83
	v_mov_b32_e32 v157, v81
	;; [unrolled: 1-line block ×3, first 2 shown]
	s_waitcnt vmcnt(7)
	v_ashrrev_i32_e32 v113, v28, v113
	s_waitcnt vmcnt(4)
	v_and_b32_e32 v117, 0xf0f0f0f, v118
	s_waitcnt vmcnt(3)
	v_ashrrev_i32_e32 v116, v28, v119
	v_ashrrev_i32_e32 v119, v28, v127
	v_lshlrev_b32_e32 v122, 4, v116
	v_lshlrev_b32_e32 v123, 11, v116
	;; [unrolled: 1-line block ×4, first 2 shown]
	v_lshrrev_b32_e32 v127, 12, v116
	v_lshrrev_b32_e32 v128, 5, v116
	v_lshlrev_b32_e32 v129, 2, v116
	v_lshrrev_b32_e32 v118, 4, v118
	v_lshlrev_b32_e32 v116, 9, v116
	v_and_b32_e32 v122, 16, v122
	v_and_b32_e32 v123, 0x1000, v123
	;; [unrolled: 1-line block ×9, first 2 shown]
	v_or3_b32 v122, v122, v117, v123
	v_or3_b32 v117, v117, v124, v125
	v_or3_b32 v123, v128, v127, v129
	v_and_b32_e32 v125, 0x1f00, v122
	v_lshlrev_b16_e32 v122, 8, v122
	v_and_b32_sdwa v127, v117, s1 dst_sel:DWORD dst_unused:UNUSED_PAD src0_sel:WORD_1 src1_sel:DWORD
	v_lshlrev_b16_sdwa v117, v109, v117 dst_sel:DWORD dst_unused:UNUSED_PAD src0_sel:DWORD src1_sel:WORD_1
	v_or3_b32 v116, v123, v116, v118
	v_add_u16_e32 v118, 0xf000, v122
	v_add_u16_e32 v117, 0xf000, v117
	v_lshlrev_b16_e32 v123, 8, v116
	v_and_b32_sdwa v128, v116, s16 dst_sel:DWORD dst_unused:UNUSED_PAD src0_sel:WORD_1 src1_sel:DWORD
	v_lshlrev_b32_e32 v130, 4, v119
	v_lshlrev_b32_e32 v131, 11, v119
	v_and_b32_e32 v122, 0x1f00, v116
	v_lshlrev_b16_sdwa v116, v109, v116 dst_sel:DWORD dst_unused:UNUSED_PAD src0_sel:DWORD src1_sel:WORD_1
	v_or_b32_sdwa v118, v125, v118 dst_sel:DWORD dst_unused:UNUSED_PAD src0_sel:DWORD src1_sel:BYTE_1
	v_or_b32_sdwa v117, v127, v117 dst_sel:DWORD dst_unused:UNUSED_PAD src0_sel:DWORD src1_sel:BYTE_1
	v_add_i16 v123, v123, s9 clamp
	v_add_i16 v125, v128, s9 clamp
	s_waitcnt vmcnt(2)
	v_and_b32_e32 v121, 0xf0f0f0f, v120
	v_and_b32_e32 v130, 16, v130
	;; [unrolled: 1-line block ×3, first 2 shown]
	v_add_i16 v116, v116, s9 clamp
	v_add_u16_e32 v118, 0xf000, v118
	v_add_u16_sdwa v117, v117, s9 dst_sel:WORD_1 dst_unused:UNUSED_PAD src0_sel:DWORD src1_sel:DWORD
	v_or_b32_sdwa v122, v122, v123 dst_sel:DWORD dst_unused:UNUSED_PAD src0_sel:DWORD src1_sel:BYTE_1
	v_and_b32_e32 v123, 0xffffff00, v125
	v_lshlrev_b32_e32 v134, 18, v119
	v_lshlrev_b32_e32 v135, 25, v119
	v_or3_b32 v124, v130, v121, v131
	v_or_b32_e32 v117, v118, v117
	v_add_u16_e32 v118, 0xf000, v122
	v_or_b32_sdwa v116, v116, v123 dst_sel:WORD_1 dst_unused:UNUSED_PAD src0_sel:BYTE_1 src1_sel:DWORD
	v_and_b32_e32 v134, 0x100000, v134
	v_and_b32_e32 v135, 0x10000000, v135
	v_or_b32_e32 v116, v118, v116
	v_lshlrev_b16_e32 v118, 8, v124
	ds_write2_b32 v32, v117, v116 offset1:1
	v_or3_b32 v116, v121, v134, v135
	v_and_b32_e32 v117, 0x1f00, v124
	v_add_u16_e32 v118, 0xf000, v118
	v_or_b32_sdwa v117, v117, v118 dst_sel:DWORD dst_unused:UNUSED_PAD src0_sel:DWORD src1_sel:BYTE_1
	v_and_b32_sdwa v118, v116, s1 dst_sel:DWORD dst_unused:UNUSED_PAD src0_sel:WORD_1 src1_sel:DWORD
	v_lshlrev_b16_sdwa v116, v109, v116 dst_sel:DWORD dst_unused:UNUSED_PAD src0_sel:DWORD src1_sel:WORD_1
	v_add_u16_e32 v116, 0xf000, v116
	v_or_b32_sdwa v116, v118, v116 dst_sel:DWORD dst_unused:UNUSED_PAD src0_sel:DWORD src1_sel:BYTE_1
	v_add_u16_e32 v117, 0xf000, v117
	v_add_u16_sdwa v116, v116, s9 dst_sel:WORD_1 dst_unused:UNUSED_PAD src0_sel:DWORD src1_sel:DWORD
	v_or_b32_e32 v116, v117, v116
	v_lshrrev_b32_e32 v117, 4, v120
	v_lshrrev_b32_e32 v118, 12, v119
	;; [unrolled: 1-line block ×3, first 2 shown]
	v_lshlrev_b32_e32 v121, 2, v119
	v_and_b32_e32 v118, 16, v118
	v_and_b32_e32 v120, 0x1000, v120
	;; [unrolled: 1-line block ×3, first 2 shown]
	v_lshlrev_b32_e32 v119, 9, v119
	v_and_b32_e32 v117, 0xf0f0f0f, v117
	v_and_b32_e32 v119, 0x10000000, v119
	v_or3_b32 v118, v120, v118, v121
	v_or3_b32 v117, v118, v119, v117
	v_lshlrev_b16_e32 v119, 8, v117
	v_and_b32_e32 v118, 0x1f00, v117
	v_add_i16 v119, v119, s9 clamp
	v_or_b32_sdwa v118, v118, v119 dst_sel:DWORD dst_unused:UNUSED_PAD src0_sel:DWORD src1_sel:BYTE_1
	v_and_b32_sdwa v119, v117, s16 dst_sel:DWORD dst_unused:UNUSED_PAD src0_sel:WORD_1 src1_sel:DWORD
	v_add_i16 v119, v119, s9 clamp
	v_lshlrev_b16_sdwa v117, v109, v117 dst_sel:DWORD dst_unused:UNUSED_PAD src0_sel:DWORD src1_sel:WORD_1
	v_and_b32_e32 v119, 0xffffff00, v119
	v_add_i16 v117, v117, s9 clamp
	v_add_u16_e32 v118, 0xf000, v118
	v_or_b32_sdwa v117, v117, v119 dst_sel:WORD_1 dst_unused:UNUSED_PAD src0_sel:BYTE_1 src1_sel:DWORD
	v_or_b32_e32 v117, v118, v117
	v_ashrrev_i32_e32 v134, v28, v126
	ds_write2_b32 v36, v116, v117 offset1:1
	v_lshlrev_b32_e32 v117, 4, v134
	v_lshlrev_b32_e32 v118, 11, v134
	s_waitcnt vmcnt(1)
	v_and_b32_e32 v116, 0xf0f0f0f, v132
	v_and_b32_e32 v117, 16, v117
	;; [unrolled: 1-line block ×3, first 2 shown]
	v_or3_b32 v117, v117, v116, v118
	v_lshlrev_b32_e32 v118, 18, v134
	v_lshlrev_b32_e32 v119, 25, v134
	v_and_b32_e32 v118, 0x100000, v118
	v_and_b32_e32 v119, 0x10000000, v119
	v_or3_b32 v135, v116, v118, v119
	v_and_b32_e32 v116, 0x1f00, v117
	v_lshlrev_b16_e32 v117, 8, v117
	v_add_u16_e32 v117, 0xf000, v117
	v_or_b32_sdwa v116, v116, v117 dst_sel:DWORD dst_unused:UNUSED_PAD src0_sel:DWORD src1_sel:BYTE_1
	v_add_u16_e32 v136, 0xf000, v116
	v_mad_i64_i32 v[116:117], s[18:19], v48, 22, v[114:115]
	v_add_co_u32_e32 v118, vcc, v116, v28
	v_addc_co_u32_e32 v119, vcc, 0, v117, vcc
	v_mad_i64_i32 v[120:121], s[18:19], v52, 22, v[114:115]
	v_add_co_u32_e32 v122, vcc, v120, v28
	v_addc_co_u32_e32 v123, vcc, 0, v121, vcc
	;; [unrolled: 3-line block ×4, first 2 shown]
	global_load_dword v137, v[130:131], off offset:6
	global_load_dword v138, v[128:129], off offset:2
	global_load_dword v139, v[126:127], off offset:6
	s_nop 0
	global_load_dword v124, v[124:125], off offset:2
	s_nop 0
	global_load_dword v122, v[122:123], off offset:6
	;; [unrolled: 2-line block ×5, first 2 shown]
	v_lshlrev_b16_sdwa v119, v109, v135 dst_sel:DWORD dst_unused:UNUSED_PAD src0_sel:DWORD src1_sel:WORD_1
	v_and_b32_sdwa v117, v135, s1 dst_sel:DWORD dst_unused:UNUSED_PAD src0_sel:WORD_1 src1_sel:DWORD
	v_add_u16_e32 v119, 0xf000, v119
	v_lshrrev_b32_e32 v121, 12, v134
	v_lshrrev_b32_e32 v123, 5, v134
	v_lshlrev_b32_e32 v125, 2, v134
	v_or_b32_sdwa v117, v117, v119 dst_sel:DWORD dst_unused:UNUSED_PAD src0_sel:DWORD src1_sel:BYTE_1
	v_lshrrev_b32_e32 v119, 4, v132
	v_and_b32_e32 v121, 16, v121
	v_and_b32_e32 v123, 0x1000, v123
	;; [unrolled: 1-line block ×3, first 2 shown]
	v_lshlrev_b32_e32 v126, 9, v134
	v_and_b32_e32 v119, 0xf0f0f0f, v119
	v_and_b32_e32 v126, 0x10000000, v126
	v_or3_b32 v121, v123, v121, v125
	v_or3_b32 v119, v121, v126, v119
	v_lshlrev_b16_e32 v123, 8, v119
	v_and_b32_e32 v121, 0x1f00, v119
	v_add_i16 v123, v123, s9 clamp
	v_or_b32_sdwa v121, v121, v123 dst_sel:DWORD dst_unused:UNUSED_PAD src0_sel:DWORD src1_sel:BYTE_1
	v_and_b32_sdwa v123, v119, s16 dst_sel:DWORD dst_unused:UNUSED_PAD src0_sel:WORD_1 src1_sel:DWORD
	v_add_i16 v123, v123, s9 clamp
	v_lshlrev_b16_sdwa v119, v109, v119 dst_sel:DWORD dst_unused:UNUSED_PAD src0_sel:DWORD src1_sel:WORD_1
	v_and_b32_e32 v123, 0xffffff00, v123
	v_add_i16 v119, v119, s9 clamp
	v_add_u16_sdwa v117, v117, s9 dst_sel:WORD_1 dst_unused:UNUSED_PAD src0_sel:DWORD src1_sel:DWORD
	v_add_u16_e32 v121, 0xf000, v121
	v_or_b32_sdwa v119, v119, v123 dst_sel:WORD_1 dst_unused:UNUSED_PAD src0_sel:BYTE_1 src1_sel:DWORD
	v_or_b32_e32 v117, v136, v117
	v_or_b32_e32 v119, v121, v119
	ds_write2_b32 v40, v117, v119 offset1:1
	v_lshlrev_b32_e32 v119, 4, v113
	v_lshlrev_b32_e32 v121, 11, v113
	s_waitcnt vmcnt(8)
	v_and_b32_e32 v117, 0xf0f0f0f, v133
	v_and_b32_e32 v119, 16, v119
	;; [unrolled: 1-line block ×3, first 2 shown]
	v_or3_b32 v119, v119, v117, v121
	v_lshlrev_b32_e32 v121, 18, v113
	v_lshlrev_b32_e32 v123, 25, v113
	v_and_b32_e32 v121, 0x100000, v121
	v_and_b32_e32 v123, 0x10000000, v123
	v_or3_b32 v117, v117, v121, v123
	v_and_b32_e32 v121, 0x1f00, v119
	v_lshlrev_b16_e32 v119, 8, v119
	v_add_u16_e32 v119, 0xf000, v119
	v_or_b32_sdwa v119, v121, v119 dst_sel:DWORD dst_unused:UNUSED_PAD src0_sel:DWORD src1_sel:BYTE_1
	v_and_b32_sdwa v121, v117, s1 dst_sel:DWORD dst_unused:UNUSED_PAD src0_sel:WORD_1 src1_sel:DWORD
	v_lshlrev_b16_sdwa v117, v109, v117 dst_sel:DWORD dst_unused:UNUSED_PAD src0_sel:DWORD src1_sel:WORD_1
	v_add_u16_e32 v117, 0xf000, v117
	v_or_b32_sdwa v117, v121, v117 dst_sel:DWORD dst_unused:UNUSED_PAD src0_sel:DWORD src1_sel:BYTE_1
	v_add_u16_e32 v119, 0xf000, v119
	v_add_u16_sdwa v117, v117, s9 dst_sel:WORD_1 dst_unused:UNUSED_PAD src0_sel:DWORD src1_sel:DWORD
	v_lshrrev_b32_e32 v121, 12, v113
	v_lshrrev_b32_e32 v123, 5, v113
	v_lshlrev_b32_e32 v125, 2, v113
	v_or_b32_e32 v117, v119, v117
	v_lshrrev_b32_e32 v119, 4, v133
	v_and_b32_e32 v121, 16, v121
	v_and_b32_e32 v123, 0x1000, v123
	;; [unrolled: 1-line block ×3, first 2 shown]
	v_lshlrev_b32_e32 v113, 9, v113
	v_and_b32_e32 v119, 0xf0f0f0f, v119
	v_and_b32_e32 v113, 0x10000000, v113
	v_or3_b32 v121, v123, v121, v125
	v_or3_b32 v113, v121, v113, v119
	v_lshlrev_b16_e32 v121, 8, v113
	v_and_b32_e32 v119, 0x1f00, v113
	v_add_i16 v121, v121, s9 clamp
	v_or_b32_sdwa v119, v119, v121 dst_sel:DWORD dst_unused:UNUSED_PAD src0_sel:DWORD src1_sel:BYTE_1
	v_and_b32_sdwa v121, v113, s16 dst_sel:DWORD dst_unused:UNUSED_PAD src0_sel:WORD_1 src1_sel:DWORD
	v_add_i16 v121, v121, s9 clamp
	v_lshlrev_b16_sdwa v113, v109, v113 dst_sel:DWORD dst_unused:UNUSED_PAD src0_sel:DWORD src1_sel:WORD_1
	v_and_b32_e32 v121, 0xffffff00, v121
	v_add_i16 v113, v113, s9 clamp
	v_add_u16_e32 v119, 0xf000, v119
	v_or_b32_sdwa v113, v113, v121 dst_sel:WORD_1 dst_unused:UNUSED_PAD src0_sel:BYTE_1 src1_sel:DWORD
	v_or_b32_e32 v113, v119, v113
	ds_write2_b32 v46, v117, v113 offset1:1
	v_mad_i64_i32 v[128:129], s[18:19], v80, 22, v[114:115]
	s_waitcnt vmcnt(0)
	v_ashrrev_i32_e32 v113, v28, v116
	v_lshlrev_b32_e32 v117, 4, v113
	v_lshlrev_b32_e32 v119, 11, v113
	v_and_b32_e32 v116, 0xf0f0f0f, v118
	v_and_b32_e32 v117, 16, v117
	;; [unrolled: 1-line block ×3, first 2 shown]
	v_or3_b32 v117, v117, v116, v119
	v_lshlrev_b32_e32 v119, 18, v113
	v_lshlrev_b32_e32 v121, 25, v113
	v_and_b32_e32 v119, 0x100000, v119
	v_and_b32_e32 v121, 0x10000000, v121
	v_or3_b32 v116, v116, v119, v121
	v_and_b32_e32 v119, 0x1f00, v117
	v_lshlrev_b16_e32 v117, 8, v117
	v_add_u16_e32 v117, 0xf000, v117
	v_or_b32_sdwa v117, v119, v117 dst_sel:DWORD dst_unused:UNUSED_PAD src0_sel:DWORD src1_sel:BYTE_1
	v_and_b32_sdwa v119, v116, s1 dst_sel:DWORD dst_unused:UNUSED_PAD src0_sel:WORD_1 src1_sel:DWORD
	v_lshlrev_b16_sdwa v116, v109, v116 dst_sel:DWORD dst_unused:UNUSED_PAD src0_sel:DWORD src1_sel:WORD_1
	v_add_u16_e32 v116, 0xf000, v116
	v_or_b32_sdwa v116, v119, v116 dst_sel:DWORD dst_unused:UNUSED_PAD src0_sel:DWORD src1_sel:BYTE_1
	v_add_u16_e32 v117, 0xf000, v117
	v_add_u16_sdwa v116, v116, s9 dst_sel:WORD_1 dst_unused:UNUSED_PAD src0_sel:DWORD src1_sel:DWORD
	v_or_b32_e32 v116, v117, v116
	v_lshrrev_b32_e32 v117, 4, v118
	v_lshrrev_b32_e32 v118, 12, v113
	;; [unrolled: 1-line block ×3, first 2 shown]
	v_lshlrev_b32_e32 v121, 2, v113
	v_and_b32_e32 v118, 16, v118
	v_and_b32_e32 v119, 0x1000, v119
	;; [unrolled: 1-line block ×3, first 2 shown]
	v_lshlrev_b32_e32 v113, 9, v113
	v_and_b32_e32 v117, 0xf0f0f0f, v117
	v_and_b32_e32 v113, 0x10000000, v113
	v_or3_b32 v118, v119, v118, v121
	v_or3_b32 v113, v118, v113, v117
	v_lshlrev_b16_e32 v118, 8, v113
	v_and_b32_e32 v117, 0x1f00, v113
	v_add_i16 v118, v118, s9 clamp
	v_or_b32_sdwa v117, v117, v118 dst_sel:DWORD dst_unused:UNUSED_PAD src0_sel:DWORD src1_sel:BYTE_1
	v_and_b32_sdwa v118, v113, s16 dst_sel:DWORD dst_unused:UNUSED_PAD src0_sel:WORD_1 src1_sel:DWORD
	v_add_i16 v118, v118, s9 clamp
	v_lshlrev_b16_sdwa v113, v109, v113 dst_sel:DWORD dst_unused:UNUSED_PAD src0_sel:DWORD src1_sel:WORD_1
	v_and_b32_e32 v118, 0xffffff00, v118
	v_add_i16 v113, v113, s9 clamp
	v_add_u16_e32 v117, 0xf000, v117
	v_or_b32_sdwa v113, v113, v118 dst_sel:WORD_1 dst_unused:UNUSED_PAD src0_sel:BYTE_1 src1_sel:DWORD
	v_or_b32_e32 v113, v117, v113
	ds_write2_b32 v50, v116, v113 offset1:1
	v_ashrrev_i32_e32 v113, v28, v120
	v_lshlrev_b32_e32 v117, 4, v113
	v_lshlrev_b32_e32 v118, 11, v113
	v_and_b32_e32 v116, 0xf0f0f0f, v122
	v_and_b32_e32 v117, 16, v117
	;; [unrolled: 1-line block ×3, first 2 shown]
	v_or3_b32 v117, v117, v116, v118
	v_lshlrev_b32_e32 v118, 18, v113
	v_lshlrev_b32_e32 v119, 25, v113
	v_and_b32_e32 v118, 0x100000, v118
	v_and_b32_e32 v119, 0x10000000, v119
	v_or3_b32 v116, v116, v118, v119
	v_and_b32_e32 v118, 0x1f00, v117
	v_lshlrev_b16_e32 v117, 8, v117
	v_add_u16_e32 v117, 0xf000, v117
	v_or_b32_sdwa v117, v118, v117 dst_sel:DWORD dst_unused:UNUSED_PAD src0_sel:DWORD src1_sel:BYTE_1
	v_and_b32_sdwa v118, v116, s1 dst_sel:DWORD dst_unused:UNUSED_PAD src0_sel:WORD_1 src1_sel:DWORD
	v_lshlrev_b16_sdwa v116, v109, v116 dst_sel:DWORD dst_unused:UNUSED_PAD src0_sel:DWORD src1_sel:WORD_1
	v_add_u16_e32 v116, 0xf000, v116
	v_or_b32_sdwa v116, v118, v116 dst_sel:DWORD dst_unused:UNUSED_PAD src0_sel:DWORD src1_sel:BYTE_1
	v_add_u16_e32 v117, 0xf000, v117
	v_add_u16_sdwa v116, v116, s9 dst_sel:WORD_1 dst_unused:UNUSED_PAD src0_sel:DWORD src1_sel:DWORD
	v_lshrrev_b32_e32 v118, 12, v113
	v_lshrrev_b32_e32 v119, 5, v113
	v_lshlrev_b32_e32 v120, 2, v113
	v_or_b32_e32 v116, v117, v116
	v_lshrrev_b32_e32 v117, 4, v122
	v_and_b32_e32 v118, 16, v118
	v_and_b32_e32 v119, 0x1000, v119
	v_and_b32_e32 v120, 0x100000, v120
	v_lshlrev_b32_e32 v113, 9, v113
	v_and_b32_e32 v117, 0xf0f0f0f, v117
	v_and_b32_e32 v113, 0x10000000, v113
	v_or3_b32 v118, v119, v118, v120
	v_or3_b32 v113, v118, v113, v117
	v_lshlrev_b16_e32 v118, 8, v113
	v_and_b32_e32 v117, 0x1f00, v113
	v_add_i16 v118, v118, s9 clamp
	v_or_b32_sdwa v117, v117, v118 dst_sel:DWORD dst_unused:UNUSED_PAD src0_sel:DWORD src1_sel:BYTE_1
	v_and_b32_sdwa v118, v113, s16 dst_sel:DWORD dst_unused:UNUSED_PAD src0_sel:WORD_1 src1_sel:DWORD
	v_add_i16 v118, v118, s9 clamp
	v_lshlrev_b16_sdwa v113, v109, v113 dst_sel:DWORD dst_unused:UNUSED_PAD src0_sel:DWORD src1_sel:WORD_1
	v_and_b32_e32 v118, 0xffffff00, v118
	v_add_i16 v113, v113, s9 clamp
	v_add_u16_e32 v117, 0xf000, v117
	v_or_b32_sdwa v113, v113, v118 dst_sel:WORD_1 dst_unused:UNUSED_PAD src0_sel:BYTE_1 src1_sel:DWORD
	v_or_b32_e32 v113, v117, v113
	ds_write2_b32 v54, v116, v113 offset1:1
	v_ashrrev_i32_e32 v113, v28, v124
	v_lshlrev_b32_e32 v117, 4, v113
	v_lshlrev_b32_e32 v118, 11, v113
	v_and_b32_e32 v116, 0xf0f0f0f, v139
	v_and_b32_e32 v117, 16, v117
	v_and_b32_e32 v118, 0x1000, v118
	v_or3_b32 v117, v117, v116, v118
	v_lshlrev_b32_e32 v118, 18, v113
	v_lshlrev_b32_e32 v119, 25, v113
	v_and_b32_e32 v118, 0x100000, v118
	v_and_b32_e32 v119, 0x10000000, v119
	v_or3_b32 v132, v116, v118, v119
	v_and_b32_e32 v116, 0x1f00, v117
	v_lshlrev_b16_e32 v117, 8, v117
	v_add_u16_e32 v117, 0xf000, v117
	v_or_b32_sdwa v116, v116, v117 dst_sel:DWORD dst_unused:UNUSED_PAD src0_sel:DWORD src1_sel:BYTE_1
	v_add_u16_e32 v133, 0xf000, v116
	v_mad_i64_i32 v[116:117], s[18:19], v66, 22, v[114:115]
	v_add_co_u32_e32 v118, vcc, v116, v28
	v_addc_co_u32_e32 v119, vcc, 0, v117, vcc
	v_mad_i64_i32 v[120:121], s[18:19], v70, 22, v[114:115]
	v_add_co_u32_e32 v122, vcc, v120, v28
	v_addc_co_u32_e32 v123, vcc, 0, v121, vcc
	;; [unrolled: 3-line block ×3, first 2 shown]
	v_add_co_u32_e32 v130, vcc, v128, v28
	v_addc_co_u32_e32 v131, vcc, 0, v129, vcc
	global_load_dword v130, v[130:131], off offset:6
	s_nop 0
	global_load_dword v131, v[128:129], off offset:2
	global_load_dword v134, v[126:127], off offset:6
	s_nop 0
	global_load_dword v124, v[124:125], off offset:2
	s_nop 0
	;; [unrolled: 2-line block ×5, first 2 shown]
	global_load_dword v116, v[116:117], off offset:2
	v_lshlrev_b16_sdwa v119, v109, v132 dst_sel:DWORD dst_unused:UNUSED_PAD src0_sel:DWORD src1_sel:WORD_1
	v_and_b32_sdwa v117, v132, s1 dst_sel:DWORD dst_unused:UNUSED_PAD src0_sel:WORD_1 src1_sel:DWORD
	v_add_u16_e32 v119, 0xf000, v119
	v_lshrrev_b32_e32 v121, 12, v113
	v_lshrrev_b32_e32 v123, 5, v113
	v_lshlrev_b32_e32 v125, 2, v113
	v_or_b32_sdwa v117, v117, v119 dst_sel:DWORD dst_unused:UNUSED_PAD src0_sel:DWORD src1_sel:BYTE_1
	v_lshrrev_b32_e32 v119, 4, v139
	v_and_b32_e32 v121, 16, v121
	v_and_b32_e32 v123, 0x1000, v123
	;; [unrolled: 1-line block ×3, first 2 shown]
	v_lshlrev_b32_e32 v113, 9, v113
	v_and_b32_e32 v119, 0xf0f0f0f, v119
	v_and_b32_e32 v113, 0x10000000, v113
	v_or3_b32 v121, v123, v121, v125
	v_or3_b32 v113, v121, v113, v119
	v_lshlrev_b16_e32 v121, 8, v113
	v_and_b32_e32 v119, 0x1f00, v113
	v_add_i16 v121, v121, s9 clamp
	v_or_b32_sdwa v119, v119, v121 dst_sel:DWORD dst_unused:UNUSED_PAD src0_sel:DWORD src1_sel:BYTE_1
	v_and_b32_sdwa v121, v113, s16 dst_sel:DWORD dst_unused:UNUSED_PAD src0_sel:WORD_1 src1_sel:DWORD
	v_add_i16 v121, v121, s9 clamp
	v_lshlrev_b16_sdwa v113, v109, v113 dst_sel:DWORD dst_unused:UNUSED_PAD src0_sel:DWORD src1_sel:WORD_1
	v_and_b32_e32 v121, 0xffffff00, v121
	v_add_i16 v113, v113, s9 clamp
	v_add_u16_sdwa v117, v117, s9 dst_sel:WORD_1 dst_unused:UNUSED_PAD src0_sel:DWORD src1_sel:DWORD
	v_add_u16_e32 v119, 0xf000, v119
	v_or_b32_sdwa v113, v113, v121 dst_sel:WORD_1 dst_unused:UNUSED_PAD src0_sel:BYTE_1 src1_sel:DWORD
	v_or_b32_e32 v117, v133, v117
	v_or_b32_e32 v113, v119, v113
	ds_write2_b32 v58, v117, v113 offset1:1
	v_ashrrev_i32_e32 v113, v28, v138
	v_lshlrev_b32_e32 v119, 4, v113
	v_lshlrev_b32_e32 v121, 11, v113
	v_and_b32_e32 v117, 0xf0f0f0f, v137
	v_and_b32_e32 v119, 16, v119
	;; [unrolled: 1-line block ×3, first 2 shown]
	v_or3_b32 v119, v119, v117, v121
	v_lshlrev_b32_e32 v121, 18, v113
	v_lshlrev_b32_e32 v123, 25, v113
	v_and_b32_e32 v121, 0x100000, v121
	v_and_b32_e32 v123, 0x10000000, v123
	v_or3_b32 v117, v117, v121, v123
	v_and_b32_e32 v121, 0x1f00, v119
	v_lshlrev_b16_e32 v119, 8, v119
	v_add_u16_e32 v119, 0xf000, v119
	v_or_b32_sdwa v119, v121, v119 dst_sel:DWORD dst_unused:UNUSED_PAD src0_sel:DWORD src1_sel:BYTE_1
	v_and_b32_sdwa v121, v117, s1 dst_sel:DWORD dst_unused:UNUSED_PAD src0_sel:WORD_1 src1_sel:DWORD
	v_lshlrev_b16_sdwa v117, v109, v117 dst_sel:DWORD dst_unused:UNUSED_PAD src0_sel:DWORD src1_sel:WORD_1
	v_add_u16_e32 v117, 0xf000, v117
	v_or_b32_sdwa v117, v121, v117 dst_sel:DWORD dst_unused:UNUSED_PAD src0_sel:DWORD src1_sel:BYTE_1
	v_add_u16_e32 v119, 0xf000, v119
	v_add_u16_sdwa v117, v117, s9 dst_sel:WORD_1 dst_unused:UNUSED_PAD src0_sel:DWORD src1_sel:DWORD
	v_lshrrev_b32_e32 v121, 12, v113
	v_lshrrev_b32_e32 v123, 5, v113
	v_lshlrev_b32_e32 v125, 2, v113
	v_or_b32_e32 v117, v119, v117
	v_lshrrev_b32_e32 v119, 4, v137
	v_and_b32_e32 v121, 16, v121
	v_and_b32_e32 v123, 0x1000, v123
	;; [unrolled: 1-line block ×3, first 2 shown]
	v_lshlrev_b32_e32 v113, 9, v113
	v_and_b32_e32 v119, 0xf0f0f0f, v119
	v_and_b32_e32 v113, 0x10000000, v113
	v_or3_b32 v121, v123, v121, v125
	v_or3_b32 v113, v121, v113, v119
	v_lshlrev_b16_e32 v121, 8, v113
	v_and_b32_e32 v119, 0x1f00, v113
	v_add_i16 v121, v121, s9 clamp
	v_or_b32_sdwa v119, v119, v121 dst_sel:DWORD dst_unused:UNUSED_PAD src0_sel:DWORD src1_sel:BYTE_1
	v_and_b32_sdwa v121, v113, s16 dst_sel:DWORD dst_unused:UNUSED_PAD src0_sel:WORD_1 src1_sel:DWORD
	v_add_i16 v121, v121, s9 clamp
	v_lshlrev_b16_sdwa v113, v109, v113 dst_sel:DWORD dst_unused:UNUSED_PAD src0_sel:DWORD src1_sel:WORD_1
	v_and_b32_e32 v121, 0xffffff00, v121
	v_add_i16 v113, v113, s9 clamp
	v_add_u16_e32 v119, 0xf000, v119
	v_or_b32_sdwa v113, v113, v121 dst_sel:WORD_1 dst_unused:UNUSED_PAD src0_sel:BYTE_1 src1_sel:DWORD
	v_or_b32_e32 v113, v119, v113
	ds_write2_b32 v62, v117, v113 offset1:1
	s_waitcnt vmcnt(0)
	v_ashrrev_i32_e32 v113, v28, v116
	v_lshlrev_b32_e32 v117, 4, v113
	v_lshlrev_b32_e32 v119, 11, v113
	v_and_b32_e32 v116, 0xf0f0f0f, v118
	v_and_b32_e32 v117, 16, v117
	;; [unrolled: 1-line block ×3, first 2 shown]
	v_or3_b32 v117, v117, v116, v119
	v_lshlrev_b32_e32 v119, 18, v113
	v_lshlrev_b32_e32 v121, 25, v113
	v_and_b32_e32 v119, 0x100000, v119
	v_and_b32_e32 v121, 0x10000000, v121
	v_or3_b32 v116, v116, v119, v121
	v_and_b32_e32 v119, 0x1f00, v117
	v_lshlrev_b16_e32 v117, 8, v117
	v_add_u16_e32 v117, 0xf000, v117
	v_or_b32_sdwa v117, v119, v117 dst_sel:DWORD dst_unused:UNUSED_PAD src0_sel:DWORD src1_sel:BYTE_1
	v_and_b32_sdwa v119, v116, s1 dst_sel:DWORD dst_unused:UNUSED_PAD src0_sel:WORD_1 src1_sel:DWORD
	v_lshlrev_b16_sdwa v116, v109, v116 dst_sel:DWORD dst_unused:UNUSED_PAD src0_sel:DWORD src1_sel:WORD_1
	v_add_u16_e32 v116, 0xf000, v116
	v_or_b32_sdwa v116, v119, v116 dst_sel:DWORD dst_unused:UNUSED_PAD src0_sel:DWORD src1_sel:BYTE_1
	v_add_u16_e32 v117, 0xf000, v117
	v_add_u16_sdwa v116, v116, s9 dst_sel:WORD_1 dst_unused:UNUSED_PAD src0_sel:DWORD src1_sel:DWORD
	v_or_b32_e32 v116, v117, v116
	v_lshrrev_b32_e32 v117, 4, v118
	v_lshrrev_b32_e32 v118, 12, v113
	;; [unrolled: 1-line block ×3, first 2 shown]
	v_lshlrev_b32_e32 v121, 2, v113
	v_and_b32_e32 v118, 16, v118
	v_and_b32_e32 v119, 0x1000, v119
	;; [unrolled: 1-line block ×3, first 2 shown]
	v_lshlrev_b32_e32 v113, 9, v113
	v_and_b32_e32 v117, 0xf0f0f0f, v117
	v_and_b32_e32 v113, 0x10000000, v113
	v_or3_b32 v118, v119, v118, v121
	v_or3_b32 v113, v118, v113, v117
	v_lshlrev_b16_e32 v118, 8, v113
	v_and_b32_e32 v117, 0x1f00, v113
	v_add_i16 v118, v118, s9 clamp
	v_or_b32_sdwa v117, v117, v118 dst_sel:DWORD dst_unused:UNUSED_PAD src0_sel:DWORD src1_sel:BYTE_1
	v_and_b32_sdwa v118, v113, s16 dst_sel:DWORD dst_unused:UNUSED_PAD src0_sel:WORD_1 src1_sel:DWORD
	v_add_i16 v118, v118, s9 clamp
	v_lshlrev_b16_sdwa v113, v109, v113 dst_sel:DWORD dst_unused:UNUSED_PAD src0_sel:DWORD src1_sel:WORD_1
	v_and_b32_e32 v118, 0xffffff00, v118
	v_add_i16 v113, v113, s9 clamp
	v_add_u16_e32 v117, 0xf000, v117
	v_or_b32_sdwa v113, v113, v118 dst_sel:WORD_1 dst_unused:UNUSED_PAD src0_sel:BYTE_1 src1_sel:DWORD
	v_or_b32_e32 v113, v117, v113
	ds_write2_b32 v68, v116, v113 offset1:1
	v_ashrrev_i32_e32 v113, v28, v120
	v_lshlrev_b32_e32 v117, 4, v113
	v_lshlrev_b32_e32 v118, 11, v113
	v_and_b32_e32 v116, 0xf0f0f0f, v122
	v_and_b32_e32 v117, 16, v117
	;; [unrolled: 1-line block ×3, first 2 shown]
	v_or3_b32 v117, v117, v116, v118
	v_lshlrev_b32_e32 v118, 18, v113
	v_lshlrev_b32_e32 v119, 25, v113
	v_and_b32_e32 v118, 0x100000, v118
	v_and_b32_e32 v119, 0x10000000, v119
	v_or3_b32 v116, v116, v118, v119
	v_and_b32_e32 v118, 0x1f00, v117
	v_lshlrev_b16_e32 v117, 8, v117
	v_add_u16_e32 v117, 0xf000, v117
	v_or_b32_sdwa v117, v118, v117 dst_sel:DWORD dst_unused:UNUSED_PAD src0_sel:DWORD src1_sel:BYTE_1
	v_and_b32_sdwa v118, v116, s1 dst_sel:DWORD dst_unused:UNUSED_PAD src0_sel:WORD_1 src1_sel:DWORD
	v_lshlrev_b16_sdwa v116, v109, v116 dst_sel:DWORD dst_unused:UNUSED_PAD src0_sel:DWORD src1_sel:WORD_1
	v_add_u16_e32 v116, 0xf000, v116
	v_or_b32_sdwa v116, v118, v116 dst_sel:DWORD dst_unused:UNUSED_PAD src0_sel:DWORD src1_sel:BYTE_1
	v_add_u16_e32 v117, 0xf000, v117
	v_add_u16_sdwa v116, v116, s9 dst_sel:WORD_1 dst_unused:UNUSED_PAD src0_sel:DWORD src1_sel:DWORD
	v_lshrrev_b32_e32 v118, 12, v113
	v_lshrrev_b32_e32 v119, 5, v113
	v_lshlrev_b32_e32 v120, 2, v113
	v_or_b32_e32 v116, v117, v116
	v_lshrrev_b32_e32 v117, 4, v122
	v_and_b32_e32 v118, 16, v118
	v_and_b32_e32 v119, 0x1000, v119
	;; [unrolled: 1-line block ×3, first 2 shown]
	v_lshlrev_b32_e32 v113, 9, v113
	v_and_b32_e32 v117, 0xf0f0f0f, v117
	v_and_b32_e32 v113, 0x10000000, v113
	v_or3_b32 v118, v119, v118, v120
	v_or3_b32 v113, v118, v113, v117
	v_lshlrev_b16_e32 v118, 8, v113
	v_and_b32_e32 v117, 0x1f00, v113
	v_add_i16 v118, v118, s9 clamp
	v_or_b32_sdwa v117, v117, v118 dst_sel:DWORD dst_unused:UNUSED_PAD src0_sel:DWORD src1_sel:BYTE_1
	v_and_b32_sdwa v118, v113, s16 dst_sel:DWORD dst_unused:UNUSED_PAD src0_sel:WORD_1 src1_sel:DWORD
	v_add_i16 v118, v118, s9 clamp
	v_lshlrev_b16_sdwa v113, v109, v113 dst_sel:DWORD dst_unused:UNUSED_PAD src0_sel:DWORD src1_sel:WORD_1
	v_and_b32_e32 v118, 0xffffff00, v118
	v_add_i16 v113, v113, s9 clamp
	v_add_u16_e32 v117, 0xf000, v117
	v_or_b32_sdwa v113, v113, v118 dst_sel:WORD_1 dst_unused:UNUSED_PAD src0_sel:BYTE_1 src1_sel:DWORD
	v_or_b32_e32 v113, v117, v113
	ds_write2_b32 v72, v116, v113 offset1:1
	v_ashrrev_i32_e32 v113, v28, v124
	v_lshlrev_b32_e32 v117, 4, v113
	v_lshlrev_b32_e32 v118, 11, v113
	v_and_b32_e32 v116, 0xf0f0f0f, v134
	v_and_b32_e32 v117, 16, v117
	;; [unrolled: 1-line block ×3, first 2 shown]
	v_or3_b32 v117, v117, v116, v118
	v_lshlrev_b32_e32 v118, 18, v113
	v_lshlrev_b32_e32 v119, 25, v113
	v_and_b32_e32 v118, 0x100000, v118
	v_and_b32_e32 v119, 0x10000000, v119
	v_or3_b32 v132, v116, v118, v119
	v_and_b32_e32 v116, 0x1f00, v117
	v_lshlrev_b16_e32 v117, 8, v117
	v_add_u16_e32 v117, 0xf000, v117
	v_or_b32_sdwa v116, v116, v117 dst_sel:DWORD dst_unused:UNUSED_PAD src0_sel:DWORD src1_sel:BYTE_1
	v_add_u16_e32 v133, 0xf000, v116
	v_mad_i64_i32 v[116:117], s[18:19], v84, 22, v[114:115]
	v_add_co_u32_e32 v118, vcc, v116, v28
	v_addc_co_u32_e32 v119, vcc, 0, v117, vcc
	v_mad_i64_i32 v[120:121], s[18:19], v88, 22, v[114:115]
	v_add_co_u32_e32 v122, vcc, v120, v28
	v_addc_co_u32_e32 v123, vcc, 0, v121, vcc
	;; [unrolled: 3-line block ×4, first 2 shown]
	global_load_dword v135, v[128:129], off offset:6
	global_load_dword v136, v[114:115], off offset:2
	s_nop 0
	global_load_dword v114, v[126:127], off offset:6
	global_load_dword v115, v[124:125], off offset:2
	s_nop 0
	global_load_dword v122, v[122:123], off offset:6
	s_nop 0
	global_load_dword v120, v[120:121], off offset:2
	s_nop 0
	global_load_dword v118, v[118:119], off offset:6
	s_nop 0
	global_load_dword v116, v[116:117], off offset:2
	v_lshlrev_b16_sdwa v119, v109, v132 dst_sel:DWORD dst_unused:UNUSED_PAD src0_sel:DWORD src1_sel:WORD_1
	v_and_b32_sdwa v117, v132, s1 dst_sel:DWORD dst_unused:UNUSED_PAD src0_sel:WORD_1 src1_sel:DWORD
	v_add_u16_e32 v119, 0xf000, v119
	v_lshrrev_b32_e32 v121, 12, v113
	v_lshrrev_b32_e32 v123, 5, v113
	v_lshlrev_b32_e32 v124, 2, v113
	v_or_b32_sdwa v117, v117, v119 dst_sel:DWORD dst_unused:UNUSED_PAD src0_sel:DWORD src1_sel:BYTE_1
	v_lshrrev_b32_e32 v119, 4, v134
	v_and_b32_e32 v121, 16, v121
	v_and_b32_e32 v123, 0x1000, v123
	;; [unrolled: 1-line block ×3, first 2 shown]
	v_lshlrev_b32_e32 v113, 9, v113
	v_and_b32_e32 v119, 0xf0f0f0f, v119
	v_and_b32_e32 v113, 0x10000000, v113
	v_or3_b32 v121, v123, v121, v124
	v_or3_b32 v113, v121, v113, v119
	v_lshlrev_b16_e32 v121, 8, v113
	v_and_b32_e32 v119, 0x1f00, v113
	v_add_i16 v121, v121, s9 clamp
	v_or_b32_sdwa v119, v119, v121 dst_sel:DWORD dst_unused:UNUSED_PAD src0_sel:DWORD src1_sel:BYTE_1
	v_and_b32_sdwa v121, v113, s16 dst_sel:DWORD dst_unused:UNUSED_PAD src0_sel:WORD_1 src1_sel:DWORD
	v_add_i16 v121, v121, s9 clamp
	v_lshlrev_b16_sdwa v113, v109, v113 dst_sel:DWORD dst_unused:UNUSED_PAD src0_sel:DWORD src1_sel:WORD_1
	v_and_b32_e32 v121, 0xffffff00, v121
	v_add_i16 v113, v113, s9 clamp
	v_add_u16_sdwa v117, v117, s9 dst_sel:WORD_1 dst_unused:UNUSED_PAD src0_sel:DWORD src1_sel:DWORD
	v_add_u16_e32 v119, 0xf000, v119
	v_or_b32_sdwa v113, v113, v121 dst_sel:WORD_1 dst_unused:UNUSED_PAD src0_sel:BYTE_1 src1_sel:DWORD
	v_or_b32_e32 v117, v133, v117
	v_or_b32_e32 v113, v119, v113
	ds_write2_b32 v78, v117, v113 offset1:1
	v_ashrrev_i32_e32 v113, v28, v131
	v_lshlrev_b32_e32 v119, 4, v113
	v_lshlrev_b32_e32 v121, 11, v113
	v_and_b32_e32 v117, 0xf0f0f0f, v130
	v_and_b32_e32 v119, 16, v119
	;; [unrolled: 1-line block ×3, first 2 shown]
	v_or3_b32 v119, v119, v117, v121
	v_lshlrev_b32_e32 v121, 18, v113
	v_lshlrev_b32_e32 v123, 25, v113
	v_and_b32_e32 v121, 0x100000, v121
	v_and_b32_e32 v123, 0x10000000, v123
	v_or3_b32 v117, v117, v121, v123
	v_and_b32_e32 v121, 0x1f00, v119
	v_lshlrev_b16_e32 v119, 8, v119
	v_add_u16_e32 v119, 0xf000, v119
	v_or_b32_sdwa v119, v121, v119 dst_sel:DWORD dst_unused:UNUSED_PAD src0_sel:DWORD src1_sel:BYTE_1
	v_and_b32_sdwa v121, v117, s1 dst_sel:DWORD dst_unused:UNUSED_PAD src0_sel:WORD_1 src1_sel:DWORD
	v_lshlrev_b16_sdwa v117, v109, v117 dst_sel:DWORD dst_unused:UNUSED_PAD src0_sel:DWORD src1_sel:WORD_1
	v_add_u16_e32 v117, 0xf000, v117
	v_or_b32_sdwa v117, v121, v117 dst_sel:DWORD dst_unused:UNUSED_PAD src0_sel:DWORD src1_sel:BYTE_1
	v_add_u16_e32 v119, 0xf000, v119
	v_add_u16_sdwa v117, v117, s9 dst_sel:WORD_1 dst_unused:UNUSED_PAD src0_sel:DWORD src1_sel:DWORD
	v_lshrrev_b32_e32 v121, 12, v113
	v_lshrrev_b32_e32 v123, 5, v113
	v_lshlrev_b32_e32 v124, 2, v113
	v_or_b32_e32 v117, v119, v117
	v_lshrrev_b32_e32 v119, 4, v130
	v_and_b32_e32 v121, 16, v121
	v_and_b32_e32 v123, 0x1000, v123
	;; [unrolled: 1-line block ×3, first 2 shown]
	v_lshlrev_b32_e32 v113, 9, v113
	v_and_b32_e32 v119, 0xf0f0f0f, v119
	v_and_b32_e32 v113, 0x10000000, v113
	v_or3_b32 v121, v123, v121, v124
	v_or3_b32 v113, v121, v113, v119
	v_lshlrev_b16_e32 v121, 8, v113
	v_and_b32_e32 v119, 0x1f00, v113
	v_add_i16 v121, v121, s9 clamp
	v_or_b32_sdwa v119, v119, v121 dst_sel:DWORD dst_unused:UNUSED_PAD src0_sel:DWORD src1_sel:BYTE_1
	v_and_b32_sdwa v121, v113, s16 dst_sel:DWORD dst_unused:UNUSED_PAD src0_sel:WORD_1 src1_sel:DWORD
	v_add_i16 v121, v121, s9 clamp
	v_lshlrev_b16_sdwa v113, v109, v113 dst_sel:DWORD dst_unused:UNUSED_PAD src0_sel:DWORD src1_sel:WORD_1
	v_and_b32_e32 v121, 0xffffff00, v121
	v_add_i16 v113, v113, s9 clamp
	v_add_u16_e32 v119, 0xf000, v119
	v_or_b32_sdwa v113, v113, v121 dst_sel:WORD_1 dst_unused:UNUSED_PAD src0_sel:BYTE_1 src1_sel:DWORD
	v_or_b32_e32 v113, v119, v113
	ds_write2_b32 v82, v117, v113 offset1:1
	s_waitcnt vmcnt(0)
	v_ashrrev_i32_e32 v113, v28, v116
	v_lshlrev_b32_e32 v117, 4, v113
	v_lshlrev_b32_e32 v119, 11, v113
	v_and_b32_e32 v116, 0xf0f0f0f, v118
	v_and_b32_e32 v117, 16, v117
	;; [unrolled: 1-line block ×3, first 2 shown]
	v_or3_b32 v117, v117, v116, v119
	v_lshlrev_b32_e32 v119, 18, v113
	v_lshlrev_b32_e32 v121, 25, v113
	v_and_b32_e32 v119, 0x100000, v119
	v_and_b32_e32 v121, 0x10000000, v121
	v_or3_b32 v116, v116, v119, v121
	v_and_b32_e32 v119, 0x1f00, v117
	v_lshlrev_b16_e32 v117, 8, v117
	v_add_u16_e32 v117, 0xf000, v117
	v_or_b32_sdwa v117, v119, v117 dst_sel:DWORD dst_unused:UNUSED_PAD src0_sel:DWORD src1_sel:BYTE_1
	v_and_b32_sdwa v119, v116, s1 dst_sel:DWORD dst_unused:UNUSED_PAD src0_sel:WORD_1 src1_sel:DWORD
	v_lshlrev_b16_sdwa v116, v109, v116 dst_sel:DWORD dst_unused:UNUSED_PAD src0_sel:DWORD src1_sel:WORD_1
	v_add_u16_e32 v116, 0xf000, v116
	v_or_b32_sdwa v116, v119, v116 dst_sel:DWORD dst_unused:UNUSED_PAD src0_sel:DWORD src1_sel:BYTE_1
	v_add_u16_e32 v117, 0xf000, v117
	v_add_u16_sdwa v116, v116, s9 dst_sel:WORD_1 dst_unused:UNUSED_PAD src0_sel:DWORD src1_sel:DWORD
	v_or_b32_e32 v116, v117, v116
	v_lshrrev_b32_e32 v117, 4, v118
	v_lshrrev_b32_e32 v118, 12, v113
	;; [unrolled: 1-line block ×3, first 2 shown]
	v_lshlrev_b32_e32 v121, 2, v113
	v_and_b32_e32 v118, 16, v118
	v_and_b32_e32 v119, 0x1000, v119
	;; [unrolled: 1-line block ×3, first 2 shown]
	v_lshlrev_b32_e32 v113, 9, v113
	v_and_b32_e32 v117, 0xf0f0f0f, v117
	v_and_b32_e32 v113, 0x10000000, v113
	v_or3_b32 v118, v119, v118, v121
	v_or3_b32 v113, v118, v113, v117
	v_lshlrev_b16_e32 v118, 8, v113
	v_and_b32_e32 v117, 0x1f00, v113
	v_add_i16 v118, v118, s9 clamp
	v_or_b32_sdwa v117, v117, v118 dst_sel:DWORD dst_unused:UNUSED_PAD src0_sel:DWORD src1_sel:BYTE_1
	v_and_b32_sdwa v118, v113, s16 dst_sel:DWORD dst_unused:UNUSED_PAD src0_sel:WORD_1 src1_sel:DWORD
	v_add_i16 v118, v118, s9 clamp
	v_lshlrev_b16_sdwa v113, v109, v113 dst_sel:DWORD dst_unused:UNUSED_PAD src0_sel:DWORD src1_sel:WORD_1
	v_and_b32_e32 v118, 0xffffff00, v118
	v_add_i16 v113, v113, s9 clamp
	v_add_u16_e32 v117, 0xf000, v117
	v_or_b32_sdwa v113, v113, v118 dst_sel:WORD_1 dst_unused:UNUSED_PAD src0_sel:BYTE_1 src1_sel:DWORD
	v_or_b32_e32 v113, v117, v113
	ds_write2_b32 v86, v116, v113 offset1:1
	v_ashrrev_i32_e32 v113, v28, v120
	v_lshlrev_b32_e32 v117, 4, v113
	v_lshlrev_b32_e32 v118, 11, v113
	v_and_b32_e32 v116, 0xf0f0f0f, v122
	v_and_b32_e32 v117, 16, v117
	;; [unrolled: 1-line block ×3, first 2 shown]
	v_or3_b32 v117, v117, v116, v118
	v_lshlrev_b32_e32 v118, 18, v113
	v_lshlrev_b32_e32 v119, 25, v113
	v_and_b32_e32 v118, 0x100000, v118
	v_and_b32_e32 v119, 0x10000000, v119
	v_or3_b32 v116, v116, v118, v119
	v_and_b32_e32 v118, 0x1f00, v117
	v_lshlrev_b16_e32 v117, 8, v117
	v_add_u16_e32 v117, 0xf000, v117
	v_or_b32_sdwa v117, v118, v117 dst_sel:DWORD dst_unused:UNUSED_PAD src0_sel:DWORD src1_sel:BYTE_1
	v_and_b32_sdwa v118, v116, s1 dst_sel:DWORD dst_unused:UNUSED_PAD src0_sel:WORD_1 src1_sel:DWORD
	v_lshlrev_b16_sdwa v116, v109, v116 dst_sel:DWORD dst_unused:UNUSED_PAD src0_sel:DWORD src1_sel:WORD_1
	v_add_u16_e32 v116, 0xf000, v116
	v_or_b32_sdwa v116, v118, v116 dst_sel:DWORD dst_unused:UNUSED_PAD src0_sel:DWORD src1_sel:BYTE_1
	v_add_u16_e32 v117, 0xf000, v117
	v_add_u16_sdwa v116, v116, s9 dst_sel:WORD_1 dst_unused:UNUSED_PAD src0_sel:DWORD src1_sel:DWORD
	v_lshrrev_b32_e32 v118, 12, v113
	v_lshrrev_b32_e32 v119, 5, v113
	v_lshlrev_b32_e32 v120, 2, v113
	v_or_b32_e32 v116, v117, v116
	v_lshrrev_b32_e32 v117, 4, v122
	v_and_b32_e32 v118, 16, v118
	v_and_b32_e32 v119, 0x1000, v119
	;; [unrolled: 1-line block ×3, first 2 shown]
	v_lshlrev_b32_e32 v113, 9, v113
	v_and_b32_e32 v117, 0xf0f0f0f, v117
	v_and_b32_e32 v113, 0x10000000, v113
	v_or3_b32 v118, v119, v118, v120
	v_or3_b32 v113, v118, v113, v117
	v_lshlrev_b16_e32 v118, 8, v113
	v_and_b32_e32 v117, 0x1f00, v113
	v_add_i16 v118, v118, s9 clamp
	v_or_b32_sdwa v117, v117, v118 dst_sel:DWORD dst_unused:UNUSED_PAD src0_sel:DWORD src1_sel:BYTE_1
	v_and_b32_sdwa v118, v113, s16 dst_sel:DWORD dst_unused:UNUSED_PAD src0_sel:WORD_1 src1_sel:DWORD
	v_add_i16 v118, v118, s9 clamp
	v_lshlrev_b16_sdwa v113, v109, v113 dst_sel:DWORD dst_unused:UNUSED_PAD src0_sel:DWORD src1_sel:WORD_1
	v_and_b32_e32 v118, 0xffffff00, v118
	v_add_i16 v113, v113, s9 clamp
	v_add_u16_e32 v117, 0xf000, v117
	v_or_b32_sdwa v113, v113, v118 dst_sel:WORD_1 dst_unused:UNUSED_PAD src0_sel:BYTE_1 src1_sel:DWORD
	v_or_b32_e32 v113, v117, v113
	ds_write2_b32 v90, v116, v113 offset1:1
	v_ashrrev_i32_e32 v113, v28, v115
	v_lshlrev_b32_e32 v116, 4, v113
	v_lshlrev_b32_e32 v117, 11, v113
	v_and_b32_e32 v115, 0xf0f0f0f, v114
	v_and_b32_e32 v116, 16, v116
	;; [unrolled: 1-line block ×3, first 2 shown]
	v_or3_b32 v116, v116, v115, v117
	v_lshlrev_b32_e32 v117, 18, v113
	v_lshlrev_b32_e32 v118, 25, v113
	v_and_b32_e32 v117, 0x100000, v117
	v_and_b32_e32 v118, 0x10000000, v118
	v_or3_b32 v115, v115, v117, v118
	v_and_b32_e32 v117, 0x1f00, v116
	v_lshlrev_b16_e32 v116, 8, v116
	v_add_u16_e32 v116, 0xf000, v116
	v_or_b32_sdwa v116, v117, v116 dst_sel:DWORD dst_unused:UNUSED_PAD src0_sel:DWORD src1_sel:BYTE_1
	v_and_b32_sdwa v117, v115, s1 dst_sel:DWORD dst_unused:UNUSED_PAD src0_sel:WORD_1 src1_sel:DWORD
	v_lshlrev_b16_sdwa v115, v109, v115 dst_sel:DWORD dst_unused:UNUSED_PAD src0_sel:DWORD src1_sel:WORD_1
	v_lshrrev_b32_e32 v114, 4, v114
	v_add_u16_e32 v115, 0xf000, v115
	v_and_b32_e32 v133, 0xf0f0f0f, v114
	v_lshrrev_b32_e32 v114, 12, v113
	v_or_b32_sdwa v115, v117, v115 dst_sel:DWORD dst_unused:UNUSED_PAD src0_sel:DWORD src1_sel:BYTE_1
	v_and_b32_e32 v134, 16, v114
	v_lshrrev_b32_e32 v114, 5, v113
	v_add_u16_e32 v116, 0xf000, v116
	v_add_u16_sdwa v115, v115, s9 dst_sel:WORD_1 dst_unused:UNUSED_PAD src0_sel:DWORD src1_sel:DWORD
	v_and_b32_e32 v137, 0x1000, v114
	v_lshlrev_b32_e32 v114, 2, v113
	v_or_b32_e32 v132, v116, v115
	v_and_b32_e32 v138, 0x100000, v114
	v_mad_u64_u32 v[114:115], s[4:5], v100, 22, s[4:5]
	v_mad_i64_i32 v[116:117], s[4:5], v102, 22, v[114:115]
	v_mad_i64_i32 v[118:119], s[4:5], v104, 22, v[114:115]
	;; [unrolled: 1-line block ×4, first 2 shown]
	v_add_u32_e32 v128, s0, v33
	v_lshlrev_b32_e32 v113, 9, v113
	global_load_ushort v140, v[116:117], off
	global_load_ushort v141, v[118:119], off
	;; [unrolled: 1-line block ×4, first 2 shown]
	v_add_u32_e32 v114, v128, v37
	v_add_u32_e32 v116, v128, v41
	;; [unrolled: 1-line block ×5, first 2 shown]
	v_and_b32_e32 v139, 0x10000000, v113
	v_add_u32_e32 v113, s0, v112
	v_mad_i64_i32 v[114:115], s[4:5], v114, 36, v[110:111]
	v_mad_i64_i32 v[116:117], s[4:5], v116, 36, v[110:111]
	;; [unrolled: 1-line block ×5, first 2 shown]
	v_add_u32_e32 v124, v128, v59
	v_add_u32_e32 v126, v128, v63
	;; [unrolled: 1-line block ×3, first 2 shown]
	v_mad_i64_i32 v[124:125], s[4:5], v124, 36, v[110:111]
	v_mad_i64_i32 v[126:127], s[4:5], v126, 36, v[110:111]
	;; [unrolled: 1-line block ×3, first 2 shown]
	v_mad_u64_u32 v[130:131], s[4:5], v113, 36, s[2:3]
	global_load_dword v114, v[114:115], off offset:4
	s_nop 0
	global_load_dword v115, v[116:117], off offset:4
	s_nop 0
	global_load_dword v116, v[118:119], off offset:4
	global_load_dword v117, v[120:121], off offset:4
	s_nop 0
	global_load_dword v118, v[122:123], off offset:4
	global_load_dword v119, v[130:131], off
	global_load_dword v120, v[124:125], off offset:4
	global_load_dword v121, v[126:127], off offset:4
	s_nop 0
	global_load_dword v122, v[128:129], off offset:4
	v_or3_b32 v123, v137, v134, v138
	v_or3_b32 v123, v123, v139, v133
	v_lshlrev_b16_e32 v125, 8, v123
	v_and_b32_e32 v124, 0x1f00, v123
	v_add_i16 v125, v125, s9 clamp
	v_or_b32_sdwa v124, v124, v125 dst_sel:DWORD dst_unused:UNUSED_PAD src0_sel:DWORD src1_sel:BYTE_1
	v_and_b32_sdwa v125, v123, s16 dst_sel:DWORD dst_unused:UNUSED_PAD src0_sel:WORD_1 src1_sel:DWORD
	v_add_i16 v125, v125, s9 clamp
	v_lshlrev_b16_sdwa v123, v109, v123 dst_sel:DWORD dst_unused:UNUSED_PAD src0_sel:DWORD src1_sel:WORD_1
	v_and_b32_e32 v125, 0xffffff00, v125
	v_add_i16 v123, v123, s9 clamp
	v_add_u16_e32 v124, 0xf000, v124
	v_or_b32_sdwa v123, v123, v125 dst_sel:WORD_1 dst_unused:UNUSED_PAD src0_sel:BYTE_1 src1_sel:DWORD
	v_or_b32_e32 v123, v124, v123
	ds_write2_b32 v94, v132, v123 offset1:1
	v_ashrrev_i32_e32 v123, v28, v136
	v_lshlrev_b32_e32 v125, 4, v123
	v_lshlrev_b32_e32 v126, 11, v123
	v_and_b32_e32 v124, 0xf0f0f0f, v135
	v_and_b32_e32 v125, 16, v125
	v_and_b32_e32 v126, 0x1000, v126
	v_or3_b32 v125, v125, v124, v126
	v_lshlrev_b32_e32 v126, 18, v123
	v_lshlrev_b32_e32 v127, 25, v123
	v_and_b32_e32 v126, 0x100000, v126
	v_and_b32_e32 v127, 0x10000000, v127
	v_or3_b32 v124, v124, v126, v127
	v_and_b32_e32 v126, 0x1f00, v125
	v_lshlrev_b16_e32 v125, 8, v125
	v_add_u16_e32 v125, 0xf000, v125
	v_or_b32_sdwa v125, v126, v125 dst_sel:DWORD dst_unused:UNUSED_PAD src0_sel:DWORD src1_sel:BYTE_1
	v_and_b32_sdwa v126, v124, s1 dst_sel:DWORD dst_unused:UNUSED_PAD src0_sel:WORD_1 src1_sel:DWORD
	v_lshlrev_b16_sdwa v124, v109, v124 dst_sel:DWORD dst_unused:UNUSED_PAD src0_sel:DWORD src1_sel:WORD_1
	v_add_u16_e32 v124, 0xf000, v124
	v_or_b32_sdwa v124, v126, v124 dst_sel:DWORD dst_unused:UNUSED_PAD src0_sel:DWORD src1_sel:BYTE_1
	v_add_u16_e32 v125, 0xf000, v125
	v_add_u16_sdwa v124, v124, s9 dst_sel:WORD_1 dst_unused:UNUSED_PAD src0_sel:DWORD src1_sel:DWORD
	v_lshrrev_b32_e32 v126, 12, v123
	v_lshrrev_b32_e32 v127, 5, v123
	v_lshlrev_b32_e32 v128, 2, v123
	v_or_b32_e32 v124, v125, v124
	v_lshrrev_b32_e32 v125, 4, v135
	v_and_b32_e32 v126, 16, v126
	v_and_b32_e32 v127, 0x1000, v127
	;; [unrolled: 1-line block ×3, first 2 shown]
	v_lshlrev_b32_e32 v123, 9, v123
	v_and_b32_e32 v125, 0xf0f0f0f, v125
	v_and_b32_e32 v123, 0x10000000, v123
	v_or3_b32 v126, v127, v126, v128
	v_or3_b32 v123, v126, v123, v125
	v_lshlrev_b16_e32 v126, 8, v123
	v_and_b32_e32 v125, 0x1f00, v123
	v_add_i16 v126, v126, s9 clamp
	v_or_b32_sdwa v125, v125, v126 dst_sel:DWORD dst_unused:UNUSED_PAD src0_sel:DWORD src1_sel:BYTE_1
	v_and_b32_sdwa v126, v123, s16 dst_sel:DWORD dst_unused:UNUSED_PAD src0_sel:WORD_1 src1_sel:DWORD
	v_add_i16 v126, v126, s9 clamp
	v_lshlrev_b16_sdwa v123, v109, v123 dst_sel:DWORD dst_unused:UNUSED_PAD src0_sel:DWORD src1_sel:WORD_1
	v_and_b32_e32 v126, 0xffffff00, v126
	v_add_i16 v123, v123, s9 clamp
	v_add_u16_e32 v125, 0xf000, v125
	v_or_b32_sdwa v123, v123, v126 dst_sel:WORD_1 dst_unused:UNUSED_PAD src0_sel:BYTE_1 src1_sel:DWORD
	v_or_b32_e32 v123, v125, v123
	ds_write2_b32 v98, v124, v123 offset1:1
	s_waitcnt vmcnt(12)
	v_cvt_f32_f16_e32 v123, v140
	s_waitcnt vmcnt(11)
	v_cvt_f32_f16_e32 v124, v141
	;; [unrolled: 2-line block ×4, first 2 shown]
	ds_write_b32 v101, v123
	ds_write_b32 v103, v124
	;; [unrolled: 1-line block ×4, first 2 shown]
	s_waitcnt vmcnt(8)
	ds_write_b32 v39, v114
	s_waitcnt vmcnt(7)
	ds_write_b32 v43, v115
	;; [unrolled: 2-line block ×5, first 2 shown]
	s_waitcnt vmcnt(3)
	v_cvt_f32_f16_e32 v114, v119
	v_mov_b32_e32 v115, v89
	v_mov_b32_e32 v117, v87
	;; [unrolled: 1-line block ×3, first 2 shown]
	s_mov_b32 s4, -4
	v_mov_b32_e32 v123, v85
	s_waitcnt vmcnt(2)
	ds_write_b32 v61, v120
	s_waitcnt vmcnt(1)
	ds_write_b32 v67, v121
	;; [unrolled: 2-line block ×3, first 2 shown]
	ds_write_b32 v35, v114
	s_waitcnt lgkmcnt(0)
	s_barrier
.LBB142_7:                              ;   Parent Loop BB142_6 Depth=1
                                        ; =>  This Inner Loop Header: Depth=2
	v_add_u32_e32 v116, 0x2080, v119
	ds_read_b128 v[160:163], v117
	ds_read_b128 v[164:167], v117 offset:16
	ds_read2_b32 v[154:155], v115 offset1:32
	ds_read_b32 v118, v123
	ds_read2_b32 v[126:127], v119 offset1:1
	ds_read2_b32 v[134:135], v119 offset0:2 offset1:3
	ds_read2_b32 v[140:141], v119 offset0:4 offset1:5
	;; [unrolled: 1-line block ×3, first 2 shown]
	ds_read_b32 v114, v156
	ds_read2_b32 v[120:121], v116 offset1:1
	v_add_u32_e32 v116, 0x2088, v119
	ds_read2_b32 v[128:129], v116 offset1:1
	v_add_u32_e32 v116, 0x2090, v119
	;; [unrolled: 2-line block ×3, first 2 shown]
	v_add_u32_e32 v122, 0x4100, v119
	ds_read2_b32 v[146:147], v116 offset1:1
	ds_read_b32 v116, v157
	ds_read2_b32 v[124:125], v122 offset1:1
	v_add_u32_e32 v122, 0x4108, v119
	ds_read2_b32 v[132:133], v122 offset1:1
	v_add_u32_e32 v122, 0x4110, v119
	;; [unrolled: 2-line block ×3, first 2 shown]
	v_add_u32_e32 v130, 0x6180, v119
	ds_read2_b32 v[150:151], v122 offset1:1
	ds_read_b32 v122, v158
	ds_read2_b32 v[130:131], v130 offset1:1
	v_add_u32_e32 v138, 0x6188, v119
	ds_read2_b32 v[138:139], v138 offset1:1
	v_add_u32_e32 v148, 0x6190, v119
	ds_read2_b32 v[148:149], v148 offset1:1
	v_mov_b32_e32 v159, 0
	v_mov_b32_e32 v172, 0
	;; [unrolled: 1-line block ×4, first 2 shown]
	s_waitcnt lgkmcnt(14)
	v_dot4c_i32_i8_e32 v159, v126, v160
	s_waitcnt lgkmcnt(12)
	v_dot4c_i32_i8_e32 v172, v120, v160
	;; [unrolled: 2-line block ×4, first 2 shown]
	v_add_u32_e32 v152, 0x6198, v119
	ds_read2_b32 v[152:153], v152 offset1:1
	v_dot4c_i32_i8_e32 v159, v127, v164
	v_dot4c_i32_i8_e32 v172, v121, v164
	v_dot4c_i32_i8_e32 v173, v125, v164
	v_dot4c_i32_i8_e32 v174, v131, v164
	v_dot4c_i32_i8_e32 v159, v134, v161
	v_dot4c_i32_i8_e32 v172, v128, v161
	v_dot4c_i32_i8_e32 v173, v132, v161
	s_waitcnt lgkmcnt(2)
	v_dot4c_i32_i8_e32 v174, v138, v161
	v_dot4c_i32_i8_e32 v159, v135, v165
	v_dot4c_i32_i8_e32 v172, v129, v165
	v_dot4c_i32_i8_e32 v173, v133, v165
	v_dot4c_i32_i8_e32 v174, v139, v165
	v_dot4c_i32_i8_e32 v159, v140, v162
	v_dot4c_i32_i8_e32 v172, v136, v162
	v_dot4c_i32_i8_e32 v173, v142, v162
	s_waitcnt lgkmcnt(1)
	v_dot4c_i32_i8_e32 v174, v148, v162
	;; [unrolled: 9-line block ×3, first 2 shown]
	v_dot4c_i32_i8_e32 v159, v145, v167
	v_dot4c_i32_i8_e32 v172, v147, v167
	;; [unrolled: 1-line block ×4, first 2 shown]
	ds_read_b128 v[160:163], v117 offset:1024
	ds_read_b128 v[164:167], v117 offset:1040
	v_mov_b32_e32 v170, 0
	v_pk_mul_f32 v[168:169], v[118:119], v[154:155] op_sel_hi:[0,1]
	s_add_i32 s4, s4, 4
	s_waitcnt lgkmcnt(1)
	v_dot4c_i32_i8_e32 v170, v126, v160
	s_waitcnt lgkmcnt(0)
	v_dot4c_i32_i8_e32 v170, v127, v164
	v_dot4c_i32_i8_e32 v170, v134, v161
	;; [unrolled: 1-line block ×7, first 2 shown]
	v_add_u32_e32 v158, 4, v158
	v_add_u32_e32 v157, 4, v157
	;; [unrolled: 1-line block ×3, first 2 shown]
	v_cvt_f32_i32_e32 v171, v170
	v_cvt_f32_i32_e32 v170, v159
	v_mov_b32_e32 v159, 0
	v_dot4c_i32_i8_e32 v159, v120, v160
	v_dot4c_i32_i8_e32 v159, v121, v164
	v_dot4c_i32_i8_e32 v159, v128, v161
	v_dot4c_i32_i8_e32 v159, v129, v165
	v_dot4c_i32_i8_e32 v159, v136, v162
	v_dot4c_i32_i8_e32 v159, v137, v166
	v_dot4c_i32_i8_e32 v159, v146, v163
	v_dot4c_i32_i8_e32 v159, v147, v167
	v_pk_fma_f32 v[76:77], v[168:169], v[170:171], v[76:77]
	v_cvt_f32_i32_e32 v170, v172
	v_pk_mul_f32 v[168:169], v[114:115], v[154:155] op_sel_hi:[0,1]
	v_cvt_f32_i32_e32 v171, v159
	v_mov_b32_e32 v159, 0
	v_dot4c_i32_i8_e32 v159, v124, v160
	v_dot4c_i32_i8_e32 v159, v125, v164
	v_dot4c_i32_i8_e32 v159, v132, v161
	v_dot4c_i32_i8_e32 v159, v133, v165
	v_dot4c_i32_i8_e32 v159, v142, v162
	v_dot4c_i32_i8_e32 v159, v143, v166
	v_dot4c_i32_i8_e32 v159, v150, v163
	v_dot4c_i32_i8_e32 v159, v151, v167
	v_pk_fma_f32 v[64:65], v[168:169], v[170:171], v[64:65]
	v_pk_mul_f32 v[168:169], v[116:117], v[154:155] op_sel_hi:[0,1]
	v_pk_mul_f32 v[154:155], v[122:123], v[154:155] op_sel_hi:[0,1]
	v_cvt_f32_i32_e32 v171, v159
	v_mov_b32_e32 v159, 0
	v_dot4c_i32_i8_e32 v159, v130, v160
	v_dot4c_i32_i8_e32 v159, v131, v164
	;; [unrolled: 1-line block ×8, first 2 shown]
	v_cvt_f32_i32_e32 v160, v174
	v_cvt_f32_i32_e32 v170, v173
	v_mov_b32_e32 v172, 0
	v_cvt_f32_i32_e32 v161, v159
	v_mov_b32_e32 v159, 0
	v_mov_b32_e32 v173, 0
	;; [unrolled: 1-line block ×3, first 2 shown]
	v_pk_fma_f32 v[26:27], v[154:155], v[160:161], v[26:27]
	ds_read_b128 v[160:163], v117 offset:2048
	ds_read_b128 v[164:167], v117 offset:2064
	ds_read2_b32 v[154:155], v115 offset0:64 offset1:96
	v_pk_fma_f32 v[44:45], v[168:169], v[170:171], v[44:45]
	v_mov_b32_e32 v170, 0
	s_waitcnt lgkmcnt(2)
	v_dot4c_i32_i8_e32 v159, v126, v160
	v_dot4c_i32_i8_e32 v172, v120, v160
	;; [unrolled: 1-line block ×4, first 2 shown]
	s_waitcnt lgkmcnt(1)
	v_dot4c_i32_i8_e32 v159, v127, v164
	v_dot4c_i32_i8_e32 v172, v121, v164
	v_dot4c_i32_i8_e32 v173, v125, v164
	v_dot4c_i32_i8_e32 v174, v131, v164
	v_dot4c_i32_i8_e32 v159, v134, v161
	v_dot4c_i32_i8_e32 v172, v128, v161
	v_dot4c_i32_i8_e32 v173, v132, v161
	v_dot4c_i32_i8_e32 v174, v138, v161
	v_dot4c_i32_i8_e32 v159, v135, v165
	v_dot4c_i32_i8_e32 v172, v129, v165
	v_dot4c_i32_i8_e32 v173, v133, v165
	v_dot4c_i32_i8_e32 v174, v139, v165
	v_dot4c_i32_i8_e32 v159, v140, v162
	v_dot4c_i32_i8_e32 v172, v136, v162
	v_dot4c_i32_i8_e32 v173, v142, v162
	v_dot4c_i32_i8_e32 v174, v148, v162
	v_dot4c_i32_i8_e32 v159, v141, v166
	v_dot4c_i32_i8_e32 v172, v137, v166
	v_dot4c_i32_i8_e32 v173, v143, v166
	v_dot4c_i32_i8_e32 v174, v149, v166
	v_dot4c_i32_i8_e32 v159, v144, v163
	v_dot4c_i32_i8_e32 v172, v146, v163
	v_dot4c_i32_i8_e32 v173, v150, v163
	v_dot4c_i32_i8_e32 v174, v152, v163
	v_dot4c_i32_i8_e32 v159, v145, v167
	v_dot4c_i32_i8_e32 v172, v147, v167
	v_dot4c_i32_i8_e32 v173, v151, v167
	v_dot4c_i32_i8_e32 v174, v153, v167
	ds_read_b128 v[160:163], v117 offset:3072
	ds_read_b128 v[164:167], v117 offset:3088
	s_waitcnt lgkmcnt(2)
	v_pk_mul_f32 v[168:169], v[118:119], v[154:155] op_sel_hi:[0,1]
	s_cmp_lt_u32 s4, 12
	s_waitcnt lgkmcnt(1)
	v_dot4c_i32_i8_e32 v170, v126, v160
	s_waitcnt lgkmcnt(0)
	v_dot4c_i32_i8_e32 v170, v127, v164
	v_dot4c_i32_i8_e32 v170, v134, v161
	;; [unrolled: 1-line block ×7, first 2 shown]
	s_nop 2
	v_cvt_f32_i32_e32 v171, v170
	v_cvt_f32_i32_e32 v170, v159
	v_mov_b32_e32 v159, 0
	v_dot4c_i32_i8_e32 v159, v120, v160
	v_dot4c_i32_i8_e32 v159, v121, v164
	;; [unrolled: 1-line block ×8, first 2 shown]
	v_pk_fma_f32 v[24:25], v[168:169], v[170:171], v[24:25]
	v_cvt_f32_i32_e32 v170, v172
	v_pk_mul_f32 v[168:169], v[114:115], v[154:155] op_sel_hi:[0,1]
	v_cvt_f32_i32_e32 v171, v159
	v_mov_b32_e32 v159, 0
	v_dot4c_i32_i8_e32 v159, v124, v160
	v_dot4c_i32_i8_e32 v159, v125, v164
	;; [unrolled: 1-line block ×8, first 2 shown]
	v_pk_fma_f32 v[22:23], v[168:169], v[170:171], v[22:23]
	v_pk_mul_f32 v[168:169], v[116:117], v[154:155] op_sel_hi:[0,1]
	v_pk_mul_f32 v[154:155], v[122:123], v[154:155] op_sel_hi:[0,1]
	v_cvt_f32_i32_e32 v171, v159
	v_mov_b32_e32 v159, 0
	v_dot4c_i32_i8_e32 v159, v130, v160
	v_dot4c_i32_i8_e32 v159, v131, v164
	;; [unrolled: 1-line block ×8, first 2 shown]
	v_cvt_f32_i32_e32 v160, v174
	v_cvt_f32_i32_e32 v170, v173
	v_mov_b32_e32 v172, 0
	v_cvt_f32_i32_e32 v161, v159
	v_mov_b32_e32 v159, 0
	v_mov_b32_e32 v173, 0
	;; [unrolled: 1-line block ×3, first 2 shown]
	v_pk_fma_f32 v[18:19], v[154:155], v[160:161], v[18:19]
	ds_read_b128 v[160:163], v117 offset:4096
	ds_read_b128 v[164:167], v117 offset:4112
	ds_read2_b32 v[154:155], v115 offset0:128 offset1:160
	v_pk_fma_f32 v[20:21], v[168:169], v[170:171], v[20:21]
	v_mov_b32_e32 v170, 0
	s_waitcnt lgkmcnt(2)
	v_dot4c_i32_i8_e32 v159, v126, v160
	v_dot4c_i32_i8_e32 v172, v120, v160
	;; [unrolled: 1-line block ×4, first 2 shown]
	s_waitcnt lgkmcnt(1)
	v_dot4c_i32_i8_e32 v159, v127, v164
	v_dot4c_i32_i8_e32 v172, v121, v164
	;; [unrolled: 1-line block ×28, first 2 shown]
	ds_read_b128 v[160:163], v117 offset:5120
	ds_read_b128 v[164:167], v117 offset:5136
	s_waitcnt lgkmcnt(2)
	v_pk_mul_f32 v[168:169], v[118:119], v[154:155] op_sel_hi:[0,1]
	s_waitcnt lgkmcnt(1)
	v_dot4c_i32_i8_e32 v170, v126, v160
	s_waitcnt lgkmcnt(0)
	v_dot4c_i32_i8_e32 v170, v127, v164
	v_dot4c_i32_i8_e32 v170, v134, v161
	;; [unrolled: 1-line block ×7, first 2 shown]
	s_nop 2
	v_cvt_f32_i32_e32 v171, v170
	v_cvt_f32_i32_e32 v170, v159
	v_mov_b32_e32 v159, 0
	v_dot4c_i32_i8_e32 v159, v120, v160
	v_dot4c_i32_i8_e32 v159, v121, v164
	;; [unrolled: 1-line block ×8, first 2 shown]
	v_pk_fma_f32 v[16:17], v[168:169], v[170:171], v[16:17]
	v_cvt_f32_i32_e32 v170, v172
	v_pk_mul_f32 v[168:169], v[114:115], v[154:155] op_sel_hi:[0,1]
	v_cvt_f32_i32_e32 v171, v159
	v_mov_b32_e32 v159, 0
	v_dot4c_i32_i8_e32 v159, v124, v160
	v_dot4c_i32_i8_e32 v159, v125, v164
	;; [unrolled: 1-line block ×8, first 2 shown]
	v_pk_fma_f32 v[14:15], v[168:169], v[170:171], v[14:15]
	v_cvt_f32_i32_e32 v170, v173
	v_pk_mul_f32 v[168:169], v[116:117], v[154:155] op_sel_hi:[0,1]
	v_cvt_f32_i32_e32 v171, v159
	v_mov_b32_e32 v159, 0
	v_dot4c_i32_i8_e32 v159, v130, v160
	v_dot4c_i32_i8_e32 v159, v131, v164
	;; [unrolled: 1-line block ×8, first 2 shown]
	v_cvt_f32_i32_e32 v160, v174
	v_pk_mul_f32 v[154:155], v[122:123], v[154:155] op_sel_hi:[0,1]
	v_pk_fma_f32 v[12:13], v[168:169], v[170:171], v[12:13]
	v_cvt_f32_i32_e32 v161, v159
	v_mov_b32_e32 v159, 0
	v_mov_b32_e32 v168, 0
	;; [unrolled: 1-line block ×3, first 2 shown]
	v_pk_fma_f32 v[10:11], v[154:155], v[160:161], v[10:11]
	ds_read_b128 v[160:163], v117 offset:6144
	ds_read_b128 v[164:167], v117 offset:6160
	ds_read2_b32 v[154:155], v115 offset0:192 offset1:224
	v_mov_b32_e32 v170, 0
	v_mov_b32_e32 v171, 0
	s_waitcnt lgkmcnt(2)
	v_dot4c_i32_i8_e32 v159, v126, v160
	v_dot4c_i32_i8_e32 v168, v120, v160
	;; [unrolled: 1-line block ×4, first 2 shown]
	s_waitcnt lgkmcnt(1)
	v_dot4c_i32_i8_e32 v159, v127, v164
	v_dot4c_i32_i8_e32 v168, v121, v164
	;; [unrolled: 1-line block ×28, first 2 shown]
	ds_read_b128 v[160:163], v117 offset:7168
	ds_read_b128 v[164:167], v117 offset:7184
	s_waitcnt lgkmcnt(1)
	v_dot4c_i32_i8_e32 v171, v126, v160
	s_waitcnt lgkmcnt(0)
	v_dot4c_i32_i8_e32 v171, v127, v164
	v_pk_mul_f32 v[126:127], v[118:119], v[154:155] op_sel_hi:[0,1]
	v_mov_b32_e32 v118, 0
	v_dot4c_i32_i8_e32 v118, v120, v160
	v_dot4c_i32_i8_e32 v118, v121, v164
	v_pk_mul_f32 v[120:121], v[114:115], v[154:155] op_sel_hi:[0,1]
	v_mov_b32_e32 v114, 0
	v_dot4c_i32_i8_e32 v114, v124, v160
	v_dot4c_i32_i8_e32 v114, v125, v164
	;; [unrolled: 1-line block ×16, first 2 shown]
	v_cvt_f32_i32_e32 v134, v159
	v_cvt_f32_i32_e32 v135, v171
	v_dot4c_i32_i8_e32 v118, v136, v162
	v_cvt_f32_i32_e32 v125, v114
	v_mov_b32_e32 v114, 0
	v_dot4c_i32_i8_e32 v118, v137, v166
	v_dot4c_i32_i8_e32 v114, v130, v160
	;; [unrolled: 1-line block ×6, first 2 shown]
	v_pk_fma_f32 v[8:9], v[126:127], v[134:135], v[8:9]
	v_cvt_f32_i32_e32 v126, v168
	v_cvt_f32_i32_e32 v127, v118
	v_dot4c_i32_i8_e32 v114, v139, v165
	v_cvt_f32_i32_e32 v124, v169
	v_dot4c_i32_i8_e32 v114, v148, v162
	v_dot4c_i32_i8_e32 v114, v149, v166
	;; [unrolled: 1-line block ×3, first 2 shown]
	v_pk_fma_f32 v[6:7], v[120:121], v[126:127], v[6:7]
	v_pk_mul_f32 v[120:121], v[116:117], v[154:155] op_sel_hi:[0,1]
	v_dot4c_i32_i8_e32 v114, v153, v167
	v_pk_fma_f32 v[4:5], v[120:121], v[124:125], v[4:5]
	v_cvt_f32_i32_e32 v124, v170
	v_pk_mul_f32 v[120:121], v[122:123], v[154:155] op_sel_hi:[0,1]
	v_cvt_f32_i32_e32 v125, v114
	v_add_u32_e32 v123, 4, v123
	v_add_u32_e32 v119, 32, v119
	;; [unrolled: 1-line block ×3, first 2 shown]
	v_pk_fma_f32 v[2:3], v[120:121], v[124:125], v[2:3]
	v_add_u32_e32 v115, 4, v115
	s_cbranch_scc1 .LBB142_7
; %bb.8:                                ;   in Loop: Header=BB142_6 Depth=1
	s_or_b32 s4, s0, 4
	s_cmp_ge_i32 s4, s7
	s_barrier
	s_cbranch_scc1 .LBB142_5
; %bb.9:                                ;   in Loop: Header=BB142_6 Depth=1
	v_add_u32_e32 v128, s0, v75
	v_add_u32_e32 v114, v128, v37
	;; [unrolled: 1-line block ×8, first 2 shown]
	v_mad_i64_i32 v[114:115], s[4:5], v114, 36, v[110:111]
	v_mad_i64_i32 v[116:117], s[4:5], v116, 36, v[110:111]
	;; [unrolled: 1-line block ×6, first 2 shown]
	v_add_u32_e32 v126, v128, v63
	v_add_u32_e32 v128, v128, v69
	v_mad_u64_u32 v[130:131], s[4:5], v113, 36, s[2:3]
	v_mad_i64_i32 v[126:127], s[4:5], v126, 36, v[110:111]
	v_mad_i64_i32 v[128:129], s[4:5], v128, 36, v[110:111]
	global_load_dword v130, v[130:131], off
	s_nop 0
	global_load_dword v114, v[114:115], off offset:4
	s_nop 0
	global_load_dword v116, v[116:117], off offset:4
	;; [unrolled: 2-line block ×5, first 2 shown]
	global_load_dword v131, v[124:125], off offset:4
                                        ; kill: killed $vgpr124_vgpr125
                                        ; kill: killed $vgpr122_vgpr123
	s_nop 0
	global_load_dword v122, v[126:127], off offset:4
	global_load_dword v124, v[128:129], off offset:4
	s_mov_b32 s4, 12
	v_mov_b32_e32 v113, v89
	v_mov_b32_e32 v115, v87
	;; [unrolled: 1-line block ×7, first 2 shown]
	s_waitcnt vmcnt(8)
	v_cvt_f32_f16_e32 v125, v130
	s_waitcnt vmcnt(7)
	ds_write_b32 v39, v114
	s_waitcnt vmcnt(6)
	ds_write_b32 v43, v116
	;; [unrolled: 2-line block ×8, first 2 shown]
	ds_write_b32 v35, v125
	s_waitcnt lgkmcnt(0)
	s_barrier
.LBB142_10:                             ;   Parent Loop BB142_6 Depth=1
                                        ; =>  This Inner Loop Header: Depth=2
	v_add_u32_e32 v116, 0x2080, v117
	ds_read_b128 v[158:161], v115
	ds_read_b128 v[162:165], v115 offset:16
	ds_read2_b32 v[154:155], v113 offset1:32
	ds_read_b32 v118, v119
	ds_read2_b32 v[126:127], v117 offset1:1
	ds_read2_b32 v[134:135], v117 offset0:2 offset1:3
	ds_read2_b32 v[140:141], v117 offset0:4 offset1:5
	;; [unrolled: 1-line block ×3, first 2 shown]
	ds_read_b32 v114, v123
	ds_read2_b32 v[120:121], v116 offset1:1
	v_add_u32_e32 v116, 0x2088, v117
	ds_read2_b32 v[128:129], v116 offset1:1
	v_add_u32_e32 v116, 0x2090, v117
	;; [unrolled: 2-line block ×3, first 2 shown]
	v_add_u32_e32 v122, 0x4100, v117
	ds_read2_b32 v[146:147], v116 offset1:1
	ds_read_b32 v116, v156
	ds_read2_b32 v[124:125], v122 offset1:1
	v_add_u32_e32 v122, 0x4108, v117
	ds_read2_b32 v[132:133], v122 offset1:1
	v_add_u32_e32 v122, 0x4110, v117
	;; [unrolled: 2-line block ×3, first 2 shown]
	v_add_u32_e32 v130, 0x6180, v117
	ds_read2_b32 v[150:151], v122 offset1:1
	ds_read_b32 v122, v157
	ds_read2_b32 v[130:131], v130 offset1:1
	v_add_u32_e32 v138, 0x6188, v117
	ds_read2_b32 v[138:139], v138 offset1:1
	v_add_u32_e32 v148, 0x6190, v117
	ds_read2_b32 v[148:149], v148 offset1:1
	v_mov_b32_e32 v168, 0
	v_mov_b32_e32 v170, 0
	;; [unrolled: 1-line block ×4, first 2 shown]
	s_waitcnt lgkmcnt(14)
	v_dot4c_i32_i8_e32 v168, v126, v158
	s_waitcnt lgkmcnt(12)
	v_dot4c_i32_i8_e32 v170, v120, v158
	;; [unrolled: 2-line block ×4, first 2 shown]
	v_add_u32_e32 v152, 0x6198, v117
	ds_read2_b32 v[152:153], v152 offset1:1
	v_dot4c_i32_i8_e32 v168, v127, v162
	v_dot4c_i32_i8_e32 v170, v121, v162
	v_dot4c_i32_i8_e32 v171, v125, v162
	v_dot4c_i32_i8_e32 v172, v131, v162
	v_dot4c_i32_i8_e32 v168, v134, v159
	v_dot4c_i32_i8_e32 v170, v128, v159
	v_dot4c_i32_i8_e32 v171, v132, v159
	s_waitcnt lgkmcnt(2)
	v_dot4c_i32_i8_e32 v172, v138, v159
	v_dot4c_i32_i8_e32 v168, v135, v163
	v_dot4c_i32_i8_e32 v170, v129, v163
	v_dot4c_i32_i8_e32 v171, v133, v163
	v_dot4c_i32_i8_e32 v172, v139, v163
	v_dot4c_i32_i8_e32 v168, v140, v160
	v_dot4c_i32_i8_e32 v170, v136, v160
	v_dot4c_i32_i8_e32 v171, v142, v160
	s_waitcnt lgkmcnt(1)
	v_dot4c_i32_i8_e32 v172, v148, v160
	;; [unrolled: 9-line block ×3, first 2 shown]
	v_dot4c_i32_i8_e32 v168, v145, v165
	v_dot4c_i32_i8_e32 v170, v147, v165
	;; [unrolled: 1-line block ×4, first 2 shown]
	ds_read_b128 v[158:161], v115 offset:1024
	ds_read_b128 v[162:165], v115 offset:1040
	v_mov_b32_e32 v169, 0
	v_cvt_f32_i32_e32 v168, v168
	v_pk_mul_f32 v[166:167], v[118:119], v[154:155] op_sel_hi:[0,1]
	s_waitcnt lgkmcnt(1)
	v_dot4c_i32_i8_e32 v169, v126, v158
	s_waitcnt lgkmcnt(0)
	v_dot4c_i32_i8_e32 v169, v127, v162
	v_dot4c_i32_i8_e32 v169, v134, v159
	;; [unrolled: 1-line block ×7, first 2 shown]
	s_add_i32 s4, s4, 4
	v_add_u32_e32 v157, 4, v157
	v_add_u32_e32 v156, 4, v156
	v_cvt_f32_i32_e32 v169, v169
	s_cmp_lt_u32 s4, 28
	v_pk_fma_f32 v[76:77], v[166:167], v[168:169], v[76:77]
	v_mov_b32_e32 v168, 0
	v_dot4c_i32_i8_e32 v168, v120, v158
	v_dot4c_i32_i8_e32 v168, v121, v162
	;; [unrolled: 1-line block ×8, first 2 shown]
	v_pk_mul_f32 v[166:167], v[114:115], v[154:155] op_sel_hi:[0,1]
	s_nop 1
	v_cvt_f32_i32_e32 v169, v168
	v_cvt_f32_i32_e32 v168, v170
	v_mov_b32_e32 v170, 0
	v_pk_fma_f32 v[64:65], v[166:167], v[168:169], v[64:65]
	v_mov_b32_e32 v168, 0
	v_dot4c_i32_i8_e32 v168, v124, v158
	v_dot4c_i32_i8_e32 v168, v125, v162
	;; [unrolled: 1-line block ×8, first 2 shown]
	v_pk_mul_f32 v[166:167], v[116:117], v[154:155] op_sel_hi:[0,1]
	v_pk_mul_f32 v[154:155], v[122:123], v[154:155] op_sel_hi:[0,1]
	s_nop 0
	v_cvt_f32_i32_e32 v169, v168
	v_cvt_f32_i32_e32 v168, v171
	v_mov_b32_e32 v171, 0
	v_pk_fma_f32 v[44:45], v[166:167], v[168:169], v[44:45]
	v_mov_b32_e32 v166, 0
	v_dot4c_i32_i8_e32 v166, v130, v158
	v_dot4c_i32_i8_e32 v166, v131, v162
	;; [unrolled: 1-line block ×8, first 2 shown]
	v_cvt_f32_i32_e32 v158, v172
	v_mov_b32_e32 v168, 0
	v_mov_b32_e32 v172, 0
	v_cvt_f32_i32_e32 v159, v166
	v_mov_b32_e32 v169, 0
	v_pk_fma_f32 v[26:27], v[154:155], v[158:159], v[26:27]
	ds_read_b128 v[158:161], v115 offset:2048
	ds_read_b128 v[162:165], v115 offset:2064
	ds_read2_b32 v[154:155], v113 offset0:64 offset1:96
	s_waitcnt lgkmcnt(2)
	v_dot4c_i32_i8_e32 v168, v126, v158
	v_dot4c_i32_i8_e32 v170, v120, v158
	v_dot4c_i32_i8_e32 v171, v124, v158
	v_dot4c_i32_i8_e32 v172, v130, v158
	s_waitcnt lgkmcnt(1)
	v_dot4c_i32_i8_e32 v168, v127, v162
	v_dot4c_i32_i8_e32 v170, v121, v162
	;; [unrolled: 1-line block ×28, first 2 shown]
	ds_read_b128 v[158:161], v115 offset:3072
	ds_read_b128 v[162:165], v115 offset:3088
	v_cvt_f32_i32_e32 v168, v168
	s_waitcnt lgkmcnt(2)
	v_pk_mul_f32 v[166:167], v[118:119], v[154:155] op_sel_hi:[0,1]
	s_waitcnt lgkmcnt(1)
	v_dot4c_i32_i8_e32 v169, v126, v158
	s_waitcnt lgkmcnt(0)
	v_dot4c_i32_i8_e32 v169, v127, v162
	v_dot4c_i32_i8_e32 v169, v134, v159
	;; [unrolled: 1-line block ×7, first 2 shown]
	s_nop 2
	v_cvt_f32_i32_e32 v169, v169
	v_pk_fma_f32 v[24:25], v[166:167], v[168:169], v[24:25]
	v_mov_b32_e32 v168, 0
	v_dot4c_i32_i8_e32 v168, v120, v158
	v_dot4c_i32_i8_e32 v168, v121, v162
	;; [unrolled: 1-line block ×8, first 2 shown]
	v_pk_mul_f32 v[166:167], v[114:115], v[154:155] op_sel_hi:[0,1]
	s_nop 1
	v_cvt_f32_i32_e32 v169, v168
	v_cvt_f32_i32_e32 v168, v170
	v_mov_b32_e32 v170, 0
	v_pk_fma_f32 v[22:23], v[166:167], v[168:169], v[22:23]
	v_mov_b32_e32 v168, 0
	v_dot4c_i32_i8_e32 v168, v124, v158
	v_dot4c_i32_i8_e32 v168, v125, v162
	;; [unrolled: 1-line block ×8, first 2 shown]
	v_pk_mul_f32 v[166:167], v[116:117], v[154:155] op_sel_hi:[0,1]
	v_pk_mul_f32 v[154:155], v[122:123], v[154:155] op_sel_hi:[0,1]
	s_nop 0
	v_cvt_f32_i32_e32 v169, v168
	v_cvt_f32_i32_e32 v168, v171
	v_mov_b32_e32 v171, 0
	v_pk_fma_f32 v[20:21], v[166:167], v[168:169], v[20:21]
	v_mov_b32_e32 v166, 0
	v_dot4c_i32_i8_e32 v166, v130, v158
	v_dot4c_i32_i8_e32 v166, v131, v162
	;; [unrolled: 1-line block ×8, first 2 shown]
	v_cvt_f32_i32_e32 v158, v172
	v_mov_b32_e32 v168, 0
	v_mov_b32_e32 v172, 0
	v_cvt_f32_i32_e32 v159, v166
	v_mov_b32_e32 v169, 0
	v_pk_fma_f32 v[18:19], v[154:155], v[158:159], v[18:19]
	ds_read_b128 v[158:161], v115 offset:4096
	ds_read_b128 v[162:165], v115 offset:4112
	ds_read2_b32 v[154:155], v113 offset0:128 offset1:160
	s_waitcnt lgkmcnt(2)
	v_dot4c_i32_i8_e32 v168, v126, v158
	v_dot4c_i32_i8_e32 v170, v120, v158
	;; [unrolled: 1-line block ×4, first 2 shown]
	s_waitcnt lgkmcnt(1)
	v_dot4c_i32_i8_e32 v168, v127, v162
	v_dot4c_i32_i8_e32 v170, v121, v162
	;; [unrolled: 1-line block ×28, first 2 shown]
	ds_read_b128 v[158:161], v115 offset:5120
	ds_read_b128 v[162:165], v115 offset:5136
	v_cvt_f32_i32_e32 v168, v168
	s_waitcnt lgkmcnt(2)
	v_pk_mul_f32 v[166:167], v[118:119], v[154:155] op_sel_hi:[0,1]
	s_waitcnt lgkmcnt(1)
	v_dot4c_i32_i8_e32 v169, v126, v158
	s_waitcnt lgkmcnt(0)
	v_dot4c_i32_i8_e32 v169, v127, v162
	v_dot4c_i32_i8_e32 v169, v134, v159
	;; [unrolled: 1-line block ×7, first 2 shown]
	s_nop 2
	v_cvt_f32_i32_e32 v169, v169
	v_pk_fma_f32 v[16:17], v[166:167], v[168:169], v[16:17]
	v_mov_b32_e32 v168, 0
	v_dot4c_i32_i8_e32 v168, v120, v158
	v_dot4c_i32_i8_e32 v168, v121, v162
	;; [unrolled: 1-line block ×8, first 2 shown]
	v_pk_mul_f32 v[166:167], v[114:115], v[154:155] op_sel_hi:[0,1]
	s_nop 1
	v_cvt_f32_i32_e32 v169, v168
	v_cvt_f32_i32_e32 v168, v170
	v_mov_b32_e32 v170, 0
	v_pk_fma_f32 v[14:15], v[166:167], v[168:169], v[14:15]
	v_mov_b32_e32 v168, 0
	v_dot4c_i32_i8_e32 v168, v124, v158
	v_dot4c_i32_i8_e32 v168, v125, v162
	v_dot4c_i32_i8_e32 v168, v132, v159
	v_dot4c_i32_i8_e32 v168, v133, v163
	v_dot4c_i32_i8_e32 v168, v142, v160
	v_dot4c_i32_i8_e32 v168, v143, v164
	v_dot4c_i32_i8_e32 v168, v150, v161
	v_dot4c_i32_i8_e32 v168, v151, v165
	v_pk_mul_f32 v[166:167], v[116:117], v[154:155] op_sel_hi:[0,1]
	v_pk_mul_f32 v[154:155], v[122:123], v[154:155] op_sel_hi:[0,1]
	s_nop 0
	v_cvt_f32_i32_e32 v169, v168
	v_cvt_f32_i32_e32 v168, v171
	v_pk_fma_f32 v[12:13], v[166:167], v[168:169], v[12:13]
	v_mov_b32_e32 v166, 0
	v_dot4c_i32_i8_e32 v166, v130, v158
	v_dot4c_i32_i8_e32 v166, v131, v162
	;; [unrolled: 1-line block ×8, first 2 shown]
	v_cvt_f32_i32_e32 v158, v172
	v_mov_b32_e32 v167, 0
	v_mov_b32_e32 v168, 0
	v_cvt_f32_i32_e32 v159, v166
	v_mov_b32_e32 v166, 0
	v_mov_b32_e32 v169, 0
	v_pk_fma_f32 v[10:11], v[154:155], v[158:159], v[10:11]
	ds_read_b128 v[158:161], v115 offset:6144
	ds_read_b128 v[162:165], v115 offset:6160
	ds_read2_b32 v[154:155], v113 offset0:192 offset1:224
	v_add_u32_e32 v113, 4, v113
	s_waitcnt lgkmcnt(2)
	v_dot4c_i32_i8_e32 v166, v126, v158
	v_dot4c_i32_i8_e32 v167, v120, v158
	;; [unrolled: 1-line block ×4, first 2 shown]
	s_waitcnt lgkmcnt(1)
	v_dot4c_i32_i8_e32 v166, v127, v162
	v_dot4c_i32_i8_e32 v167, v121, v162
	;; [unrolled: 1-line block ×28, first 2 shown]
	ds_read_b128 v[158:161], v115 offset:7168
	ds_read_b128 v[162:165], v115 offset:7184
	s_waitcnt lgkmcnt(1)
	v_dot4c_i32_i8_e32 v170, v126, v158
	s_waitcnt lgkmcnt(0)
	v_dot4c_i32_i8_e32 v170, v127, v162
	v_pk_mul_f32 v[126:127], v[118:119], v[154:155] op_sel_hi:[0,1]
	v_mov_b32_e32 v118, 0
	v_dot4c_i32_i8_e32 v118, v120, v158
	v_dot4c_i32_i8_e32 v118, v121, v162
	v_pk_mul_f32 v[120:121], v[114:115], v[154:155] op_sel_hi:[0,1]
	v_mov_b32_e32 v114, 0
	v_dot4c_i32_i8_e32 v114, v124, v158
	v_dot4c_i32_i8_e32 v114, v125, v162
	;; [unrolled: 1-line block ×16, first 2 shown]
	v_cvt_f32_i32_e32 v134, v166
	v_cvt_f32_i32_e32 v135, v170
	v_dot4c_i32_i8_e32 v118, v136, v160
	v_cvt_f32_i32_e32 v125, v114
	v_mov_b32_e32 v114, 0
	v_dot4c_i32_i8_e32 v118, v137, v164
	v_dot4c_i32_i8_e32 v114, v130, v158
	;; [unrolled: 1-line block ×6, first 2 shown]
	v_pk_fma_f32 v[8:9], v[126:127], v[134:135], v[8:9]
	v_cvt_f32_i32_e32 v126, v167
	v_cvt_f32_i32_e32 v127, v118
	v_dot4c_i32_i8_e32 v114, v139, v163
	v_cvt_f32_i32_e32 v124, v168
	v_dot4c_i32_i8_e32 v114, v148, v160
	v_dot4c_i32_i8_e32 v114, v149, v164
	;; [unrolled: 1-line block ×3, first 2 shown]
	v_pk_fma_f32 v[6:7], v[120:121], v[126:127], v[6:7]
	v_pk_mul_f32 v[120:121], v[116:117], v[154:155] op_sel_hi:[0,1]
	v_dot4c_i32_i8_e32 v114, v153, v165
	v_pk_fma_f32 v[4:5], v[120:121], v[124:125], v[4:5]
	v_cvt_f32_i32_e32 v124, v169
	v_pk_mul_f32 v[120:121], v[122:123], v[154:155] op_sel_hi:[0,1]
	v_cvt_f32_i32_e32 v125, v114
	v_add_u32_e32 v123, 4, v123
	v_add_u32_e32 v119, 4, v119
	;; [unrolled: 1-line block ×3, first 2 shown]
	v_pk_fma_f32 v[2:3], v[120:121], v[124:125], v[2:3]
	v_add_u32_e32 v115, 32, v115
	s_cbranch_scc1 .LBB142_10
; %bb.11:                               ;   in Loop: Header=BB142_6 Depth=1
	s_barrier
	s_branch .LBB142_5
.LBB142_12:
	v_mov_b32_e32 v28, v29
.LBB142_13:
	v_cmp_gt_u32_e32 vcc, s10, v31
	s_and_saveexec_b64 s[0:1], vcc
	s_cbranch_execz .LBB142_64
; %bb.14:
	v_add_u32_e32 v0, s6, v1
	v_mul_lo_u32 v31, v31, s14
	v_cmp_gt_u32_e32 vcc, s14, v0
	s_and_saveexec_b64 s[2:3], vcc
	s_cbranch_execz .LBB142_16
; %bb.15:
	v_add_u32_e32 v32, v0, v31
	v_mov_b32_e32 v33, 0
	v_cvt_f16_f32_e32 v29, v76
	v_lshlrev_b64 v[32:33], 1, v[32:33]
	s_waitcnt lgkmcnt(0)
	v_mov_b32_e32 v1, s13
	v_add_co_u32_e64 v32, s[0:1], s12, v32
	v_addc_co_u32_e64 v33, s[0:1], v1, v33, s[0:1]
	global_store_short v[32:33], v29, off
.LBB142_16:
	s_or_b64 exec, exec, s[2:3]
	v_add_u32_e32 v1, 32, v0
	v_cmp_gt_u32_e64 s[0:1], s14, v1
	s_and_saveexec_b64 s[4:5], s[0:1]
	s_cbranch_execz .LBB142_18
; %bb.17:
	v_add_u32_e32 v32, v1, v31
	v_mov_b32_e32 v33, 0
	v_cvt_f16_f32_e32 v30, v64
	v_lshlrev_b64 v[32:33], 1, v[32:33]
	s_waitcnt lgkmcnt(0)
	v_mov_b32_e32 v29, s13
	v_add_co_u32_e64 v32, s[2:3], s12, v32
	v_addc_co_u32_e64 v33, s[2:3], v29, v33, s[2:3]
	global_store_short v[32:33], v30, off
.LBB142_18:
	s_or_b64 exec, exec, s[4:5]
	v_add_u32_e32 v29, 64, v0
	v_cmp_gt_u32_e64 s[2:3], s14, v29
	s_and_saveexec_b64 s[6:7], s[2:3]
	s_cbranch_execz .LBB142_20
; %bb.19:
	v_add_u32_e32 v32, v29, v31
	v_mov_b32_e32 v33, 0
	v_cvt_f16_f32_e32 v34, v44
	v_lshlrev_b64 v[32:33], 1, v[32:33]
	s_waitcnt lgkmcnt(0)
	v_mov_b32_e32 v30, s13
	v_add_co_u32_e64 v32, s[4:5], s12, v32
	v_addc_co_u32_e64 v33, s[4:5], v30, v33, s[4:5]
	global_store_short v[32:33], v34, off
.LBB142_20:
	s_or_b64 exec, exec, s[6:7]
	v_add_u32_e32 v30, 0x60, v0
	v_cmp_gt_u32_e64 s[4:5], s14, v30
	s_and_saveexec_b64 s[8:9], s[4:5]
	s_cbranch_execz .LBB142_22
; %bb.21:
	v_add_u32_e32 v32, v30, v31
	v_mov_b32_e32 v33, 0
	v_cvt_f16_f32_e32 v26, v26
	v_lshlrev_b64 v[32:33], 1, v[32:33]
	s_waitcnt lgkmcnt(0)
	v_mov_b32_e32 v31, s13
	v_add_co_u32_e64 v32, s[6:7], s12, v32
	v_addc_co_u32_e64 v33, s[6:7], v31, v33, s[6:7]
	global_store_short v[32:33], v26, off
.LBB142_22:
	s_or_b64 exec, exec, s[8:9]
	v_add3_u32 v26, v28, s15, 8
	v_cmp_gt_u32_e64 s[6:7], s10, v26
	s_and_b64 exec, exec, s[6:7]
	s_cbranch_execz .LBB142_64
; %bb.23:
	v_mul_lo_u32 v26, v26, s14
	s_and_saveexec_b64 s[8:9], vcc
	s_cbranch_execnz .LBB142_65
; %bb.24:
	s_or_b64 exec, exec, s[8:9]
	s_and_saveexec_b64 s[8:9], s[0:1]
	s_cbranch_execnz .LBB142_66
.LBB142_25:
	s_or_b64 exec, exec, s[8:9]
	s_and_saveexec_b64 s[8:9], s[2:3]
	s_cbranch_execnz .LBB142_67
.LBB142_26:
	s_or_b64 exec, exec, s[8:9]
	s_and_saveexec_b64 s[8:9], s[4:5]
	s_cbranch_execz .LBB142_28
.LBB142_27:
	v_add_u32_e32 v32, v26, v30
	v_mov_b32_e32 v33, 0
	v_cvt_f16_f32_e32 v34, v27
	v_lshlrev_b64 v[32:33], 1, v[32:33]
	s_waitcnt lgkmcnt(0)
	v_mov_b32_e32 v31, s13
	v_add_co_u32_e64 v26, s[6:7], s12, v32
	v_addc_co_u32_e64 v27, s[6:7], v31, v33, s[6:7]
	global_store_short v[26:27], v34, off
.LBB142_28:
	s_or_b64 exec, exec, s[8:9]
	v_add3_u32 v26, v28, s15, 16
	v_cmp_gt_u32_e64 s[6:7], s10, v26
	s_and_b64 exec, exec, s[6:7]
	s_cbranch_execz .LBB142_64
; %bb.29:
	v_mul_lo_u32 v26, v26, s14
	s_and_saveexec_b64 s[8:9], vcc
	s_cbranch_execnz .LBB142_68
; %bb.30:
	s_or_b64 exec, exec, s[8:9]
	s_and_saveexec_b64 s[8:9], s[0:1]
	s_cbranch_execnz .LBB142_69
.LBB142_31:
	s_or_b64 exec, exec, s[8:9]
	s_and_saveexec_b64 s[8:9], s[2:3]
	s_cbranch_execnz .LBB142_70
.LBB142_32:
	s_or_b64 exec, exec, s[8:9]
	s_and_saveexec_b64 s[8:9], s[4:5]
	s_cbranch_execz .LBB142_34
.LBB142_33:
	v_add_u32_e32 v26, v26, v30
	v_mov_b32_e32 v27, 0
	v_cvt_f16_f32_e32 v18, v18
	v_lshlrev_b64 v[26:27], 1, v[26:27]
	s_waitcnt lgkmcnt(0)
	v_mov_b32_e32 v20, s13
	v_add_co_u32_e64 v26, s[6:7], s12, v26
	v_addc_co_u32_e64 v27, s[6:7], v20, v27, s[6:7]
	global_store_short v[26:27], v18, off
.LBB142_34:
	s_or_b64 exec, exec, s[8:9]
	v_add3_u32 v18, v28, s15, 24
	v_cmp_gt_u32_e64 s[6:7], s10, v18
	s_and_b64 exec, exec, s[6:7]
	s_cbranch_execz .LBB142_64
; %bb.35:
	v_mul_lo_u32 v18, v18, s14
	s_and_saveexec_b64 s[8:9], vcc
	s_cbranch_execnz .LBB142_71
; %bb.36:
	s_or_b64 exec, exec, s[8:9]
	s_and_saveexec_b64 s[8:9], s[0:1]
	s_cbranch_execnz .LBB142_72
.LBB142_37:
	s_or_b64 exec, exec, s[8:9]
	s_and_saveexec_b64 s[8:9], s[2:3]
	s_cbranch_execnz .LBB142_73
.LBB142_38:
	s_or_b64 exec, exec, s[8:9]
	s_and_saveexec_b64 s[8:9], s[4:5]
	s_cbranch_execz .LBB142_40
.LBB142_39:
	v_add_u32_e32 v20, v18, v30
	v_mov_b32_e32 v21, 0
	v_cvt_f16_f32_e32 v23, v19
	v_lshlrev_b64 v[20:21], 1, v[20:21]
	s_waitcnt lgkmcnt(0)
	v_mov_b32_e32 v22, s13
	v_add_co_u32_e64 v18, s[6:7], s12, v20
	v_addc_co_u32_e64 v19, s[6:7], v22, v21, s[6:7]
	global_store_short v[18:19], v23, off
.LBB142_40:
	s_or_b64 exec, exec, s[8:9]
	v_add3_u32 v18, v28, s15, 32
	v_cmp_gt_u32_e64 s[6:7], s10, v18
	s_and_b64 exec, exec, s[6:7]
	s_cbranch_execz .LBB142_64
; %bb.41:
	v_mul_lo_u32 v18, v18, s14
	s_and_saveexec_b64 s[8:9], vcc
	s_cbranch_execnz .LBB142_74
; %bb.42:
	s_or_b64 exec, exec, s[8:9]
	s_and_saveexec_b64 s[8:9], s[0:1]
	s_cbranch_execnz .LBB142_75
.LBB142_43:
	s_or_b64 exec, exec, s[8:9]
	s_and_saveexec_b64 s[8:9], s[2:3]
	s_cbranch_execnz .LBB142_76
.LBB142_44:
	s_or_b64 exec, exec, s[8:9]
	s_and_saveexec_b64 s[8:9], s[4:5]
	s_cbranch_execz .LBB142_46
.LBB142_45:
	v_add_u32_e32 v18, v18, v30
	v_mov_b32_e32 v19, 0
	v_cvt_f16_f32_e32 v10, v10
	v_lshlrev_b64 v[18:19], 1, v[18:19]
	s_waitcnt lgkmcnt(0)
	v_mov_b32_e32 v12, s13
	v_add_co_u32_e64 v18, s[6:7], s12, v18
	v_addc_co_u32_e64 v19, s[6:7], v12, v19, s[6:7]
	global_store_short v[18:19], v10, off
.LBB142_46:
	s_or_b64 exec, exec, s[8:9]
	v_add3_u32 v10, v28, s15, 40
	v_cmp_gt_u32_e64 s[6:7], s10, v10
	s_and_b64 exec, exec, s[6:7]
	s_cbranch_execz .LBB142_64
; %bb.47:
	v_mul_lo_u32 v10, v10, s14
	s_and_saveexec_b64 s[8:9], vcc
	s_cbranch_execnz .LBB142_77
; %bb.48:
	s_or_b64 exec, exec, s[8:9]
	s_and_saveexec_b64 s[8:9], s[0:1]
	s_cbranch_execnz .LBB142_78
.LBB142_49:
	s_or_b64 exec, exec, s[8:9]
	s_and_saveexec_b64 s[8:9], s[2:3]
	s_cbranch_execnz .LBB142_79
.LBB142_50:
	s_or_b64 exec, exec, s[8:9]
	s_and_saveexec_b64 s[8:9], s[4:5]
	s_cbranch_execz .LBB142_52
.LBB142_51:
	v_add_u32_e32 v12, v10, v30
	v_mov_b32_e32 v13, 0
	v_cvt_f16_f32_e32 v15, v11
	v_lshlrev_b64 v[12:13], 1, v[12:13]
	s_waitcnt lgkmcnt(0)
	v_mov_b32_e32 v14, s13
	v_add_co_u32_e64 v10, s[6:7], s12, v12
	v_addc_co_u32_e64 v11, s[6:7], v14, v13, s[6:7]
	global_store_short v[10:11], v15, off
.LBB142_52:
	s_or_b64 exec, exec, s[8:9]
	v_add3_u32 v10, v28, s15, 48
	v_cmp_gt_u32_e64 s[6:7], s10, v10
	s_and_b64 exec, exec, s[6:7]
	s_cbranch_execz .LBB142_64
; %bb.53:
	v_mul_lo_u32 v10, v10, s14
	s_and_saveexec_b64 s[8:9], vcc
	s_cbranch_execnz .LBB142_80
; %bb.54:
	s_or_b64 exec, exec, s[8:9]
	s_and_saveexec_b64 s[8:9], s[0:1]
	s_cbranch_execnz .LBB142_81
.LBB142_55:
	s_or_b64 exec, exec, s[8:9]
	s_and_saveexec_b64 s[8:9], s[2:3]
	s_cbranch_execnz .LBB142_82
.LBB142_56:
	s_or_b64 exec, exec, s[8:9]
	s_and_saveexec_b64 s[8:9], s[4:5]
	s_cbranch_execz .LBB142_58
.LBB142_57:
	v_add_u32_e32 v10, v10, v30
	v_mov_b32_e32 v11, 0
	v_cvt_f16_f32_e32 v2, v2
	v_lshlrev_b64 v[10:11], 1, v[10:11]
	s_waitcnt lgkmcnt(0)
	v_mov_b32_e32 v4, s13
	v_add_co_u32_e64 v10, s[6:7], s12, v10
	v_addc_co_u32_e64 v11, s[6:7], v4, v11, s[6:7]
	global_store_short v[10:11], v2, off
.LBB142_58:
	s_or_b64 exec, exec, s[8:9]
	v_add3_u32 v2, v28, s15, 56
	v_cmp_gt_u32_e64 s[6:7], s10, v2
	s_and_b64 exec, exec, s[6:7]
	s_cbranch_execz .LBB142_64
; %bb.59:
	v_mul_lo_u32 v2, v2, s14
	s_and_saveexec_b64 s[6:7], vcc
	s_cbranch_execnz .LBB142_83
; %bb.60:
	s_or_b64 exec, exec, s[6:7]
	s_and_saveexec_b64 s[6:7], s[0:1]
	s_cbranch_execnz .LBB142_84
.LBB142_61:
	s_or_b64 exec, exec, s[6:7]
	s_and_saveexec_b64 s[0:1], s[2:3]
	s_cbranch_execnz .LBB142_85
.LBB142_62:
	s_or_b64 exec, exec, s[0:1]
	s_and_b64 exec, exec, s[4:5]
	s_cbranch_execz .LBB142_64
.LBB142_63:
	v_add_u32_e32 v0, v2, v30
	v_mov_b32_e32 v1, 0
	v_cvt_f16_f32_e32 v3, v3
	v_lshlrev_b64 v[0:1], 1, v[0:1]
	s_waitcnt lgkmcnt(0)
	v_mov_b32_e32 v2, s13
	v_add_co_u32_e32 v0, vcc, s12, v0
	v_addc_co_u32_e32 v1, vcc, v2, v1, vcc
	global_store_short v[0:1], v3, off
.LBB142_64:
	s_endpgm
.LBB142_65:
	v_add_u32_e32 v32, v26, v0
	v_mov_b32_e32 v33, 0
	v_cvt_f16_f32_e32 v34, v77
	v_lshlrev_b64 v[32:33], 1, v[32:33]
	s_waitcnt lgkmcnt(0)
	v_mov_b32_e32 v31, s13
	v_add_co_u32_e64 v32, s[6:7], s12, v32
	v_addc_co_u32_e64 v33, s[6:7], v31, v33, s[6:7]
	global_store_short v[32:33], v34, off
	s_or_b64 exec, exec, s[8:9]
	s_and_saveexec_b64 s[8:9], s[0:1]
	s_cbranch_execz .LBB142_25
.LBB142_66:
	v_add_u32_e32 v32, v26, v1
	v_mov_b32_e32 v33, 0
	v_cvt_f16_f32_e32 v34, v65
	v_lshlrev_b64 v[32:33], 1, v[32:33]
	s_waitcnt lgkmcnt(0)
	v_mov_b32_e32 v31, s13
	v_add_co_u32_e64 v32, s[6:7], s12, v32
	v_addc_co_u32_e64 v33, s[6:7], v31, v33, s[6:7]
	global_store_short v[32:33], v34, off
	s_or_b64 exec, exec, s[8:9]
	s_and_saveexec_b64 s[8:9], s[2:3]
	s_cbranch_execz .LBB142_26
.LBB142_67:
	v_add_u32_e32 v32, v26, v29
	v_mov_b32_e32 v33, 0
	v_cvt_f16_f32_e32 v34, v45
	v_lshlrev_b64 v[32:33], 1, v[32:33]
	s_waitcnt lgkmcnt(0)
	v_mov_b32_e32 v31, s13
	v_add_co_u32_e64 v32, s[6:7], s12, v32
	v_addc_co_u32_e64 v33, s[6:7], v31, v33, s[6:7]
	global_store_short v[32:33], v34, off
	s_or_b64 exec, exec, s[8:9]
	s_and_saveexec_b64 s[8:9], s[4:5]
	s_cbranch_execnz .LBB142_27
	s_branch .LBB142_28
.LBB142_68:
	v_add_u32_e32 v32, v26, v0
	v_mov_b32_e32 v33, 0
	v_cvt_f16_f32_e32 v24, v24
	v_lshlrev_b64 v[32:33], 1, v[32:33]
	s_waitcnt lgkmcnt(0)
	v_mov_b32_e32 v27, s13
	v_add_co_u32_e64 v32, s[6:7], s12, v32
	v_addc_co_u32_e64 v33, s[6:7], v27, v33, s[6:7]
	global_store_short v[32:33], v24, off
	s_or_b64 exec, exec, s[8:9]
	s_and_saveexec_b64 s[8:9], s[0:1]
	s_cbranch_execz .LBB142_31
.LBB142_69:
	v_add_u32_e32 v32, v26, v1
	v_mov_b32_e32 v33, 0
	v_cvt_f16_f32_e32 v22, v22
	v_lshlrev_b64 v[32:33], 1, v[32:33]
	s_waitcnt lgkmcnt(0)
	v_mov_b32_e32 v24, s13
	v_add_co_u32_e64 v32, s[6:7], s12, v32
	v_addc_co_u32_e64 v33, s[6:7], v24, v33, s[6:7]
	global_store_short v[32:33], v22, off
	s_or_b64 exec, exec, s[8:9]
	s_and_saveexec_b64 s[8:9], s[2:3]
	s_cbranch_execz .LBB142_32
.LBB142_70:
	v_add_u32_e32 v32, v26, v29
	v_mov_b32_e32 v33, 0
	v_cvt_f16_f32_e32 v20, v20
	v_lshlrev_b64 v[32:33], 1, v[32:33]
	s_waitcnt lgkmcnt(0)
	v_mov_b32_e32 v22, s13
	v_add_co_u32_e64 v32, s[6:7], s12, v32
	v_addc_co_u32_e64 v33, s[6:7], v22, v33, s[6:7]
	global_store_short v[32:33], v20, off
	s_or_b64 exec, exec, s[8:9]
	s_and_saveexec_b64 s[8:9], s[4:5]
	s_cbranch_execnz .LBB142_33
	s_branch .LBB142_34
.LBB142_71:
	v_add_u32_e32 v26, v18, v0
	v_mov_b32_e32 v27, 0
	v_cvt_f16_f32_e32 v22, v25
	v_lshlrev_b64 v[26:27], 1, v[26:27]
	s_waitcnt lgkmcnt(0)
	v_mov_b32_e32 v20, s13
	v_add_co_u32_e64 v24, s[6:7], s12, v26
	v_addc_co_u32_e64 v25, s[6:7], v20, v27, s[6:7]
	global_store_short v[24:25], v22, off
	s_or_b64 exec, exec, s[8:9]
	s_and_saveexec_b64 s[8:9], s[0:1]
	s_cbranch_execz .LBB142_37
.LBB142_72:
	v_add_u32_e32 v24, v18, v1
	v_mov_b32_e32 v25, 0
	v_cvt_f16_f32_e32 v26, v23
	v_lshlrev_b64 v[24:25], 1, v[24:25]
	s_waitcnt lgkmcnt(0)
	v_mov_b32_e32 v20, s13
	v_add_co_u32_e64 v22, s[6:7], s12, v24
	v_addc_co_u32_e64 v23, s[6:7], v20, v25, s[6:7]
	global_store_short v[22:23], v26, off
	s_or_b64 exec, exec, s[8:9]
	s_and_saveexec_b64 s[8:9], s[2:3]
	s_cbranch_execz .LBB142_38
.LBB142_73:
	v_add_u32_e32 v22, v18, v29
	v_mov_b32_e32 v23, 0
	v_cvt_f16_f32_e32 v25, v21
	v_lshlrev_b64 v[22:23], 1, v[22:23]
	s_waitcnt lgkmcnt(0)
	v_mov_b32_e32 v24, s13
	v_add_co_u32_e64 v20, s[6:7], s12, v22
	v_addc_co_u32_e64 v21, s[6:7], v24, v23, s[6:7]
	global_store_short v[20:21], v25, off
	s_or_b64 exec, exec, s[8:9]
	s_and_saveexec_b64 s[8:9], s[4:5]
	s_cbranch_execnz .LBB142_39
	s_branch .LBB142_40
.LBB142_74:
	v_add_u32_e32 v20, v18, v0
	v_mov_b32_e32 v21, 0
	v_cvt_f16_f32_e32 v16, v16
	v_lshlrev_b64 v[20:21], 1, v[20:21]
	s_waitcnt lgkmcnt(0)
	v_mov_b32_e32 v19, s13
	v_add_co_u32_e64 v20, s[6:7], s12, v20
	v_addc_co_u32_e64 v21, s[6:7], v19, v21, s[6:7]
	global_store_short v[20:21], v16, off
	s_or_b64 exec, exec, s[8:9]
	s_and_saveexec_b64 s[8:9], s[0:1]
	s_cbranch_execz .LBB142_43
.LBB142_75:
	v_add_u32_e32 v20, v18, v1
	v_mov_b32_e32 v21, 0
	v_cvt_f16_f32_e32 v14, v14
	v_lshlrev_b64 v[20:21], 1, v[20:21]
	s_waitcnt lgkmcnt(0)
	v_mov_b32_e32 v16, s13
	v_add_co_u32_e64 v20, s[6:7], s12, v20
	v_addc_co_u32_e64 v21, s[6:7], v16, v21, s[6:7]
	global_store_short v[20:21], v14, off
	s_or_b64 exec, exec, s[8:9]
	s_and_saveexec_b64 s[8:9], s[2:3]
	s_cbranch_execz .LBB142_44
.LBB142_76:
	v_add_u32_e32 v20, v18, v29
	v_mov_b32_e32 v21, 0
	v_cvt_f16_f32_e32 v12, v12
	v_lshlrev_b64 v[20:21], 1, v[20:21]
	s_waitcnt lgkmcnt(0)
	v_mov_b32_e32 v14, s13
	v_add_co_u32_e64 v20, s[6:7], s12, v20
	v_addc_co_u32_e64 v21, s[6:7], v14, v21, s[6:7]
	global_store_short v[20:21], v12, off
	s_or_b64 exec, exec, s[8:9]
	s_and_saveexec_b64 s[8:9], s[4:5]
	s_cbranch_execnz .LBB142_45
	s_branch .LBB142_46
.LBB142_77:
	v_add_u32_e32 v18, v10, v0
	v_mov_b32_e32 v19, 0
	v_cvt_f16_f32_e32 v14, v17
	v_lshlrev_b64 v[18:19], 1, v[18:19]
	s_waitcnt lgkmcnt(0)
	v_mov_b32_e32 v12, s13
	v_add_co_u32_e64 v16, s[6:7], s12, v18
	v_addc_co_u32_e64 v17, s[6:7], v12, v19, s[6:7]
	global_store_short v[16:17], v14, off
	s_or_b64 exec, exec, s[8:9]
	s_and_saveexec_b64 s[8:9], s[0:1]
	s_cbranch_execz .LBB142_49
.LBB142_78:
	v_add_u32_e32 v16, v10, v1
	v_mov_b32_e32 v17, 0
	v_cvt_f16_f32_e32 v18, v15
	v_lshlrev_b64 v[16:17], 1, v[16:17]
	s_waitcnt lgkmcnt(0)
	v_mov_b32_e32 v12, s13
	v_add_co_u32_e64 v14, s[6:7], s12, v16
	v_addc_co_u32_e64 v15, s[6:7], v12, v17, s[6:7]
	global_store_short v[14:15], v18, off
	s_or_b64 exec, exec, s[8:9]
	s_and_saveexec_b64 s[8:9], s[2:3]
	s_cbranch_execz .LBB142_50
.LBB142_79:
	v_add_u32_e32 v14, v10, v29
	v_mov_b32_e32 v15, 0
	v_cvt_f16_f32_e32 v17, v13
	v_lshlrev_b64 v[14:15], 1, v[14:15]
	s_waitcnt lgkmcnt(0)
	v_mov_b32_e32 v16, s13
	v_add_co_u32_e64 v12, s[6:7], s12, v14
	v_addc_co_u32_e64 v13, s[6:7], v16, v15, s[6:7]
	global_store_short v[12:13], v17, off
	s_or_b64 exec, exec, s[8:9]
	s_and_saveexec_b64 s[8:9], s[4:5]
	s_cbranch_execnz .LBB142_51
	s_branch .LBB142_52
.LBB142_80:
	v_add_u32_e32 v12, v10, v0
	v_mov_b32_e32 v13, 0
	v_cvt_f16_f32_e32 v8, v8
	v_lshlrev_b64 v[12:13], 1, v[12:13]
	s_waitcnt lgkmcnt(0)
	v_mov_b32_e32 v11, s13
	v_add_co_u32_e64 v12, s[6:7], s12, v12
	v_addc_co_u32_e64 v13, s[6:7], v11, v13, s[6:7]
	global_store_short v[12:13], v8, off
	s_or_b64 exec, exec, s[8:9]
	s_and_saveexec_b64 s[8:9], s[0:1]
	s_cbranch_execz .LBB142_55
.LBB142_81:
	v_add_u32_e32 v12, v10, v1
	v_mov_b32_e32 v13, 0
	v_cvt_f16_f32_e32 v6, v6
	v_lshlrev_b64 v[12:13], 1, v[12:13]
	s_waitcnt lgkmcnt(0)
	v_mov_b32_e32 v8, s13
	v_add_co_u32_e64 v12, s[6:7], s12, v12
	v_addc_co_u32_e64 v13, s[6:7], v8, v13, s[6:7]
	global_store_short v[12:13], v6, off
	s_or_b64 exec, exec, s[8:9]
	s_and_saveexec_b64 s[8:9], s[2:3]
	s_cbranch_execz .LBB142_56
.LBB142_82:
	v_add_u32_e32 v12, v10, v29
	v_mov_b32_e32 v13, 0
	v_cvt_f16_f32_e32 v4, v4
	v_lshlrev_b64 v[12:13], 1, v[12:13]
	s_waitcnt lgkmcnt(0)
	v_mov_b32_e32 v6, s13
	v_add_co_u32_e64 v12, s[6:7], s12, v12
	v_addc_co_u32_e64 v13, s[6:7], v6, v13, s[6:7]
	global_store_short v[12:13], v4, off
	s_or_b64 exec, exec, s[8:9]
	s_and_saveexec_b64 s[8:9], s[4:5]
	s_cbranch_execnz .LBB142_57
	s_branch .LBB142_58
.LBB142_83:
	v_add_u32_e32 v10, v2, v0
	v_mov_b32_e32 v11, 0
	v_cvt_f16_f32_e32 v4, v9
	v_lshlrev_b64 v[10:11], 1, v[10:11]
	s_waitcnt lgkmcnt(0)
	v_mov_b32_e32 v0, s13
	v_add_co_u32_e32 v8, vcc, s12, v10
	v_addc_co_u32_e32 v9, vcc, v0, v11, vcc
	global_store_short v[8:9], v4, off
	s_or_b64 exec, exec, s[6:7]
	s_and_saveexec_b64 s[6:7], s[0:1]
	s_cbranch_execz .LBB142_61
.LBB142_84:
	v_add_u32_e32 v0, v2, v1
	v_mov_b32_e32 v1, 0
	v_cvt_f16_f32_e32 v6, v7
	v_lshlrev_b64 v[0:1], 1, v[0:1]
	s_waitcnt lgkmcnt(0)
	v_mov_b32_e32 v4, s13
	v_add_co_u32_e32 v0, vcc, s12, v0
	v_addc_co_u32_e32 v1, vcc, v4, v1, vcc
	global_store_short v[0:1], v6, off
	s_or_b64 exec, exec, s[6:7]
	s_and_saveexec_b64 s[0:1], s[2:3]
	s_cbranch_execz .LBB142_62
.LBB142_85:
	v_add_u32_e32 v0, v2, v29
	v_mov_b32_e32 v1, 0
	v_cvt_f16_f32_e32 v5, v5
	v_lshlrev_b64 v[0:1], 1, v[0:1]
	s_waitcnt lgkmcnt(0)
	v_mov_b32_e32 v4, s13
	v_add_co_u32_e32 v0, vcc, s12, v0
	v_addc_co_u32_e32 v1, vcc, v4, v1, vcc
	global_store_short v[0:1], v5, off
	s_or_b64 exec, exec, s[0:1]
	s_and_b64 exec, exec, s[4:5]
	s_cbranch_execnz .LBB142_63
	s_branch .LBB142_64
	.section	.rodata,"a",@progbits
	.p2align	6, 0x0
	.amdhsa_kernel _ZL12mul_mat_q5_0IN3c104HalfELb1EEvPKvS3_PT_iiiii
		.amdhsa_group_segment_fixed_size 46720
		.amdhsa_private_segment_fixed_size 0
		.amdhsa_kernarg_size 44
		.amdhsa_user_sgpr_count 6
		.amdhsa_user_sgpr_private_segment_buffer 1
		.amdhsa_user_sgpr_dispatch_ptr 0
		.amdhsa_user_sgpr_queue_ptr 0
		.amdhsa_user_sgpr_kernarg_segment_ptr 1
		.amdhsa_user_sgpr_dispatch_id 0
		.amdhsa_user_sgpr_flat_scratch_init 0
		.amdhsa_user_sgpr_kernarg_preload_length 0
		.amdhsa_user_sgpr_kernarg_preload_offset 0
		.amdhsa_user_sgpr_private_segment_size 0
		.amdhsa_uses_dynamic_stack 0
		.amdhsa_system_sgpr_private_segment_wavefront_offset 0
		.amdhsa_system_sgpr_workgroup_id_x 1
		.amdhsa_system_sgpr_workgroup_id_y 1
		.amdhsa_system_sgpr_workgroup_id_z 0
		.amdhsa_system_sgpr_workgroup_info 0
		.amdhsa_system_vgpr_workitem_id 1
		.amdhsa_next_free_vgpr 175
		.amdhsa_next_free_sgpr 20
		.amdhsa_accum_offset 176
		.amdhsa_reserve_vcc 1
		.amdhsa_reserve_flat_scratch 0
		.amdhsa_float_round_mode_32 0
		.amdhsa_float_round_mode_16_64 0
		.amdhsa_float_denorm_mode_32 3
		.amdhsa_float_denorm_mode_16_64 3
		.amdhsa_dx10_clamp 1
		.amdhsa_ieee_mode 1
		.amdhsa_fp16_overflow 0
		.amdhsa_tg_split 0
		.amdhsa_exception_fp_ieee_invalid_op 0
		.amdhsa_exception_fp_denorm_src 0
		.amdhsa_exception_fp_ieee_div_zero 0
		.amdhsa_exception_fp_ieee_overflow 0
		.amdhsa_exception_fp_ieee_underflow 0
		.amdhsa_exception_fp_ieee_inexact 0
		.amdhsa_exception_int_div_zero 0
	.end_amdhsa_kernel
	.section	.text._ZL12mul_mat_q5_0IN3c104HalfELb1EEvPKvS3_PT_iiiii,"axG",@progbits,_ZL12mul_mat_q5_0IN3c104HalfELb1EEvPKvS3_PT_iiiii,comdat
.Lfunc_end142:
	.size	_ZL12mul_mat_q5_0IN3c104HalfELb1EEvPKvS3_PT_iiiii, .Lfunc_end142-_ZL12mul_mat_q5_0IN3c104HalfELb1EEvPKvS3_PT_iiiii
                                        ; -- End function
	.section	.AMDGPU.csdata,"",@progbits
; Kernel info:
; codeLenInByte = 15176
; NumSgprs: 24
; NumVgprs: 175
; NumAgprs: 0
; TotalNumVgprs: 175
; ScratchSize: 0
; MemoryBound: 0
; FloatMode: 240
; IeeeMode: 1
; LDSByteSize: 46720 bytes/workgroup (compile time only)
; SGPRBlocks: 2
; VGPRBlocks: 21
; NumSGPRsForWavesPerEU: 24
; NumVGPRsForWavesPerEU: 175
; AccumOffset: 176
; Occupancy: 1
; WaveLimiterHint : 0
; COMPUTE_PGM_RSRC2:SCRATCH_EN: 0
; COMPUTE_PGM_RSRC2:USER_SGPR: 6
; COMPUTE_PGM_RSRC2:TRAP_HANDLER: 0
; COMPUTE_PGM_RSRC2:TGID_X_EN: 1
; COMPUTE_PGM_RSRC2:TGID_Y_EN: 1
; COMPUTE_PGM_RSRC2:TGID_Z_EN: 0
; COMPUTE_PGM_RSRC2:TIDIG_COMP_CNT: 1
; COMPUTE_PGM_RSRC3_GFX90A:ACCUM_OFFSET: 43
; COMPUTE_PGM_RSRC3_GFX90A:TG_SPLIT: 0
	.section	.text._ZL12mul_mat_q5_1IN3c104HalfELb0EEvPKvS3_PT_iiiii,"axG",@progbits,_ZL12mul_mat_q5_1IN3c104HalfELb0EEvPKvS3_PT_iiiii,comdat
	.globl	_ZL12mul_mat_q5_1IN3c104HalfELb0EEvPKvS3_PT_iiiii ; -- Begin function _ZL12mul_mat_q5_1IN3c104HalfELb0EEvPKvS3_PT_iiiii
	.p2align	8
	.type	_ZL12mul_mat_q5_1IN3c104HalfELb0EEvPKvS3_PT_iiiii,@function
_ZL12mul_mat_q5_1IN3c104HalfELb0EEvPKvS3_PT_iiiii: ; @_ZL12mul_mat_q5_1IN3c104HalfELb0EEvPKvS3_PT_iiiii
; %bb.0:
	s_load_dword s14, s[4:5], 0x18
	s_load_dwordx4 s[8:11], s[4:5], 0x20
	s_waitcnt lgkmcnt(0)
	s_lshl_b32 s11, s7, 6
	v_bfe_u32 v84, v0, 10, 10
	s_cmp_gt_i32 s14, 31
	s_cbranch_scc1 .LBB143_2
; %bb.1:
	v_bfe_u32 v2, v0, 10, 10
	v_and_b32_e32 v45, 0x3ff, v0
	v_add_u32_e32 v89, s11, v2
	s_mov_b64 s[0:1], 0
	s_mov_b32 s2, 0
	s_branch .LBB143_3
.LBB143_2:
	s_mov_b64 s[0:1], -1
                                        ; implicit-def: $sgpr2
                                        ; implicit-def: $vgpr2
                                        ; implicit-def: $vgpr45
                                        ; implicit-def: $vgpr89
.LBB143_3:
	s_load_dwordx2 s[12:13], s[4:5], 0x10
	s_lshl_b32 s6, s6, 7
	s_andn2_b64 vcc, exec, s[0:1]
	v_mov_b32_e32 v1, s2
	v_mov_b32_e32 v9, s2
	;; [unrolled: 1-line block ×32, first 2 shown]
	s_cbranch_vccnz .LBB143_13
; %bb.4:
	s_load_dwordx4 s[0:3], s[4:5], 0x0
	s_ashr_i32 s4, s14, 31
	s_lshr_b32 s4, s4, 27
	s_ashr_i32 s5, s9, 31
	s_add_i32 s14, s14, s4
	s_lshr_b32 s5, s5, 27
	s_ashr_i32 s4, s14, 5
	s_add_i32 s5, s9, s5
	s_ashr_i32 s15, s5, 5
	s_mul_i32 s5, s4, s6
	s_mul_hi_i32 s7, s5, 24
	s_mul_i32 s5, s5, 24
	s_waitcnt lgkmcnt(0)
	s_add_u32 s5, s0, s5
	s_addc_u32 s7, s1, s7
	v_mul_lo_u32 v4, s4, v84
	s_lshl_b32 s0, s4, 3
	v_add_u32_e32 v6, s0, v4
	v_add_u32_e32 v8, s0, v6
	;; [unrolled: 1-line block ×10, first 2 shown]
	v_and_b32_e32 v45, 0x3ff, v0
	v_add_u32_e32 v26, s0, v24
	v_lshlrev_b32_e32 v1, 3, v45
	s_movk_i32 s16, 0x104
	v_add_u32_e32 v28, s0, v26
	v_lshrrev_b32_e32 v111, 3, v45
	v_lshlrev_b32_e32 v19, 2, v45
	v_lshrrev_b32_e32 v0, 2, v45
	v_mad_u32_u24 v93, v84, s16, v1
	v_add_u32_e32 v30, s0, v28
	v_lshl_add_u32 v1, v84, 2, v111
	v_and_b32_e32 v19, 28, v19
	v_add_u32_e32 v32, s0, v30
	v_and_b32_e32 v36, 7, v45
	v_mul_lo_u32 v38, s4, v1
	v_and_b32_e32 v3, 0x7fc, v1
	v_lshlrev_b32_e32 v7, 5, v1
	v_add_u32_e32 v9, 32, v1
	v_add_u32_e32 v13, 64, v1
	;; [unrolled: 1-line block ×3, first 2 shown]
	v_add_co_u32_e32 v46, vcc, s2, v19
	v_lshl_add_u32 v19, v84, 3, v0
	v_add_u32_e32 v34, s0, v32
	v_lshlrev_b32_e32 v5, 2, v36
	s_mov_b32 s0, 0xa200
	v_and_b32_e32 v11, 0xffc, v9
	v_and_b32_e32 v15, 0xffc, v13
	;; [unrolled: 1-line block ×3, first 2 shown]
	v_mov_b32_e32 v21, s3
	v_and_b32_e32 v19, 63, v19
	v_and_b32_e32 v48, 3, v45
	v_add3_u32 v3, v3, v5, s0
	v_add3_u32 v11, v11, v5, s0
	v_add3_u32 v15, v15, v5, s0
	v_add3_u32 v5, v17, v5, s0
	v_add_u32_e32 v89, s11, v84
	s_add_i32 s0, s8, -1
	v_addc_co_u32_e32 v47, vcc, 0, v21, vcc
	v_or_b32_e32 v21, s11, v19
	v_lshlrev_b32_e32 v2, 2, v48
	v_cvt_f64_i32_e32 v[50:51], s0
	v_min_i32_e32 v21, s0, v21
	v_cvt_f64_u32_e32 v[52:53], v89
	v_mad_u64_u32 v[48:49], s[0:1], v21, s15, v[48:49]
	v_lshl_or_b32 v19, v19, 4, v2
	v_min_f64 v[52:53], v[52:53], v[50:51]
	v_add_u32_e32 v21, 8, v89
	v_add_u32_e32 v112, 0xb280, v19
	v_cvt_i32_f64_e32 v19, v[52:53]
	v_cvt_f64_u32_e32 v[52:53], v21
	v_min_f64 v[52:53], v[52:53], v[50:51]
	v_cvt_i32_f64_e32 v21, v[52:53]
	v_mul_lo_u32 v115, s15, v21
	v_add_u32_e32 v21, 16, v89
	v_cvt_f64_u32_e32 v[52:53], v21
	v_min_f64 v[52:53], v[52:53], v[50:51]
	v_cvt_i32_f64_e32 v21, v[52:53]
	v_mul_lo_u32 v117, s15, v21
	v_add_u32_e32 v21, 24, v89
	;; [unrolled: 5-line block ×6, first 2 shown]
	v_and_b32_e32 v17, 31, v45
	v_mul_lo_u32 v113, s15, v19
	v_lshlrev_b32_e32 v19, 7, v84
	v_cvt_f64_u32_e32 v[52:53], v21
	v_lshl_or_b32 v17, v17, 2, v19
	v_min_f64 v[50:51], v[52:53], v[50:51]
	v_add_u32_e32 v114, 0x8200, v17
	v_add_u32_e32 v116, 0x8600, v17
	;; [unrolled: 1-line block ×7, first 2 shown]
	v_cvt_i32_f64_e32 v21, v[50:51]
	v_add_u32_e32 v128, 0x9e00, v17
	v_add_u32_e32 v17, 32, v45
	s_andn2_b32 s14, s14, 31
	v_mul_lo_u32 v127, s15, v21
	v_add_u32_e32 v21, 64, v45
	v_add_u32_e32 v23, 0x60, v45
	v_lshlrev_b32_e32 v25, 5, v45
	v_lshrrev_b32_e32 v130, 3, v17
	v_and_b32_e32 v17, 0x1fc, v17
	v_add_u32_e32 v40, s14, v38
	v_and_b32_e32 v23, 0x1fc, v23
	v_and_b32_e32 v21, 0x1fc, v21
	v_add_u32_e32 v17, v25, v17
	v_and_b32_e32 v27, 0xfc, v45
	v_lshlrev_b32_e32 v9, 5, v9
	v_add_u32_e32 v42, s14, v40
	v_lshlrev_b32_e32 v13, 5, v13
	v_lshlrev_b32_e32 v1, 5, v1
	v_add_u32_e32 v23, v25, v23
	v_add_u32_e32 v21, v25, v21
	v_add_u32_e32 v133, 0xa600, v17
	v_add_u32_e32 v25, v25, v27
	v_add_u32_e32 v135, 0x8200, v19
	v_mov_b32_e32 v19, 0xb280
	v_add_u32_e32 v139, 0xa610, v17
	v_mov_b32_e32 v17, 0x80
	s_mov_b32 s9, 0
	v_mov_b32_e32 v86, 0
	v_add_u32_e32 v94, 0x820, v93
	v_add_u32_e32 v95, 0x1040, v93
	;; [unrolled: 1-line block ×16, first 2 shown]
	v_mul_u32_u24_e32 v129, 0x104, v45
	v_add_u32_e32 v131, 0xae00, v23
	v_add_u32_e32 v132, 0xaa00, v21
	;; [unrolled: 1-line block ×3, first 2 shown]
	v_lshl_add_u32 v136, v84, 4, v19
	v_add_u32_e32 v137, 0xae10, v23
	v_add_u32_e32 v138, 0xaa10, v21
	;; [unrolled: 1-line block ×3, first 2 shown]
	v_mad_u32_u24 v141, v45, s16, v17
	v_add_u32_e32 v142, v3, v7
	v_add_u32_e32 v143, v11, v9
	;; [unrolled: 1-line block ×4, first 2 shown]
	v_mov_b32_e32 v91, 0
	v_mov_b32_e32 v85, 0
	;; [unrolled: 1-line block ×31, first 2 shown]
	s_branch .LBB143_6
.LBB143_5:                              ;   in Loop: Header=BB143_6 Depth=1
	s_add_i32 s9, s9, 8
	s_cmp_ge_i32 s9, s4
	s_cbranch_scc1 .LBB143_12
.LBB143_6:                              ; =>This Loop Header: Depth=1
                                        ;     Child Loop BB143_7 Depth 2
                                        ;     Child Loop BB143_10 Depth 2
	s_mul_i32 s0, s9, 24
	s_mul_hi_u32 s1, s9, 24
	s_add_u32 s0, s5, s0
	s_addc_u32 s1, s7, s1
	v_mad_u64_u32 v[50:51], s[14:15], v0, 24, s[0:1]
	v_mad_u64_u32 v[52:53], s[14:15], v4, 24, v[50:51]
	v_add_co_u32_e32 v54, vcc, v52, v2
	v_mad_u64_u32 v[60:61], s[14:15], v10, 24, v[50:51]
	v_addc_co_u32_e32 v55, vcc, 0, v53, vcc
	v_mad_u64_u32 v[56:57], s[14:15], v6, 24, v[50:51]
	v_mad_u64_u32 v[58:59], s[14:15], v8, 24, v[50:51]
	global_load_dword v68, v[60:61], off offset:4
	global_load_dword v69, v[58:59], off offset:4
	;; [unrolled: 1-line block ×4, first 2 shown]
                                        ; kill: killed $vgpr52 killed $vgpr53
	global_load_dword v72, v[54:55], off offset:8
	v_add_co_u32_e32 v52, vcc, v56, v2
	v_addc_co_u32_e32 v53, vcc, 0, v57, vcc
	global_load_dword v73, v[52:53], off offset:8
	v_add_co_u32_e32 v52, vcc, v58, v2
	v_addc_co_u32_e32 v53, vcc, 0, v59, vcc
	;; [unrolled: 3-line block ×3, first 2 shown]
	global_load_dword v75, v[52:53], off offset:8
	v_mad_u64_u32 v[52:53], s[14:15], v12, 24, v[50:51]
	v_add_co_u32_e32 v60, vcc, v52, v2
	v_mad_u64_u32 v[54:55], s[14:15], v14, 24, v[50:51]
	v_addc_co_u32_e32 v61, vcc, 0, v53, vcc
	v_add_co_u32_e32 v62, vcc, v54, v2
	v_mad_u64_u32 v[56:57], s[14:15], v16, 24, v[50:51]
	v_addc_co_u32_e32 v63, vcc, 0, v55, vcc
	;; [unrolled: 3-line block ×3, first 2 shown]
	v_add_co_u32_e32 v66, vcc, v58, v2
	v_addc_co_u32_e32 v67, vcc, 0, v59, vcc
	global_load_dword v76, v[66:67], off offset:8
	global_load_dword v77, v[58:59], off offset:4
	;; [unrolled: 1-line block ×6, first 2 shown]
	v_add_u32_e32 v146, s9, v48
	v_mov_b32_e32 v147, v136
	v_mov_b32_e32 v148, v135
	;; [unrolled: 1-line block ×7, first 2 shown]
	s_waitcnt vmcnt(10)
	v_ashrrev_i32_e32 v54, v2, v71
	v_lshlrev_b32_e32 v57, 4, v54
	v_lshlrev_b32_e32 v58, 11, v54
	s_waitcnt vmcnt(9)
	v_and_b32_e32 v56, 0xf0f0f0f, v72
	v_and_b32_e32 v57, 16, v57
	;; [unrolled: 1-line block ×3, first 2 shown]
	v_or3_b32 v56, v57, v56, v58
	global_load_dword v57, v[60:61], off offset:8
	s_nop 0
	global_load_dword v52, v[52:53], off offset:4
	v_lshrrev_b32_e32 v55, 4, v72
	v_lshrrev_b32_e32 v59, 12, v54
	;; [unrolled: 1-line block ×3, first 2 shown]
	v_and_b32_e32 v55, 0xf0f0f0f, v55
	v_lshlrev_b32_e32 v63, 2, v54
	v_lshlrev_b32_e32 v64, 18, v54
	;; [unrolled: 1-line block ×4, first 2 shown]
	v_and_b32_e32 v59, 16, v59
	v_and_b32_e32 v62, 0x1000, v62
	;; [unrolled: 1-line block ×5, first 2 shown]
	v_or3_b32 v55, v59, v55, v62
	v_and_b32_e32 v53, 0x10000000, v65
	v_or3_b32 v53, v55, v63, v53
	v_or3_b32 v54, v56, v64, v54
	ds_write2_b32 v93, v54, v53 offset1:1
	v_ashrrev_i32_e32 v53, v2, v70
	v_lshlrev_b32_e32 v54, 4, v53
	v_lshlrev_b32_e32 v55, 11, v53
	s_waitcnt vmcnt(10)
	v_lshrrev_b32_e32 v56, 4, v73
	v_lshrrev_b32_e32 v58, 12, v53
	v_lshrrev_b32_e32 v59, 5, v53
	v_and_b32_e32 v56, 0xf0f0f0f, v56
	v_and_b32_e32 v60, 0xf0f0f0f, v73
	v_and_b32_e32 v58, 16, v58
	v_and_b32_e32 v54, 16, v54
	v_and_b32_e32 v59, 0x1000, v59
	v_and_b32_e32 v55, 0x1000, v55
	v_or3_b32 v54, v54, v60, v55
	v_or3_b32 v55, v58, v56, v59
	v_lshlrev_b32_e32 v56, 2, v53
	v_lshlrev_b32_e32 v58, 18, v53
	v_lshlrev_b32_e32 v59, 9, v53
	v_lshlrev_b32_e32 v53, 25, v53
	v_and_b32_e32 v58, 0x100000, v58
	v_and_b32_e32 v56, 0x100000, v56
	v_and_b32_e32 v53, 0x10000000, v53
	v_and_b32_e32 v59, 0x10000000, v59
	v_or3_b32 v55, v55, v56, v59
	v_or3_b32 v53, v54, v58, v53
	ds_write2_b32 v94, v53, v55 offset1:1
	v_ashrrev_i32_e32 v53, v2, v69
	v_lshlrev_b32_e32 v54, 4, v53
	v_lshlrev_b32_e32 v55, 11, v53
	s_waitcnt vmcnt(9)
	v_lshrrev_b32_e32 v56, 4, v74
	v_lshrrev_b32_e32 v58, 12, v53
	v_lshrrev_b32_e32 v59, 5, v53
	v_and_b32_e32 v56, 0xf0f0f0f, v56
	v_and_b32_e32 v60, 0xf0f0f0f, v74
	v_and_b32_e32 v58, 16, v58
	v_and_b32_e32 v54, 16, v54
	v_and_b32_e32 v59, 0x1000, v59
	v_and_b32_e32 v55, 0x1000, v55
	v_or3_b32 v54, v54, v60, v55
	v_or3_b32 v55, v58, v56, v59
	v_lshlrev_b32_e32 v56, 2, v53
	v_lshlrev_b32_e32 v58, 18, v53
	v_lshlrev_b32_e32 v59, 9, v53
	v_lshlrev_b32_e32 v53, 25, v53
	v_and_b32_e32 v58, 0x100000, v58
	v_and_b32_e32 v56, 0x100000, v56
	v_and_b32_e32 v53, 0x10000000, v53
	;; [unrolled: 26-line block ×3, first 2 shown]
	v_and_b32_e32 v59, 0x10000000, v59
	v_or3_b32 v55, v55, v56, v59
	v_or3_b32 v53, v54, v58, v53
	s_waitcnt vmcnt(0)
	v_ashrrev_i32_e32 v52, v2, v52
	ds_write2_b32 v96, v53, v55 offset1:1
	v_lshlrev_b32_e32 v53, 4, v52
	v_lshlrev_b32_e32 v54, 11, v52
	v_lshrrev_b32_e32 v55, 4, v57
	v_and_b32_e32 v57, 0xf0f0f0f, v57
	v_and_b32_e32 v53, 16, v53
	v_and_b32_e32 v54, 0x1000, v54
	v_lshrrev_b32_e32 v56, 12, v52
	v_lshrrev_b32_e32 v58, 5, v52
	v_or3_b32 v68, v53, v57, v54
	v_lshlrev_b32_e32 v53, 2, v52
	v_lshlrev_b32_e32 v54, 18, v52
	;; [unrolled: 1-line block ×4, first 2 shown]
	v_and_b32_e32 v71, 0x100000, v53
	v_and_b32_e32 v73, 0x10000000, v52
	v_mad_u64_u32 v[52:53], s[14:15], v20, 24, v[50:51]
	v_and_b32_e32 v55, 0xf0f0f0f, v55
	v_and_b32_e32 v56, 16, v56
	;; [unrolled: 1-line block ×4, first 2 shown]
	v_add_co_u32_e32 v54, vcc, v52, v2
	v_or3_b32 v69, v56, v55, v58
	v_addc_co_u32_e32 v55, vcc, 0, v53, vcc
	v_mad_u64_u32 v[56:57], s[14:15], v22, 24, v[50:51]
	v_add_co_u32_e32 v58, vcc, v56, v2
	v_addc_co_u32_e32 v59, vcc, 0, v57, vcc
	v_mad_u64_u32 v[60:61], s[14:15], v24, 24, v[50:51]
	v_add_co_u32_e32 v62, vcc, v60, v2
	;; [unrolled: 3-line block ×3, first 2 shown]
	v_addc_co_u32_e32 v67, vcc, 0, v65, vcc
	global_load_dword v66, v[66:67], off offset:8
	s_nop 0
	global_load_dword v67, v[64:65], off offset:4
	global_load_dword v74, v[62:63], off offset:8
	;; [unrolled: 1-line block ×5, first 2 shown]
	s_nop 0
	global_load_dword v54, v[54:55], off offset:8
	s_nop 0
	global_load_dword v52, v[52:53], off offset:4
	v_and_b32_e32 v53, 0x10000000, v72
	v_or3_b32 v53, v69, v71, v53
	v_or3_b32 v55, v68, v70, v73
	ds_write2_b32 v97, v55, v53 offset1:1
	v_ashrrev_i32_e32 v53, v2, v81
	v_lshlrev_b32_e32 v55, 4, v53
	v_lshlrev_b32_e32 v56, 11, v53
	v_lshrrev_b32_e32 v57, 4, v80
	v_lshrrev_b32_e32 v58, 12, v53
	v_lshrrev_b32_e32 v59, 5, v53
	v_and_b32_e32 v57, 0xf0f0f0f, v57
	v_and_b32_e32 v60, 0xf0f0f0f, v80
	v_and_b32_e32 v58, 16, v58
	v_and_b32_e32 v55, 16, v55
	v_and_b32_e32 v59, 0x1000, v59
	v_and_b32_e32 v56, 0x1000, v56
	v_or3_b32 v55, v55, v60, v56
	v_or3_b32 v56, v58, v57, v59
	v_lshlrev_b32_e32 v57, 2, v53
	v_lshlrev_b32_e32 v58, 18, v53
	v_lshlrev_b32_e32 v59, 9, v53
	v_lshlrev_b32_e32 v53, 25, v53
	v_and_b32_e32 v58, 0x100000, v58
	v_and_b32_e32 v57, 0x100000, v57
	v_and_b32_e32 v53, 0x10000000, v53
	v_and_b32_e32 v59, 0x10000000, v59
	v_or3_b32 v56, v56, v57, v59
	v_or3_b32 v53, v55, v58, v53
	ds_write2_b32 v98, v53, v56 offset1:1
	v_ashrrev_i32_e32 v53, v2, v79
	v_lshlrev_b32_e32 v55, 4, v53
	v_lshlrev_b32_e32 v56, 11, v53
	v_lshrrev_b32_e32 v57, 4, v78
	v_lshrrev_b32_e32 v58, 12, v53
	v_lshrrev_b32_e32 v59, 5, v53
	v_and_b32_e32 v57, 0xf0f0f0f, v57
	v_and_b32_e32 v60, 0xf0f0f0f, v78
	v_and_b32_e32 v58, 16, v58
	v_and_b32_e32 v55, 16, v55
	v_and_b32_e32 v59, 0x1000, v59
	v_and_b32_e32 v56, 0x1000, v56
	v_or3_b32 v55, v55, v60, v56
	v_or3_b32 v56, v58, v57, v59
	v_lshlrev_b32_e32 v57, 2, v53
	v_lshlrev_b32_e32 v58, 18, v53
	v_lshlrev_b32_e32 v59, 9, v53
	v_lshlrev_b32_e32 v53, 25, v53
	v_and_b32_e32 v58, 0x100000, v58
	v_and_b32_e32 v57, 0x100000, v57
	v_and_b32_e32 v53, 0x10000000, v53
	;; [unrolled: 25-line block ×3, first 2 shown]
	v_and_b32_e32 v59, 0x10000000, v59
	v_or3_b32 v56, v56, v57, v59
	v_or3_b32 v53, v55, v58, v53
	ds_write2_b32 v101, v53, v56 offset1:1
	s_waitcnt vmcnt(0)
	v_ashrrev_i32_e32 v52, v2, v52
	v_lshlrev_b32_e32 v53, 4, v52
	v_lshlrev_b32_e32 v55, 11, v52
	v_lshrrev_b32_e32 v56, 4, v54
	v_and_b32_e32 v54, 0xf0f0f0f, v54
	v_and_b32_e32 v53, 16, v53
	;; [unrolled: 1-line block ×3, first 2 shown]
	v_lshrrev_b32_e32 v57, 12, v52
	v_lshrrev_b32_e32 v58, 5, v52
	v_or3_b32 v68, v53, v54, v55
	v_lshlrev_b32_e32 v53, 2, v52
	v_lshlrev_b32_e32 v54, 18, v52
	;; [unrolled: 1-line block ×4, first 2 shown]
	v_and_b32_e32 v71, 0x100000, v53
	v_and_b32_e32 v73, 0x10000000, v52
	v_mad_u64_u32 v[52:53], s[14:15], v28, 24, v[50:51]
	v_and_b32_e32 v56, 0xf0f0f0f, v56
	v_and_b32_e32 v57, 16, v57
	;; [unrolled: 1-line block ×4, first 2 shown]
	v_add_co_u32_e32 v54, vcc, v52, v2
	v_or3_b32 v69, v57, v56, v58
	v_addc_co_u32_e32 v55, vcc, 0, v53, vcc
	v_mad_u64_u32 v[56:57], s[14:15], v30, 24, v[50:51]
	v_add_co_u32_e32 v58, vcc, v56, v2
	v_addc_co_u32_e32 v59, vcc, 0, v57, vcc
	v_mad_u64_u32 v[60:61], s[14:15], v32, 24, v[50:51]
	v_add_co_u32_e32 v62, vcc, v60, v2
	;; [unrolled: 3-line block ×3, first 2 shown]
	v_addc_co_u32_e32 v65, vcc, 0, v51, vcc
	global_load_dword v76, v[64:65], off offset:8
	global_load_dword v77, v[50:51], off offset:4
	;; [unrolled: 1-line block ×4, first 2 shown]
	s_nop 0
	global_load_dword v50, v[58:59], off offset:8
	global_load_dword v51, v[56:57], off offset:4
	s_nop 0
	global_load_dword v54, v[54:55], off offset:8
	s_nop 0
	global_load_dword v52, v[52:53], off offset:4
	v_and_b32_e32 v53, 0x10000000, v72
	v_or3_b32 v53, v69, v71, v53
	v_or3_b32 v55, v68, v70, v73
	ds_write2_b32 v102, v55, v53 offset1:1
	v_ashrrev_i32_e32 v53, v2, v83
	v_lshlrev_b32_e32 v55, 4, v53
	v_lshlrev_b32_e32 v56, 11, v53
	v_lshrrev_b32_e32 v57, 4, v82
	v_lshrrev_b32_e32 v58, 12, v53
	v_lshrrev_b32_e32 v59, 5, v53
	v_and_b32_e32 v57, 0xf0f0f0f, v57
	v_and_b32_e32 v60, 0xf0f0f0f, v82
	v_and_b32_e32 v58, 16, v58
	v_and_b32_e32 v55, 16, v55
	v_and_b32_e32 v59, 0x1000, v59
	v_and_b32_e32 v56, 0x1000, v56
	v_or3_b32 v55, v55, v60, v56
	v_or3_b32 v56, v58, v57, v59
	v_lshlrev_b32_e32 v57, 2, v53
	v_lshlrev_b32_e32 v58, 18, v53
	v_lshlrev_b32_e32 v59, 9, v53
	v_lshlrev_b32_e32 v53, 25, v53
	v_and_b32_e32 v58, 0x100000, v58
	v_and_b32_e32 v57, 0x100000, v57
	v_and_b32_e32 v53, 0x10000000, v53
	v_and_b32_e32 v59, 0x10000000, v59
	v_or3_b32 v56, v56, v57, v59
	v_or3_b32 v53, v55, v58, v53
	ds_write2_b32 v103, v53, v56 offset1:1
	v_ashrrev_i32_e32 v53, v2, v75
	v_lshlrev_b32_e32 v55, 4, v53
	v_lshlrev_b32_e32 v56, 11, v53
	v_lshrrev_b32_e32 v57, 4, v74
	v_lshrrev_b32_e32 v58, 12, v53
	v_lshrrev_b32_e32 v59, 5, v53
	v_and_b32_e32 v57, 0xf0f0f0f, v57
	v_and_b32_e32 v60, 0xf0f0f0f, v74
	v_and_b32_e32 v58, 16, v58
	v_and_b32_e32 v55, 16, v55
	v_and_b32_e32 v59, 0x1000, v59
	v_and_b32_e32 v56, 0x1000, v56
	v_or3_b32 v55, v55, v60, v56
	v_or3_b32 v56, v58, v57, v59
	v_lshlrev_b32_e32 v57, 2, v53
	v_lshlrev_b32_e32 v58, 18, v53
	v_lshlrev_b32_e32 v59, 9, v53
	v_lshlrev_b32_e32 v53, 25, v53
	v_and_b32_e32 v58, 0x100000, v58
	v_and_b32_e32 v57, 0x100000, v57
	v_and_b32_e32 v53, 0x10000000, v53
	v_and_b32_e32 v59, 0x10000000, v59
	v_or3_b32 v56, v56, v57, v59
	v_or3_b32 v53, v55, v58, v53
	ds_write2_b32 v104, v53, v56 offset1:1
	v_ashrrev_i32_e32 v53, v2, v67
	v_lshlrev_b32_e32 v55, 4, v53
	v_lshlrev_b32_e32 v56, 11, v53
	v_lshrrev_b32_e32 v57, 4, v66
	v_lshrrev_b32_e32 v58, 12, v53
	v_lshrrev_b32_e32 v59, 5, v53
	v_and_b32_e32 v57, 0xf0f0f0f, v57
	v_and_b32_e32 v60, 0xf0f0f0f, v66
	v_and_b32_e32 v58, 16, v58
	v_and_b32_e32 v55, 16, v55
	v_and_b32_e32 v59, 0x1000, v59
	v_and_b32_e32 v56, 0x1000, v56
	v_or3_b32 v55, v55, v60, v56
	v_or3_b32 v56, v58, v57, v59
	v_lshlrev_b32_e32 v57, 2, v53
	v_lshlrev_b32_e32 v58, 18, v53
	v_lshlrev_b32_e32 v59, 9, v53
	v_lshlrev_b32_e32 v53, 25, v53
	v_and_b32_e32 v58, 0x100000, v58
	v_and_b32_e32 v57, 0x100000, v57
	v_and_b32_e32 v53, 0x10000000, v53
	v_and_b32_e32 v59, 0x10000000, v59
	v_or3_b32 v56, v56, v57, v59
	v_or3_b32 v53, v55, v58, v53
	ds_write2_b32 v105, v53, v56 offset1:1
	s_waitcnt vmcnt(0)
	v_ashrrev_i32_e32 v52, v2, v52
	v_lshlrev_b32_e32 v53, 4, v52
	v_lshlrev_b32_e32 v55, 11, v52
	v_lshrrev_b32_e32 v56, 4, v54
	v_lshrrev_b32_e32 v57, 12, v52
	;; [unrolled: 1-line block ×3, first 2 shown]
	v_and_b32_e32 v56, 0xf0f0f0f, v56
	v_and_b32_e32 v54, 0xf0f0f0f, v54
	;; [unrolled: 1-line block ×6, first 2 shown]
	v_or3_b32 v53, v53, v54, v55
	v_or3_b32 v54, v57, v56, v58
	v_lshlrev_b32_e32 v55, 2, v52
	v_lshlrev_b32_e32 v56, 18, v52
	;; [unrolled: 1-line block ×4, first 2 shown]
	v_and_b32_e32 v56, 0x100000, v56
	v_and_b32_e32 v55, 0x100000, v55
	;; [unrolled: 1-line block ×4, first 2 shown]
	v_ashrrev_i32_e32 v66, v2, v51
	v_lshrrev_b32_e32 v51, 4, v50
	v_or3_b32 v54, v54, v55, v57
	v_or3_b32 v52, v53, v56, v52
	v_and_b32_e32 v71, 0xf0f0f0f, v51
	v_and_b32_e32 v72, 0xf0f0f0f, v50
	v_mad_u64_u32 v[50:51], s[0:1], v36, 24, s[0:1]
	ds_write2_b32 v106, v52, v54 offset1:1
	v_mad_u64_u32 v[52:53], s[0:1], v38, 24, v[50:51]
	v_mad_u64_u32 v[54:55], s[0:1], v40, 24, v[50:51]
	v_mad_u64_u32 v[56:57], s[0:1], v42, 24, v[50:51]
	v_mad_u64_u32 v[50:51], s[0:1], v44, 24, v[50:51]
	v_add_u32_e32 v64, s9, v111
	global_load_dword v73, v[52:53], off
	global_load_dword v74, v[54:55], off
	;; [unrolled: 1-line block ×4, first 2 shown]
	v_add_u32_e32 v50, v64, v113
	v_add_u32_e32 v52, v64, v115
	;; [unrolled: 1-line block ×5, first 2 shown]
	v_mad_i64_i32 v[50:51], s[0:1], v50, 36, v[46:47]
	v_mad_i64_i32 v[52:53], s[0:1], v52, 36, v[46:47]
	;; [unrolled: 1-line block ×5, first 2 shown]
	v_add_u32_e32 v60, v64, v123
	v_add_u32_e32 v62, v64, v125
	v_add_u32_e32 v64, v64, v127
	v_mad_i64_i32 v[60:61], s[0:1], v60, 36, v[46:47]
	v_mad_i64_i32 v[62:63], s[0:1], v62, 36, v[46:47]
	;; [unrolled: 1-line block ×3, first 2 shown]
	global_load_dword v81, v[50:51], off offset:4
	s_nop 0
	global_load_dword v52, v[52:53], off offset:4
	s_nop 0
	;; [unrolled: 2-line block ×3, first 2 shown]
	global_load_dword v54, v[56:57], off offset:4
	global_load_dword v55, v[58:59], off offset:4
	s_nop 0
	global_load_dword v56, v[60:61], off offset:4
	global_load_dword v57, v[62:63], off offset:4
	;; [unrolled: 1-line block ×3, first 2 shown]
	v_mad_u64_u32 v[50:51], s[0:1], v146, 36, s[2:3]
	global_load_dword v50, v[50:51], off
	v_lshlrev_b32_e32 v67, 4, v66
	v_lshlrev_b32_e32 v68, 11, v66
	v_lshrrev_b32_e32 v69, 12, v66
	v_lshrrev_b32_e32 v70, 5, v66
	v_and_b32_e32 v51, 16, v69
	v_and_b32_e32 v59, 16, v67
	;; [unrolled: 1-line block ×4, first 2 shown]
	v_or3_b32 v59, v59, v72, v61
	v_or3_b32 v51, v51, v71, v60
	v_lshlrev_b32_e32 v60, 2, v66
	v_lshlrev_b32_e32 v61, 18, v66
	;; [unrolled: 1-line block ×4, first 2 shown]
	v_and_b32_e32 v61, 0x100000, v61
	v_and_b32_e32 v60, 0x100000, v60
	;; [unrolled: 1-line block ×4, first 2 shown]
	v_or3_b32 v51, v51, v60, v62
	v_or3_b32 v59, v59, v61, v63
	ds_write2_b32 v107, v59, v51 offset1:1
	v_ashrrev_i32_e32 v51, v2, v79
	v_lshlrev_b32_e32 v59, 4, v51
	v_lshlrev_b32_e32 v60, 11, v51
	v_lshrrev_b32_e32 v61, 4, v78
	v_lshrrev_b32_e32 v62, 12, v51
	;; [unrolled: 1-line block ×3, first 2 shown]
	v_and_b32_e32 v61, 0xf0f0f0f, v61
	v_and_b32_e32 v64, 0xf0f0f0f, v78
	;; [unrolled: 1-line block ×6, first 2 shown]
	v_or3_b32 v59, v59, v64, v60
	v_or3_b32 v60, v62, v61, v63
	v_lshlrev_b32_e32 v61, 2, v51
	v_lshlrev_b32_e32 v62, 18, v51
	;; [unrolled: 1-line block ×4, first 2 shown]
	v_and_b32_e32 v62, 0x100000, v62
	v_and_b32_e32 v61, 0x100000, v61
	;; [unrolled: 1-line block ×4, first 2 shown]
	v_or3_b32 v60, v60, v61, v63
	v_or3_b32 v51, v59, v62, v51
	ds_write2_b32 v108, v51, v60 offset1:1
	v_ashrrev_i32_e32 v51, v2, v77
	v_lshlrev_b32_e32 v59, 4, v51
	v_lshlrev_b32_e32 v60, 11, v51
	v_lshrrev_b32_e32 v61, 4, v76
	v_lshrrev_b32_e32 v62, 12, v51
	;; [unrolled: 1-line block ×3, first 2 shown]
	v_and_b32_e32 v61, 0xf0f0f0f, v61
	v_and_b32_e32 v64, 0xf0f0f0f, v76
	;; [unrolled: 1-line block ×6, first 2 shown]
	v_or3_b32 v59, v59, v64, v60
	v_or3_b32 v60, v62, v61, v63
	v_lshlrev_b32_e32 v61, 2, v51
	v_lshlrev_b32_e32 v62, 18, v51
	;; [unrolled: 1-line block ×4, first 2 shown]
	v_and_b32_e32 v62, 0x100000, v62
	v_and_b32_e32 v61, 0x100000, v61
	;; [unrolled: 1-line block ×4, first 2 shown]
	v_or3_b32 v60, v60, v61, v63
	v_or3_b32 v51, v59, v62, v51
	s_mov_b32 s0, -4
	ds_write2_b32 v110, v51, v60 offset1:1
	s_waitcnt vmcnt(12)
	ds_write_b32 v142, v73
	s_waitcnt vmcnt(11)
	ds_write_b32 v143, v74
	;; [unrolled: 2-line block ×13, first 2 shown]
	s_waitcnt lgkmcnt(0)
	s_barrier
.LBB143_7:                              ;   Parent Loop BB143_6 Depth=1
                                        ; =>  This Inner Loop Header: Depth=2
	ds_read_b128 v[158:161], v148
	ds_read_b128 v[162:165], v148 offset:16
	ds_read2_b32 v[82:83], v147 offset1:32
	ds_read_b32 v154, v150
	ds_read2_b32 v[50:51], v149 offset1:1
	ds_read2_b32 v[54:55], v149 offset0:2 offset1:3
	ds_read2_b32 v[56:57], v149 offset0:4 offset1:5
	;; [unrolled: 1-line block ×3, first 2 shown]
	v_mov_b32_e32 v52, 0
	s_waitcnt lgkmcnt(3)
	v_dot4c_i32_i8_e32 v52, v50, v158
	v_dot4c_i32_i8_e32 v52, v51, v162
	s_waitcnt lgkmcnt(2)
	v_dot4c_i32_i8_e32 v52, v54, v159
	v_dot4c_i32_i8_e32 v52, v55, v163
	;; [unrolled: 3-line block ×4, first 2 shown]
	v_pk_mul_f16 v53, v82, v154
	v_add_u32_e32 v58, 0x2088, v149
	v_add_u32_e32 v63, 0x2090, v149
	v_cvt_f32_i32_e32 v52, v52
	v_mov_b32_e32 v62, 0
	v_add_u32_e32 v66, 0x4108, v149
	v_add_u32_e32 v70, 0x4110, v149
	v_fma_mix_f32 v52, v53, v52, v53 op_sel:[0,0,1] op_sel_hi:[1,0,1]
	v_add_f32_e32 v86, v86, v52
	v_add_u32_e32 v52, 0x2080, v149
	ds_read_b32 v155, v151
	ds_read2_b32 v[52:53], v52 offset1:1
	ds_read2_b32 v[58:59], v58 offset1:1
	;; [unrolled: 1-line block ×3, first 2 shown]
	v_add_u32_e32 v63, 0x2098, v149
	ds_read2_b32 v[68:69], v63 offset1:1
	s_waitcnt lgkmcnt(3)
	v_dot4c_i32_i8_e32 v62, v52, v158
	v_dot4c_i32_i8_e32 v62, v53, v162
	s_waitcnt lgkmcnt(2)
	v_dot4c_i32_i8_e32 v62, v58, v159
	v_dot4c_i32_i8_e32 v62, v59, v163
	;; [unrolled: 3-line block ×4, first 2 shown]
	v_pk_mul_f16 v63, v82, v155
	v_mov_b32_e32 v72, 0
	v_add_u32_e32 v73, 0x4118, v149
	v_cvt_f32_i32_e32 v62, v62
	v_add_u32_e32 v76, 0x6188, v149
	v_add_u32_e32 v78, 0x6190, v149
	v_mov_b32_e32 v166, 0
	v_fma_mix_f32 v62, v63, v62, v63 op_sel:[0,0,1] op_sel_hi:[1,0,1]
	v_add_f32_e32 v109, v109, v62
	v_add_u32_e32 v62, 0x4100, v149
	ds_read_b32 v156, v152
	ds_read2_b32 v[62:63], v62 offset1:1
	ds_read2_b32 v[66:67], v66 offset1:1
	;; [unrolled: 1-line block ×4, first 2 shown]
	s_waitcnt lgkmcnt(4)
	v_pk_mul_f16 v73, v82, v156
	s_waitcnt lgkmcnt(3)
	v_dot4c_i32_i8_e32 v72, v62, v158
	v_dot4c_i32_i8_e32 v72, v63, v162
	s_waitcnt lgkmcnt(2)
	v_dot4c_i32_i8_e32 v72, v66, v159
	v_dot4c_i32_i8_e32 v72, v67, v163
	;; [unrolled: 3-line block ×4, first 2 shown]
	v_add_u32_e32 v80, 0x6198, v149
	s_add_i32 s0, s0, 4
	v_add_u32_e32 v152, 4, v152
	v_cvt_f32_i32_e32 v72, v72
	v_add_u32_e32 v151, 4, v151
	v_add_u32_e32 v150, 4, v150
	s_cmp_lt_u32 s0, 12
	v_fma_mix_f32 v72, v73, v72, v73 op_sel:[0,0,1] op_sel_hi:[1,0,1]
	v_add_f32_e32 v100, v100, v72
	v_add_u32_e32 v72, 0x6180, v149
	ds_read_b32 v157, v153
	ds_read2_b32 v[72:73], v72 offset1:1
	ds_read2_b32 v[76:77], v76 offset1:1
	;; [unrolled: 1-line block ×4, first 2 shown]
	s_waitcnt lgkmcnt(4)
	v_pk_mul_f16 v82, v82, v157
	s_waitcnt lgkmcnt(3)
	v_dot4c_i32_i8_e32 v166, v72, v158
	v_dot4c_i32_i8_e32 v166, v73, v162
	s_waitcnt lgkmcnt(2)
	v_dot4c_i32_i8_e32 v166, v76, v159
	v_dot4c_i32_i8_e32 v166, v77, v163
	s_waitcnt lgkmcnt(1)
	v_dot4c_i32_i8_e32 v166, v78, v160
	v_dot4c_i32_i8_e32 v166, v79, v164
	s_waitcnt lgkmcnt(0)
	v_dot4c_i32_i8_e32 v166, v80, v161
	v_dot4c_i32_i8_e32 v166, v81, v165
	v_add_u32_e32 v153, 4, v153
	v_add_u32_e32 v149, 32, v149
	s_nop 0
	v_cvt_f32_i32_e32 v158, v166
	v_pk_mul_f16 v166, v154, v83
	v_fma_mix_f32 v82, v82, v158, v82 op_sel:[0,0,1] op_sel_hi:[1,0,1]
	ds_read_b128 v[158:161], v148 offset:1024
	ds_read_b128 v[162:165], v148 offset:1040
	v_add_f32_e32 v92, v92, v82
	v_mov_b32_e32 v82, 0
	s_waitcnt lgkmcnt(1)
	v_dot4c_i32_i8_e32 v82, v50, v158
	s_waitcnt lgkmcnt(0)
	v_dot4c_i32_i8_e32 v82, v51, v162
	v_dot4c_i32_i8_e32 v82, v54, v159
	;; [unrolled: 1-line block ×7, first 2 shown]
	s_nop 2
	v_cvt_f32_i32_e32 v82, v82
	v_fma_mix_f32 v82, v82, v166, v166 op_sel:[0,0,1] op_sel_hi:[0,1,1]
	v_add_f32_e32 v91, v91, v82
	v_mov_b32_e32 v82, 0
	v_dot4c_i32_i8_e32 v82, v52, v158
	v_dot4c_i32_i8_e32 v82, v53, v162
	;; [unrolled: 1-line block ×8, first 2 shown]
	v_pk_mul_f16 v166, v155, v83
	s_nop 1
	v_cvt_f32_i32_e32 v82, v82
	v_fma_mix_f32 v82, v82, v166, v166 op_sel:[0,0,1] op_sel_hi:[0,1,1]
	v_add_f32_e32 v90, v90, v82
	v_mov_b32_e32 v82, 0
	v_dot4c_i32_i8_e32 v82, v62, v158
	v_dot4c_i32_i8_e32 v82, v63, v162
	v_dot4c_i32_i8_e32 v82, v66, v159
	v_dot4c_i32_i8_e32 v82, v67, v163
	v_dot4c_i32_i8_e32 v82, v70, v160
	v_dot4c_i32_i8_e32 v82, v71, v164
	v_dot4c_i32_i8_e32 v82, v74, v161
	v_dot4c_i32_i8_e32 v82, v75, v165
	v_pk_mul_f16 v166, v156, v83
	v_pk_mul_f16 v83, v157, v83
	s_nop 0
	v_cvt_f32_i32_e32 v82, v82
	v_fma_mix_f32 v82, v82, v166, v166 op_sel:[0,0,1] op_sel_hi:[0,1,1]
	v_add_f32_e32 v88, v88, v82
	v_mov_b32_e32 v82, 0
	v_dot4c_i32_i8_e32 v82, v72, v158
	v_dot4c_i32_i8_e32 v82, v73, v162
	;; [unrolled: 1-line block ×8, first 2 shown]
	v_mov_b32_e32 v166, 0
	s_nop 1
	v_cvt_f32_i32_e32 v82, v82
	v_fma_mix_f32 v82, v82, v83, v83 op_sel:[0,0,1] op_sel_hi:[0,1,1]
	v_add_f32_e32 v87, v87, v82
	ds_read_b128 v[158:161], v148 offset:2048
	ds_read_b128 v[162:165], v148 offset:2064
	ds_read2_b32 v[82:83], v147 offset0:64 offset1:96
	s_waitcnt lgkmcnt(2)
	v_dot4c_i32_i8_e32 v166, v50, v158
	s_waitcnt lgkmcnt(1)
	v_dot4c_i32_i8_e32 v166, v51, v162
	v_dot4c_i32_i8_e32 v166, v54, v159
	;; [unrolled: 1-line block ×7, first 2 shown]
	s_waitcnt lgkmcnt(0)
	v_pk_mul_f16 v167, v154, v82
	s_nop 0
	v_cvt_f32_i32_e32 v166, v166
	v_fma_mix_f32 v166, v166, v167, v167 op_sel:[0,0,1] op_sel_hi:[0,1,1]
	v_add_f32_e32 v85, v85, v166
	v_mov_b32_e32 v166, 0
	v_dot4c_i32_i8_e32 v166, v52, v158
	v_dot4c_i32_i8_e32 v166, v53, v162
	;; [unrolled: 1-line block ×8, first 2 shown]
	v_pk_mul_f16 v167, v155, v82
	s_nop 1
	v_cvt_f32_i32_e32 v166, v166
	v_fma_mix_f32 v166, v166, v167, v167 op_sel:[0,0,1] op_sel_hi:[0,1,1]
	v_add_f32_e32 v49, v49, v166
	v_mov_b32_e32 v166, 0
	v_dot4c_i32_i8_e32 v166, v62, v158
	v_dot4c_i32_i8_e32 v166, v63, v162
	;; [unrolled: 1-line block ×8, first 2 shown]
	v_pk_mul_f16 v167, v156, v82
	v_pk_mul_f16 v82, v157, v82
	s_nop 0
	v_cvt_f32_i32_e32 v166, v166
	v_fma_mix_f32 v166, v166, v167, v167 op_sel:[0,0,1] op_sel_hi:[0,1,1]
	v_add_f32_e32 v43, v43, v166
	v_mov_b32_e32 v166, 0
	v_dot4c_i32_i8_e32 v166, v72, v158
	v_dot4c_i32_i8_e32 v166, v73, v162
	;; [unrolled: 1-line block ×8, first 2 shown]
	s_nop 2
	v_cvt_f32_i32_e32 v158, v166
	v_pk_mul_f16 v166, v154, v83
	v_fma_mix_f32 v82, v158, v82, v82 op_sel:[0,0,1] op_sel_hi:[0,1,1]
	ds_read_b128 v[158:161], v148 offset:3072
	ds_read_b128 v[162:165], v148 offset:3088
	v_add_f32_e32 v41, v41, v82
	v_mov_b32_e32 v82, 0
	s_waitcnt lgkmcnt(1)
	v_dot4c_i32_i8_e32 v82, v50, v158
	s_waitcnt lgkmcnt(0)
	v_dot4c_i32_i8_e32 v82, v51, v162
	v_dot4c_i32_i8_e32 v82, v54, v159
	;; [unrolled: 1-line block ×7, first 2 shown]
	s_nop 2
	v_cvt_f32_i32_e32 v82, v82
	v_fma_mix_f32 v82, v82, v166, v166 op_sel:[0,0,1] op_sel_hi:[0,1,1]
	v_add_f32_e32 v39, v39, v82
	v_mov_b32_e32 v82, 0
	v_dot4c_i32_i8_e32 v82, v52, v158
	v_dot4c_i32_i8_e32 v82, v53, v162
	;; [unrolled: 1-line block ×8, first 2 shown]
	v_pk_mul_f16 v166, v155, v83
	s_nop 1
	v_cvt_f32_i32_e32 v82, v82
	v_fma_mix_f32 v82, v82, v166, v166 op_sel:[0,0,1] op_sel_hi:[0,1,1]
	v_add_f32_e32 v37, v37, v82
	v_mov_b32_e32 v82, 0
	v_dot4c_i32_i8_e32 v82, v62, v158
	v_dot4c_i32_i8_e32 v82, v63, v162
	;; [unrolled: 1-line block ×8, first 2 shown]
	v_pk_mul_f16 v166, v156, v83
	v_pk_mul_f16 v83, v157, v83
	s_nop 0
	v_cvt_f32_i32_e32 v82, v82
	v_fma_mix_f32 v82, v82, v166, v166 op_sel:[0,0,1] op_sel_hi:[0,1,1]
	v_add_f32_e32 v35, v35, v82
	v_mov_b32_e32 v82, 0
	v_dot4c_i32_i8_e32 v82, v72, v158
	v_dot4c_i32_i8_e32 v82, v73, v162
	;; [unrolled: 1-line block ×8, first 2 shown]
	v_mov_b32_e32 v166, 0
	s_nop 1
	v_cvt_f32_i32_e32 v82, v82
	v_fma_mix_f32 v82, v82, v83, v83 op_sel:[0,0,1] op_sel_hi:[0,1,1]
	v_add_f32_e32 v33, v33, v82
	ds_read_b128 v[158:161], v148 offset:4096
	ds_read_b128 v[162:165], v148 offset:4112
	ds_read2_b32 v[82:83], v147 offset0:128 offset1:160
	s_waitcnt lgkmcnt(2)
	v_dot4c_i32_i8_e32 v166, v50, v158
	s_waitcnt lgkmcnt(1)
	v_dot4c_i32_i8_e32 v166, v51, v162
	v_dot4c_i32_i8_e32 v166, v54, v159
	;; [unrolled: 1-line block ×7, first 2 shown]
	s_waitcnt lgkmcnt(0)
	v_pk_mul_f16 v167, v154, v82
	s_nop 0
	v_cvt_f32_i32_e32 v166, v166
	v_fma_mix_f32 v166, v166, v167, v167 op_sel:[0,0,1] op_sel_hi:[0,1,1]
	v_add_f32_e32 v31, v31, v166
	v_mov_b32_e32 v166, 0
	v_dot4c_i32_i8_e32 v166, v52, v158
	v_dot4c_i32_i8_e32 v166, v53, v162
	;; [unrolled: 1-line block ×8, first 2 shown]
	v_pk_mul_f16 v167, v155, v82
	s_nop 1
	v_cvt_f32_i32_e32 v166, v166
	v_fma_mix_f32 v166, v166, v167, v167 op_sel:[0,0,1] op_sel_hi:[0,1,1]
	v_add_f32_e32 v29, v29, v166
	v_mov_b32_e32 v166, 0
	v_dot4c_i32_i8_e32 v166, v62, v158
	v_dot4c_i32_i8_e32 v166, v63, v162
	;; [unrolled: 1-line block ×8, first 2 shown]
	v_pk_mul_f16 v167, v156, v82
	v_pk_mul_f16 v82, v157, v82
	s_nop 0
	v_cvt_f32_i32_e32 v166, v166
	v_fma_mix_f32 v166, v166, v167, v167 op_sel:[0,0,1] op_sel_hi:[0,1,1]
	v_add_f32_e32 v27, v27, v166
	v_mov_b32_e32 v166, 0
	v_dot4c_i32_i8_e32 v166, v72, v158
	v_dot4c_i32_i8_e32 v166, v73, v162
	;; [unrolled: 1-line block ×8, first 2 shown]
	s_nop 2
	v_cvt_f32_i32_e32 v158, v166
	v_pk_mul_f16 v166, v154, v83
	v_fma_mix_f32 v82, v158, v82, v82 op_sel:[0,0,1] op_sel_hi:[0,1,1]
	ds_read_b128 v[158:161], v148 offset:5120
	ds_read_b128 v[162:165], v148 offset:5136
	v_add_f32_e32 v25, v25, v82
	v_mov_b32_e32 v82, 0
	s_waitcnt lgkmcnt(1)
	v_dot4c_i32_i8_e32 v82, v50, v158
	s_waitcnt lgkmcnt(0)
	v_dot4c_i32_i8_e32 v82, v51, v162
	v_dot4c_i32_i8_e32 v82, v54, v159
	;; [unrolled: 1-line block ×7, first 2 shown]
	s_nop 2
	v_cvt_f32_i32_e32 v82, v82
	v_fma_mix_f32 v82, v82, v166, v166 op_sel:[0,0,1] op_sel_hi:[0,1,1]
	v_add_f32_e32 v23, v23, v82
	v_mov_b32_e32 v82, 0
	v_dot4c_i32_i8_e32 v82, v52, v158
	v_dot4c_i32_i8_e32 v82, v53, v162
	;; [unrolled: 1-line block ×8, first 2 shown]
	v_pk_mul_f16 v166, v155, v83
	s_nop 1
	v_cvt_f32_i32_e32 v82, v82
	v_fma_mix_f32 v82, v82, v166, v166 op_sel:[0,0,1] op_sel_hi:[0,1,1]
	v_add_f32_e32 v21, v21, v82
	v_mov_b32_e32 v82, 0
	v_dot4c_i32_i8_e32 v82, v62, v158
	v_dot4c_i32_i8_e32 v82, v63, v162
	;; [unrolled: 1-line block ×8, first 2 shown]
	v_pk_mul_f16 v166, v156, v83
	v_pk_mul_f16 v83, v157, v83
	s_nop 0
	v_cvt_f32_i32_e32 v82, v82
	v_fma_mix_f32 v82, v82, v166, v166 op_sel:[0,0,1] op_sel_hi:[0,1,1]
	v_add_f32_e32 v19, v19, v82
	v_mov_b32_e32 v82, 0
	v_dot4c_i32_i8_e32 v82, v72, v158
	v_dot4c_i32_i8_e32 v82, v73, v162
	;; [unrolled: 1-line block ×8, first 2 shown]
	v_mov_b32_e32 v166, 0
	s_nop 1
	v_cvt_f32_i32_e32 v82, v82
	v_fma_mix_f32 v82, v82, v83, v83 op_sel:[0,0,1] op_sel_hi:[0,1,1]
	v_add_f32_e32 v17, v17, v82
	ds_read_b128 v[158:161], v148 offset:6144
	ds_read_b128 v[162:165], v148 offset:6160
	ds_read2_b32 v[82:83], v147 offset0:192 offset1:224
	v_add_u32_e32 v147, 4, v147
	s_waitcnt lgkmcnt(2)
	v_dot4c_i32_i8_e32 v166, v50, v158
	s_waitcnt lgkmcnt(1)
	v_dot4c_i32_i8_e32 v166, v51, v162
	v_dot4c_i32_i8_e32 v166, v54, v159
	v_dot4c_i32_i8_e32 v166, v55, v163
	v_dot4c_i32_i8_e32 v166, v56, v160
	v_dot4c_i32_i8_e32 v166, v57, v164
	v_dot4c_i32_i8_e32 v166, v60, v161
	v_dot4c_i32_i8_e32 v166, v61, v165
	s_waitcnt lgkmcnt(0)
	v_pk_mul_f16 v167, v154, v82
	s_nop 0
	v_cvt_f32_i32_e32 v166, v166
	v_fma_mix_f32 v166, v166, v167, v167 op_sel:[0,0,1] op_sel_hi:[0,1,1]
	v_add_f32_e32 v15, v15, v166
	v_mov_b32_e32 v166, 0
	v_dot4c_i32_i8_e32 v166, v52, v158
	v_dot4c_i32_i8_e32 v166, v53, v162
	;; [unrolled: 1-line block ×8, first 2 shown]
	v_pk_mul_f16 v167, v155, v82
	s_nop 1
	v_cvt_f32_i32_e32 v166, v166
	v_fma_mix_f32 v166, v166, v167, v167 op_sel:[0,0,1] op_sel_hi:[0,1,1]
	v_add_f32_e32 v13, v13, v166
	v_mov_b32_e32 v166, 0
	v_dot4c_i32_i8_e32 v166, v62, v158
	v_dot4c_i32_i8_e32 v166, v63, v162
	;; [unrolled: 1-line block ×8, first 2 shown]
	v_pk_mul_f16 v167, v156, v82
	v_pk_mul_f16 v82, v157, v82
	s_nop 0
	v_cvt_f32_i32_e32 v166, v166
	v_fma_mix_f32 v166, v166, v167, v167 op_sel:[0,0,1] op_sel_hi:[0,1,1]
	v_add_f32_e32 v11, v11, v166
	v_mov_b32_e32 v166, 0
	v_dot4c_i32_i8_e32 v166, v72, v158
	v_dot4c_i32_i8_e32 v166, v73, v162
	;; [unrolled: 1-line block ×8, first 2 shown]
	s_nop 2
	v_cvt_f32_i32_e32 v158, v166
	v_fma_mix_f32 v82, v158, v82, v82 op_sel:[0,0,1] op_sel_hi:[0,1,1]
	ds_read_b128 v[158:161], v148 offset:7168
	ds_read_b128 v[162:165], v148 offset:7184
	v_add_f32_e32 v9, v9, v82
	v_mov_b32_e32 v82, 0
	v_add_u32_e32 v148, 32, v148
	s_waitcnt lgkmcnt(1)
	v_dot4c_i32_i8_e32 v82, v50, v158
	s_waitcnt lgkmcnt(0)
	v_dot4c_i32_i8_e32 v82, v51, v162
	v_dot4c_i32_i8_e32 v82, v54, v159
	v_dot4c_i32_i8_e32 v82, v55, v163
	v_dot4c_i32_i8_e32 v82, v56, v160
	v_dot4c_i32_i8_e32 v82, v57, v164
	v_dot4c_i32_i8_e32 v82, v60, v161
	v_dot4c_i32_i8_e32 v82, v61, v165
	v_pk_mul_f16 v50, v154, v83
	s_nop 1
	v_cvt_f32_i32_e32 v51, v82
	v_fma_mix_f32 v50, v51, v50, v50 op_sel:[0,0,1] op_sel_hi:[0,1,1]
	v_add_f32_e32 v7, v7, v50
	v_mov_b32_e32 v50, 0
	v_dot4c_i32_i8_e32 v50, v52, v158
	v_dot4c_i32_i8_e32 v50, v53, v162
	v_dot4c_i32_i8_e32 v50, v58, v159
	v_dot4c_i32_i8_e32 v50, v59, v163
	v_dot4c_i32_i8_e32 v50, v64, v160
	v_dot4c_i32_i8_e32 v50, v65, v164
	v_dot4c_i32_i8_e32 v50, v68, v161
	v_dot4c_i32_i8_e32 v50, v69, v165
	v_pk_mul_f16 v51, v155, v83
	s_nop 1
	v_cvt_f32_i32_e32 v50, v50
	v_fma_mix_f32 v50, v50, v51, v51 op_sel:[0,0,1] op_sel_hi:[0,1,1]
	v_add_f32_e32 v5, v5, v50
	v_mov_b32_e32 v50, 0
	v_dot4c_i32_i8_e32 v50, v62, v158
	;; [unrolled: 14-line block ×3, first 2 shown]
	v_dot4c_i32_i8_e32 v50, v73, v162
	v_dot4c_i32_i8_e32 v50, v76, v159
	;; [unrolled: 1-line block ×7, first 2 shown]
	v_pk_mul_f16 v51, v157, v83
	s_nop 1
	v_cvt_f32_i32_e32 v50, v50
	v_fma_mix_f32 v50, v50, v51, v51 op_sel:[0,0,1] op_sel_hi:[0,1,1]
	v_add_f32_e32 v1, v1, v50
	s_cbranch_scc1 .LBB143_7
; %bb.8:                                ;   in Loop: Header=BB143_6 Depth=1
	s_or_b32 s0, s9, 4
	s_cmp_ge_i32 s0, s4
	s_barrier
	s_cbranch_scc1 .LBB143_5
; %bb.9:                                ;   in Loop: Header=BB143_6 Depth=1
	v_add_u32_e32 v64, s9, v130
	v_add_u32_e32 v50, v64, v113
	;; [unrolled: 1-line block ×6, first 2 shown]
	v_mad_i64_i32 v[50:51], s[0:1], v50, 36, v[46:47]
	v_mad_i64_i32 v[52:53], s[0:1], v52, 36, v[46:47]
	;; [unrolled: 1-line block ×5, first 2 shown]
	v_add_u32_e32 v60, v64, v123
	v_add_u32_e32 v62, v64, v125
	;; [unrolled: 1-line block ×3, first 2 shown]
	v_mad_i64_i32 v[60:61], s[0:1], v60, 36, v[46:47]
	v_mad_i64_i32 v[62:63], s[0:1], v62, 36, v[46:47]
	;; [unrolled: 1-line block ×3, first 2 shown]
	global_load_dword v66, v[50:51], off offset:4
	s_nop 0
	global_load_dword v52, v[52:53], off offset:4
	s_nop 0
	global_load_dword v53, v[54:55], off offset:4
	s_nop 0
	global_load_dword v54, v[56:57], off offset:4
	global_load_dword v55, v[58:59], off offset:4
                                        ; kill: killed $vgpr56_vgpr57
                                        ; kill: killed $vgpr58_vgpr59
	s_nop 0
	global_load_dword v56, v[60:61], off offset:4
	global_load_dword v57, v[62:63], off offset:4
	;; [unrolled: 1-line block ×3, first 2 shown]
	v_add_u32_e32 v50, 4, v146
	v_mad_u64_u32 v[50:51], s[0:1], v50, 36, s[2:3]
	global_load_dword v50, v[50:51], off
	s_mov_b32 s0, 12
	v_mov_b32_e32 v146, v136
	v_mov_b32_e32 v147, v135
	;; [unrolled: 1-line block ×7, first 2 shown]
	s_waitcnt vmcnt(8)
	ds_write_b32 v114, v66
	s_waitcnt vmcnt(7)
	ds_write_b32 v116, v52
	s_waitcnt vmcnt(6)
	ds_write_b32 v118, v53
	s_waitcnt vmcnt(5)
	ds_write_b32 v120, v54
	s_waitcnt vmcnt(4)
	ds_write_b32 v122, v55
	s_waitcnt vmcnt(3)
	ds_write_b32 v124, v56
	s_waitcnt vmcnt(2)
	ds_write_b32 v126, v57
	s_waitcnt vmcnt(1)
	ds_write_b32 v128, v58
	s_waitcnt vmcnt(0)
	ds_write_b32 v112, v50
	s_waitcnt lgkmcnt(0)
	s_barrier
.LBB143_10:                             ;   Parent Loop BB143_6 Depth=1
                                        ; =>  This Inner Loop Header: Depth=2
	ds_read_b128 v[158:161], v147
	ds_read_b128 v[162:165], v147 offset:16
	ds_read2_b32 v[82:83], v146 offset1:32
	ds_read_b32 v153, v149
	ds_read2_b32 v[50:51], v148 offset1:1
	ds_read2_b32 v[54:55], v148 offset0:2 offset1:3
	ds_read2_b32 v[56:57], v148 offset0:4 offset1:5
	;; [unrolled: 1-line block ×3, first 2 shown]
	v_mov_b32_e32 v52, 0
	s_waitcnt lgkmcnt(3)
	v_dot4c_i32_i8_e32 v52, v50, v158
	v_dot4c_i32_i8_e32 v52, v51, v162
	s_waitcnt lgkmcnt(2)
	v_dot4c_i32_i8_e32 v52, v54, v159
	v_dot4c_i32_i8_e32 v52, v55, v163
	;; [unrolled: 3-line block ×4, first 2 shown]
	v_pk_mul_f16 v53, v82, v153
	v_add_u32_e32 v58, 0x2088, v148
	v_add_u32_e32 v63, 0x2090, v148
	v_cvt_f32_i32_e32 v52, v52
	v_mov_b32_e32 v62, 0
	v_add_u32_e32 v66, 0x4108, v148
	v_add_u32_e32 v70, 0x4110, v148
	v_fma_mix_f32 v52, v53, v52, v53 op_sel:[0,0,1] op_sel_hi:[1,0,1]
	v_add_f32_e32 v86, v86, v52
	v_add_u32_e32 v52, 0x2080, v148
	ds_read_b32 v154, v150
	ds_read2_b32 v[52:53], v52 offset1:1
	ds_read2_b32 v[58:59], v58 offset1:1
	;; [unrolled: 1-line block ×3, first 2 shown]
	v_add_u32_e32 v63, 0x2098, v148
	ds_read2_b32 v[68:69], v63 offset1:1
	s_waitcnt lgkmcnt(3)
	v_dot4c_i32_i8_e32 v62, v52, v158
	v_dot4c_i32_i8_e32 v62, v53, v162
	s_waitcnt lgkmcnt(2)
	v_dot4c_i32_i8_e32 v62, v58, v159
	v_dot4c_i32_i8_e32 v62, v59, v163
	;; [unrolled: 3-line block ×4, first 2 shown]
	v_pk_mul_f16 v63, v82, v154
	v_mov_b32_e32 v72, 0
	v_add_u32_e32 v73, 0x4118, v148
	v_cvt_f32_i32_e32 v62, v62
	v_add_u32_e32 v76, 0x6188, v148
	v_add_u32_e32 v78, 0x6190, v148
	v_mov_b32_e32 v157, 0
	v_fma_mix_f32 v62, v63, v62, v63 op_sel:[0,0,1] op_sel_hi:[1,0,1]
	v_add_f32_e32 v109, v109, v62
	v_add_u32_e32 v62, 0x4100, v148
	ds_read_b32 v155, v151
	ds_read2_b32 v[62:63], v62 offset1:1
	ds_read2_b32 v[66:67], v66 offset1:1
	;; [unrolled: 1-line block ×4, first 2 shown]
	s_waitcnt lgkmcnt(4)
	v_pk_mul_f16 v73, v82, v155
	s_waitcnt lgkmcnt(3)
	v_dot4c_i32_i8_e32 v72, v62, v158
	v_dot4c_i32_i8_e32 v72, v63, v162
	s_waitcnt lgkmcnt(2)
	v_dot4c_i32_i8_e32 v72, v66, v159
	v_dot4c_i32_i8_e32 v72, v67, v163
	;; [unrolled: 3-line block ×4, first 2 shown]
	v_add_u32_e32 v80, 0x6198, v148
	s_add_i32 s0, s0, 4
	v_add_u32_e32 v151, 4, v151
	v_cvt_f32_i32_e32 v72, v72
	v_add_u32_e32 v150, 4, v150
	v_add_u32_e32 v149, 4, v149
	s_cmp_lt_u32 s0, 28
	v_fma_mix_f32 v72, v73, v72, v73 op_sel:[0,0,1] op_sel_hi:[1,0,1]
	v_add_f32_e32 v100, v100, v72
	v_add_u32_e32 v72, 0x6180, v148
	ds_read_b32 v156, v152
	ds_read2_b32 v[72:73], v72 offset1:1
	ds_read2_b32 v[76:77], v76 offset1:1
	;; [unrolled: 1-line block ×4, first 2 shown]
	s_waitcnt lgkmcnt(4)
	v_pk_mul_f16 v82, v82, v156
	s_waitcnt lgkmcnt(3)
	v_dot4c_i32_i8_e32 v157, v72, v158
	v_dot4c_i32_i8_e32 v157, v73, v162
	s_waitcnt lgkmcnt(2)
	v_dot4c_i32_i8_e32 v157, v76, v159
	v_dot4c_i32_i8_e32 v157, v77, v163
	;; [unrolled: 3-line block ×4, first 2 shown]
	ds_read_b128 v[158:161], v147 offset:1024
	ds_read_b128 v[162:165], v147 offset:1040
	v_add_u32_e32 v152, 4, v152
	v_cvt_f32_i32_e32 v157, v157
	v_add_u32_e32 v148, 32, v148
	v_fma_mix_f32 v82, v82, v157, v82 op_sel:[0,0,1] op_sel_hi:[1,0,1]
	v_add_f32_e32 v92, v92, v82
	v_mov_b32_e32 v82, 0
	s_waitcnt lgkmcnt(1)
	v_dot4c_i32_i8_e32 v82, v50, v158
	s_waitcnt lgkmcnt(0)
	v_dot4c_i32_i8_e32 v82, v51, v162
	v_dot4c_i32_i8_e32 v82, v54, v159
	v_dot4c_i32_i8_e32 v82, v55, v163
	v_dot4c_i32_i8_e32 v82, v56, v160
	v_dot4c_i32_i8_e32 v82, v57, v164
	v_dot4c_i32_i8_e32 v82, v60, v161
	v_dot4c_i32_i8_e32 v82, v61, v165
	v_pk_mul_f16 v157, v153, v83
	s_nop 1
	v_cvt_f32_i32_e32 v82, v82
	v_fma_mix_f32 v82, v82, v157, v157 op_sel:[0,0,1] op_sel_hi:[0,1,1]
	v_add_f32_e32 v91, v91, v82
	v_mov_b32_e32 v82, 0
	v_dot4c_i32_i8_e32 v82, v52, v158
	v_dot4c_i32_i8_e32 v82, v53, v162
	;; [unrolled: 1-line block ×8, first 2 shown]
	v_pk_mul_f16 v157, v154, v83
	s_nop 1
	v_cvt_f32_i32_e32 v82, v82
	v_fma_mix_f32 v82, v82, v157, v157 op_sel:[0,0,1] op_sel_hi:[0,1,1]
	v_add_f32_e32 v90, v90, v82
	v_mov_b32_e32 v82, 0
	v_dot4c_i32_i8_e32 v82, v62, v158
	v_dot4c_i32_i8_e32 v82, v63, v162
	;; [unrolled: 1-line block ×8, first 2 shown]
	v_pk_mul_f16 v157, v155, v83
	v_pk_mul_f16 v83, v156, v83
	s_nop 0
	v_cvt_f32_i32_e32 v82, v82
	v_fma_mix_f32 v82, v82, v157, v157 op_sel:[0,0,1] op_sel_hi:[0,1,1]
	v_add_f32_e32 v88, v88, v82
	v_mov_b32_e32 v82, 0
	v_dot4c_i32_i8_e32 v82, v72, v158
	v_dot4c_i32_i8_e32 v82, v73, v162
	;; [unrolled: 1-line block ×8, first 2 shown]
	v_mov_b32_e32 v157, 0
	s_nop 1
	v_cvt_f32_i32_e32 v82, v82
	v_fma_mix_f32 v82, v82, v83, v83 op_sel:[0,0,1] op_sel_hi:[0,1,1]
	v_add_f32_e32 v87, v87, v82
	ds_read_b128 v[158:161], v147 offset:2048
	ds_read_b128 v[162:165], v147 offset:2064
	ds_read2_b32 v[82:83], v146 offset0:64 offset1:96
	s_waitcnt lgkmcnt(2)
	v_dot4c_i32_i8_e32 v157, v50, v158
	s_waitcnt lgkmcnt(1)
	v_dot4c_i32_i8_e32 v157, v51, v162
	v_dot4c_i32_i8_e32 v157, v54, v159
	;; [unrolled: 1-line block ×7, first 2 shown]
	s_waitcnt lgkmcnt(0)
	v_pk_mul_f16 v166, v153, v82
	s_nop 0
	v_cvt_f32_i32_e32 v157, v157
	v_fma_mix_f32 v157, v157, v166, v166 op_sel:[0,0,1] op_sel_hi:[0,1,1]
	v_add_f32_e32 v85, v85, v157
	v_mov_b32_e32 v157, 0
	v_dot4c_i32_i8_e32 v157, v52, v158
	v_dot4c_i32_i8_e32 v157, v53, v162
	;; [unrolled: 1-line block ×8, first 2 shown]
	v_pk_mul_f16 v166, v154, v82
	s_nop 1
	v_cvt_f32_i32_e32 v157, v157
	v_fma_mix_f32 v157, v157, v166, v166 op_sel:[0,0,1] op_sel_hi:[0,1,1]
	v_add_f32_e32 v49, v49, v157
	v_mov_b32_e32 v157, 0
	v_dot4c_i32_i8_e32 v157, v62, v158
	v_dot4c_i32_i8_e32 v157, v63, v162
	;; [unrolled: 1-line block ×8, first 2 shown]
	v_pk_mul_f16 v166, v155, v82
	v_pk_mul_f16 v82, v156, v82
	s_nop 0
	v_cvt_f32_i32_e32 v157, v157
	v_fma_mix_f32 v157, v157, v166, v166 op_sel:[0,0,1] op_sel_hi:[0,1,1]
	v_add_f32_e32 v43, v43, v157
	v_mov_b32_e32 v157, 0
	v_dot4c_i32_i8_e32 v157, v72, v158
	v_dot4c_i32_i8_e32 v157, v73, v162
	;; [unrolled: 1-line block ×8, first 2 shown]
	ds_read_b128 v[158:161], v147 offset:3072
	ds_read_b128 v[162:165], v147 offset:3088
	s_nop 0
	v_cvt_f32_i32_e32 v157, v157
	v_fma_mix_f32 v82, v157, v82, v82 op_sel:[0,0,1] op_sel_hi:[0,1,1]
	v_add_f32_e32 v41, v41, v82
	v_mov_b32_e32 v82, 0
	s_waitcnt lgkmcnt(1)
	v_dot4c_i32_i8_e32 v82, v50, v158
	s_waitcnt lgkmcnt(0)
	v_dot4c_i32_i8_e32 v82, v51, v162
	v_dot4c_i32_i8_e32 v82, v54, v159
	;; [unrolled: 1-line block ×7, first 2 shown]
	v_pk_mul_f16 v157, v153, v83
	s_nop 1
	v_cvt_f32_i32_e32 v82, v82
	v_fma_mix_f32 v82, v82, v157, v157 op_sel:[0,0,1] op_sel_hi:[0,1,1]
	v_add_f32_e32 v39, v39, v82
	v_mov_b32_e32 v82, 0
	v_dot4c_i32_i8_e32 v82, v52, v158
	v_dot4c_i32_i8_e32 v82, v53, v162
	;; [unrolled: 1-line block ×8, first 2 shown]
	v_pk_mul_f16 v157, v154, v83
	s_nop 1
	v_cvt_f32_i32_e32 v82, v82
	v_fma_mix_f32 v82, v82, v157, v157 op_sel:[0,0,1] op_sel_hi:[0,1,1]
	v_add_f32_e32 v37, v37, v82
	v_mov_b32_e32 v82, 0
	v_dot4c_i32_i8_e32 v82, v62, v158
	v_dot4c_i32_i8_e32 v82, v63, v162
	;; [unrolled: 1-line block ×8, first 2 shown]
	v_pk_mul_f16 v157, v155, v83
	v_pk_mul_f16 v83, v156, v83
	s_nop 0
	v_cvt_f32_i32_e32 v82, v82
	v_fma_mix_f32 v82, v82, v157, v157 op_sel:[0,0,1] op_sel_hi:[0,1,1]
	v_add_f32_e32 v35, v35, v82
	v_mov_b32_e32 v82, 0
	v_dot4c_i32_i8_e32 v82, v72, v158
	v_dot4c_i32_i8_e32 v82, v73, v162
	;; [unrolled: 1-line block ×8, first 2 shown]
	v_mov_b32_e32 v157, 0
	s_nop 1
	v_cvt_f32_i32_e32 v82, v82
	v_fma_mix_f32 v82, v82, v83, v83 op_sel:[0,0,1] op_sel_hi:[0,1,1]
	v_add_f32_e32 v33, v33, v82
	ds_read_b128 v[158:161], v147 offset:4096
	ds_read_b128 v[162:165], v147 offset:4112
	ds_read2_b32 v[82:83], v146 offset0:128 offset1:160
	s_waitcnt lgkmcnt(2)
	v_dot4c_i32_i8_e32 v157, v50, v158
	s_waitcnt lgkmcnt(1)
	v_dot4c_i32_i8_e32 v157, v51, v162
	v_dot4c_i32_i8_e32 v157, v54, v159
	v_dot4c_i32_i8_e32 v157, v55, v163
	v_dot4c_i32_i8_e32 v157, v56, v160
	v_dot4c_i32_i8_e32 v157, v57, v164
	v_dot4c_i32_i8_e32 v157, v60, v161
	v_dot4c_i32_i8_e32 v157, v61, v165
	s_waitcnt lgkmcnt(0)
	v_pk_mul_f16 v166, v153, v82
	s_nop 0
	v_cvt_f32_i32_e32 v157, v157
	v_fma_mix_f32 v157, v157, v166, v166 op_sel:[0,0,1] op_sel_hi:[0,1,1]
	v_add_f32_e32 v31, v31, v157
	v_mov_b32_e32 v157, 0
	v_dot4c_i32_i8_e32 v157, v52, v158
	v_dot4c_i32_i8_e32 v157, v53, v162
	;; [unrolled: 1-line block ×8, first 2 shown]
	v_pk_mul_f16 v166, v154, v82
	s_nop 1
	v_cvt_f32_i32_e32 v157, v157
	v_fma_mix_f32 v157, v157, v166, v166 op_sel:[0,0,1] op_sel_hi:[0,1,1]
	v_add_f32_e32 v29, v29, v157
	v_mov_b32_e32 v157, 0
	v_dot4c_i32_i8_e32 v157, v62, v158
	v_dot4c_i32_i8_e32 v157, v63, v162
	v_dot4c_i32_i8_e32 v157, v66, v159
	v_dot4c_i32_i8_e32 v157, v67, v163
	v_dot4c_i32_i8_e32 v157, v70, v160
	v_dot4c_i32_i8_e32 v157, v71, v164
	v_dot4c_i32_i8_e32 v157, v74, v161
	v_dot4c_i32_i8_e32 v157, v75, v165
	v_pk_mul_f16 v166, v155, v82
	v_pk_mul_f16 v82, v156, v82
	s_nop 0
	v_cvt_f32_i32_e32 v157, v157
	v_fma_mix_f32 v157, v157, v166, v166 op_sel:[0,0,1] op_sel_hi:[0,1,1]
	v_add_f32_e32 v27, v27, v157
	v_mov_b32_e32 v157, 0
	v_dot4c_i32_i8_e32 v157, v72, v158
	v_dot4c_i32_i8_e32 v157, v73, v162
	;; [unrolled: 1-line block ×8, first 2 shown]
	ds_read_b128 v[158:161], v147 offset:5120
	ds_read_b128 v[162:165], v147 offset:5136
	s_nop 0
	v_cvt_f32_i32_e32 v157, v157
	v_fma_mix_f32 v82, v157, v82, v82 op_sel:[0,0,1] op_sel_hi:[0,1,1]
	v_add_f32_e32 v25, v25, v82
	v_mov_b32_e32 v82, 0
	s_waitcnt lgkmcnt(1)
	v_dot4c_i32_i8_e32 v82, v50, v158
	s_waitcnt lgkmcnt(0)
	v_dot4c_i32_i8_e32 v82, v51, v162
	v_dot4c_i32_i8_e32 v82, v54, v159
	;; [unrolled: 1-line block ×7, first 2 shown]
	v_pk_mul_f16 v157, v153, v83
	s_nop 1
	v_cvt_f32_i32_e32 v82, v82
	v_fma_mix_f32 v82, v82, v157, v157 op_sel:[0,0,1] op_sel_hi:[0,1,1]
	v_add_f32_e32 v23, v23, v82
	v_mov_b32_e32 v82, 0
	v_dot4c_i32_i8_e32 v82, v52, v158
	v_dot4c_i32_i8_e32 v82, v53, v162
	v_dot4c_i32_i8_e32 v82, v58, v159
	v_dot4c_i32_i8_e32 v82, v59, v163
	v_dot4c_i32_i8_e32 v82, v64, v160
	v_dot4c_i32_i8_e32 v82, v65, v164
	v_dot4c_i32_i8_e32 v82, v68, v161
	v_dot4c_i32_i8_e32 v82, v69, v165
	v_pk_mul_f16 v157, v154, v83
	s_nop 1
	v_cvt_f32_i32_e32 v82, v82
	v_fma_mix_f32 v82, v82, v157, v157 op_sel:[0,0,1] op_sel_hi:[0,1,1]
	v_add_f32_e32 v21, v21, v82
	v_mov_b32_e32 v82, 0
	v_dot4c_i32_i8_e32 v82, v62, v158
	v_dot4c_i32_i8_e32 v82, v63, v162
	;; [unrolled: 1-line block ×8, first 2 shown]
	v_pk_mul_f16 v157, v155, v83
	v_pk_mul_f16 v83, v156, v83
	s_nop 0
	v_cvt_f32_i32_e32 v82, v82
	v_fma_mix_f32 v82, v82, v157, v157 op_sel:[0,0,1] op_sel_hi:[0,1,1]
	v_add_f32_e32 v19, v19, v82
	v_mov_b32_e32 v82, 0
	v_dot4c_i32_i8_e32 v82, v72, v158
	v_dot4c_i32_i8_e32 v82, v73, v162
	;; [unrolled: 1-line block ×8, first 2 shown]
	v_mov_b32_e32 v157, 0
	s_nop 1
	v_cvt_f32_i32_e32 v82, v82
	v_fma_mix_f32 v82, v82, v83, v83 op_sel:[0,0,1] op_sel_hi:[0,1,1]
	v_add_f32_e32 v17, v17, v82
	ds_read_b128 v[158:161], v147 offset:6144
	ds_read_b128 v[162:165], v147 offset:6160
	ds_read2_b32 v[82:83], v146 offset0:192 offset1:224
	v_add_u32_e32 v146, 4, v146
	s_waitcnt lgkmcnt(2)
	v_dot4c_i32_i8_e32 v157, v50, v158
	s_waitcnt lgkmcnt(1)
	v_dot4c_i32_i8_e32 v157, v51, v162
	v_dot4c_i32_i8_e32 v157, v54, v159
	v_dot4c_i32_i8_e32 v157, v55, v163
	v_dot4c_i32_i8_e32 v157, v56, v160
	v_dot4c_i32_i8_e32 v157, v57, v164
	v_dot4c_i32_i8_e32 v157, v60, v161
	v_dot4c_i32_i8_e32 v157, v61, v165
	s_waitcnt lgkmcnt(0)
	v_pk_mul_f16 v166, v153, v82
	s_nop 0
	v_cvt_f32_i32_e32 v157, v157
	v_fma_mix_f32 v157, v157, v166, v166 op_sel:[0,0,1] op_sel_hi:[0,1,1]
	v_add_f32_e32 v15, v15, v157
	v_mov_b32_e32 v157, 0
	v_dot4c_i32_i8_e32 v157, v52, v158
	v_dot4c_i32_i8_e32 v157, v53, v162
	;; [unrolled: 1-line block ×8, first 2 shown]
	v_pk_mul_f16 v166, v154, v82
	s_nop 1
	v_cvt_f32_i32_e32 v157, v157
	v_fma_mix_f32 v157, v157, v166, v166 op_sel:[0,0,1] op_sel_hi:[0,1,1]
	v_add_f32_e32 v13, v13, v157
	v_mov_b32_e32 v157, 0
	v_dot4c_i32_i8_e32 v157, v62, v158
	v_dot4c_i32_i8_e32 v157, v63, v162
	;; [unrolled: 1-line block ×8, first 2 shown]
	v_pk_mul_f16 v166, v155, v82
	v_pk_mul_f16 v82, v156, v82
	s_nop 0
	v_cvt_f32_i32_e32 v157, v157
	v_fma_mix_f32 v157, v157, v166, v166 op_sel:[0,0,1] op_sel_hi:[0,1,1]
	v_add_f32_e32 v11, v11, v157
	v_mov_b32_e32 v157, 0
	v_dot4c_i32_i8_e32 v157, v72, v158
	v_dot4c_i32_i8_e32 v157, v73, v162
	;; [unrolled: 1-line block ×8, first 2 shown]
	ds_read_b128 v[158:161], v147 offset:7168
	ds_read_b128 v[162:165], v147 offset:7184
	v_add_u32_e32 v147, 32, v147
	v_cvt_f32_i32_e32 v157, v157
	v_fma_mix_f32 v82, v157, v82, v82 op_sel:[0,0,1] op_sel_hi:[0,1,1]
	v_add_f32_e32 v9, v9, v82
	v_mov_b32_e32 v82, 0
	s_waitcnt lgkmcnt(1)
	v_dot4c_i32_i8_e32 v82, v50, v158
	s_waitcnt lgkmcnt(0)
	v_dot4c_i32_i8_e32 v82, v51, v162
	v_dot4c_i32_i8_e32 v82, v54, v159
	v_dot4c_i32_i8_e32 v82, v55, v163
	v_dot4c_i32_i8_e32 v82, v56, v160
	v_dot4c_i32_i8_e32 v82, v57, v164
	v_dot4c_i32_i8_e32 v82, v60, v161
	v_dot4c_i32_i8_e32 v82, v61, v165
	v_pk_mul_f16 v50, v153, v83
	s_nop 1
	v_cvt_f32_i32_e32 v51, v82
	v_fma_mix_f32 v50, v51, v50, v50 op_sel:[0,0,1] op_sel_hi:[0,1,1]
	v_add_f32_e32 v7, v7, v50
	v_mov_b32_e32 v50, 0
	v_dot4c_i32_i8_e32 v50, v52, v158
	v_dot4c_i32_i8_e32 v50, v53, v162
	v_dot4c_i32_i8_e32 v50, v58, v159
	v_dot4c_i32_i8_e32 v50, v59, v163
	v_dot4c_i32_i8_e32 v50, v64, v160
	v_dot4c_i32_i8_e32 v50, v65, v164
	v_dot4c_i32_i8_e32 v50, v68, v161
	v_dot4c_i32_i8_e32 v50, v69, v165
	v_pk_mul_f16 v51, v154, v83
	s_nop 1
	v_cvt_f32_i32_e32 v50, v50
	v_fma_mix_f32 v50, v50, v51, v51 op_sel:[0,0,1] op_sel_hi:[0,1,1]
	v_add_f32_e32 v5, v5, v50
	v_mov_b32_e32 v50, 0
	v_dot4c_i32_i8_e32 v50, v62, v158
	;; [unrolled: 14-line block ×3, first 2 shown]
	v_dot4c_i32_i8_e32 v50, v73, v162
	v_dot4c_i32_i8_e32 v50, v76, v159
	;; [unrolled: 1-line block ×7, first 2 shown]
	v_pk_mul_f16 v51, v156, v83
	s_nop 1
	v_cvt_f32_i32_e32 v50, v50
	v_fma_mix_f32 v50, v50, v51, v51 op_sel:[0,0,1] op_sel_hi:[0,1,1]
	v_add_f32_e32 v1, v1, v50
	s_cbranch_scc1 .LBB143_10
; %bb.11:                               ;   in Loop: Header=BB143_6 Depth=1
	s_barrier
	s_branch .LBB143_5
.LBB143_12:
	v_mov_b32_e32 v2, v84
.LBB143_13:
	v_cmp_gt_u32_e32 vcc, s8, v89
	s_and_saveexec_b64 s[0:1], vcc
	s_cbranch_execz .LBB143_64
; %bb.14:
	v_add_u32_e32 v0, s6, v45
	v_mul_lo_u32 v10, v89, s10
	v_cmp_gt_u32_e32 vcc, s10, v0
	s_and_saveexec_b64 s[2:3], vcc
	s_cbranch_execz .LBB143_16
; %bb.15:
	v_add_u32_e32 v44, v0, v10
	v_mov_b32_e32 v45, 0
	v_cvt_f16_f32_e32 v6, v86
	v_lshlrev_b64 v[44:45], 1, v[44:45]
	s_waitcnt lgkmcnt(0)
	v_mov_b32_e32 v4, s13
	v_add_co_u32_e64 v44, s[0:1], s12, v44
	v_addc_co_u32_e64 v45, s[0:1], v4, v45, s[0:1]
	global_store_short v[44:45], v6, off
.LBB143_16:
	s_or_b64 exec, exec, s[2:3]
	v_add_u32_e32 v4, 32, v0
	v_cmp_gt_u32_e64 s[0:1], s10, v4
	s_and_saveexec_b64 s[4:5], s[0:1]
	s_cbranch_execz .LBB143_18
; %bb.17:
	v_add_u32_e32 v44, v4, v10
	v_mov_b32_e32 v45, 0
	v_cvt_f16_f32_e32 v8, v109
	v_lshlrev_b64 v[44:45], 1, v[44:45]
	s_waitcnt lgkmcnt(0)
	v_mov_b32_e32 v6, s13
	v_add_co_u32_e64 v44, s[2:3], s12, v44
	v_addc_co_u32_e64 v45, s[2:3], v6, v45, s[2:3]
	global_store_short v[44:45], v8, off
.LBB143_18:
	s_or_b64 exec, exec, s[4:5]
	v_add_u32_e32 v6, 64, v0
	v_cmp_gt_u32_e64 s[2:3], s10, v6
	s_and_saveexec_b64 s[6:7], s[2:3]
	s_cbranch_execz .LBB143_20
; %bb.19:
	v_add_u32_e32 v44, v6, v10
	v_mov_b32_e32 v45, 0
	v_cvt_f16_f32_e32 v12, v100
	v_lshlrev_b64 v[44:45], 1, v[44:45]
	s_waitcnt lgkmcnt(0)
	v_mov_b32_e32 v8, s13
	v_add_co_u32_e64 v44, s[4:5], s12, v44
	v_addc_co_u32_e64 v45, s[4:5], v8, v45, s[4:5]
	global_store_short v[44:45], v12, off
.LBB143_20:
	s_or_b64 exec, exec, s[6:7]
	v_add_u32_e32 v8, 0x60, v0
	v_cmp_gt_u32_e64 s[4:5], s10, v8
	s_and_saveexec_b64 s[14:15], s[4:5]
	s_cbranch_execz .LBB143_22
; %bb.21:
	v_add_u32_e32 v44, v8, v10
	v_mov_b32_e32 v45, 0
	v_cvt_f16_f32_e32 v12, v92
	v_lshlrev_b64 v[44:45], 1, v[44:45]
	s_waitcnt lgkmcnt(0)
	v_mov_b32_e32 v10, s13
	v_add_co_u32_e64 v44, s[6:7], s12, v44
	v_addc_co_u32_e64 v45, s[6:7], v10, v45, s[6:7]
	global_store_short v[44:45], v12, off
.LBB143_22:
	s_or_b64 exec, exec, s[14:15]
	v_add3_u32 v10, v2, s11, 8
	v_cmp_gt_u32_e64 s[6:7], s8, v10
	s_and_b64 exec, exec, s[6:7]
	s_cbranch_execz .LBB143_64
; %bb.23:
	v_mul_lo_u32 v10, v10, s10
	s_and_saveexec_b64 s[14:15], vcc
	s_cbranch_execnz .LBB143_65
; %bb.24:
	s_or_b64 exec, exec, s[14:15]
	s_and_saveexec_b64 s[14:15], s[0:1]
	s_cbranch_execnz .LBB143_66
.LBB143_25:
	s_or_b64 exec, exec, s[14:15]
	s_and_saveexec_b64 s[14:15], s[2:3]
	s_cbranch_execnz .LBB143_67
.LBB143_26:
	s_or_b64 exec, exec, s[14:15]
	s_and_saveexec_b64 s[14:15], s[4:5]
	s_cbranch_execz .LBB143_28
.LBB143_27:
	v_add_u32_e32 v44, v10, v8
	v_mov_b32_e32 v45, 0
	v_cvt_f16_f32_e32 v12, v87
	v_lshlrev_b64 v[44:45], 1, v[44:45]
	s_waitcnt lgkmcnt(0)
	v_mov_b32_e32 v10, s13
	v_add_co_u32_e64 v44, s[6:7], s12, v44
	v_addc_co_u32_e64 v45, s[6:7], v10, v45, s[6:7]
	global_store_short v[44:45], v12, off
.LBB143_28:
	s_or_b64 exec, exec, s[14:15]
	v_add3_u32 v10, v2, s11, 16
	v_cmp_gt_u32_e64 s[6:7], s8, v10
	s_and_b64 exec, exec, s[6:7]
	s_cbranch_execz .LBB143_64
; %bb.29:
	v_mul_lo_u32 v10, v10, s10
	s_and_saveexec_b64 s[14:15], vcc
	s_cbranch_execnz .LBB143_68
; %bb.30:
	s_or_b64 exec, exec, s[14:15]
	s_and_saveexec_b64 s[14:15], s[0:1]
	s_cbranch_execnz .LBB143_69
.LBB143_31:
	s_or_b64 exec, exec, s[14:15]
	s_and_saveexec_b64 s[14:15], s[2:3]
	s_cbranch_execnz .LBB143_70
.LBB143_32:
	s_or_b64 exec, exec, s[14:15]
	s_and_saveexec_b64 s[14:15], s[4:5]
	s_cbranch_execz .LBB143_34
.LBB143_33:
	v_add_u32_e32 v42, v10, v8
	v_mov_b32_e32 v43, 0
	v_cvt_f16_f32_e32 v12, v41
	v_lshlrev_b64 v[42:43], 1, v[42:43]
	s_waitcnt lgkmcnt(0)
	v_mov_b32_e32 v10, s13
	v_add_co_u32_e64 v40, s[6:7], s12, v42
	v_addc_co_u32_e64 v41, s[6:7], v10, v43, s[6:7]
	global_store_short v[40:41], v12, off
.LBB143_34:
	s_or_b64 exec, exec, s[14:15]
	v_add3_u32 v10, v2, s11, 24
	v_cmp_gt_u32_e64 s[6:7], s8, v10
	s_and_b64 exec, exec, s[6:7]
	s_cbranch_execz .LBB143_64
; %bb.35:
	v_mul_lo_u32 v10, v10, s10
	s_and_saveexec_b64 s[14:15], vcc
	s_cbranch_execnz .LBB143_71
; %bb.36:
	s_or_b64 exec, exec, s[14:15]
	s_and_saveexec_b64 s[14:15], s[0:1]
	s_cbranch_execnz .LBB143_72
.LBB143_37:
	s_or_b64 exec, exec, s[14:15]
	s_and_saveexec_b64 s[14:15], s[2:3]
	s_cbranch_execnz .LBB143_73
.LBB143_38:
	s_or_b64 exec, exec, s[14:15]
	s_and_saveexec_b64 s[14:15], s[4:5]
	s_cbranch_execz .LBB143_40
.LBB143_39:
	v_add_u32_e32 v34, v10, v8
	v_mov_b32_e32 v35, 0
	v_cvt_f16_f32_e32 v12, v33
	v_lshlrev_b64 v[34:35], 1, v[34:35]
	s_waitcnt lgkmcnt(0)
	v_mov_b32_e32 v10, s13
	v_add_co_u32_e64 v32, s[6:7], s12, v34
	v_addc_co_u32_e64 v33, s[6:7], v10, v35, s[6:7]
	global_store_short v[32:33], v12, off
.LBB143_40:
	s_or_b64 exec, exec, s[14:15]
	v_add3_u32 v10, v2, s11, 32
	v_cmp_gt_u32_e64 s[6:7], s8, v10
	s_and_b64 exec, exec, s[6:7]
	s_cbranch_execz .LBB143_64
; %bb.41:
	v_mul_lo_u32 v10, v10, s10
	s_and_saveexec_b64 s[14:15], vcc
	s_cbranch_execnz .LBB143_74
; %bb.42:
	s_or_b64 exec, exec, s[14:15]
	s_and_saveexec_b64 s[14:15], s[0:1]
	s_cbranch_execnz .LBB143_75
.LBB143_43:
	s_or_b64 exec, exec, s[14:15]
	s_and_saveexec_b64 s[14:15], s[2:3]
	s_cbranch_execnz .LBB143_76
.LBB143_44:
	s_or_b64 exec, exec, s[14:15]
	s_and_saveexec_b64 s[14:15], s[4:5]
	s_cbranch_execz .LBB143_46
.LBB143_45:
	v_add_u32_e32 v26, v10, v8
	v_mov_b32_e32 v27, 0
	v_cvt_f16_f32_e32 v12, v25
	v_lshlrev_b64 v[26:27], 1, v[26:27]
	s_waitcnt lgkmcnt(0)
	v_mov_b32_e32 v10, s13
	v_add_co_u32_e64 v24, s[6:7], s12, v26
	v_addc_co_u32_e64 v25, s[6:7], v10, v27, s[6:7]
	global_store_short v[24:25], v12, off
.LBB143_46:
	s_or_b64 exec, exec, s[14:15]
	v_add3_u32 v10, v2, s11, 40
	v_cmp_gt_u32_e64 s[6:7], s8, v10
	s_and_b64 exec, exec, s[6:7]
	s_cbranch_execz .LBB143_64
; %bb.47:
	v_mul_lo_u32 v10, v10, s10
	s_and_saveexec_b64 s[14:15], vcc
	s_cbranch_execnz .LBB143_77
; %bb.48:
	s_or_b64 exec, exec, s[14:15]
	s_and_saveexec_b64 s[14:15], s[0:1]
	s_cbranch_execnz .LBB143_78
.LBB143_49:
	s_or_b64 exec, exec, s[14:15]
	s_and_saveexec_b64 s[14:15], s[2:3]
	s_cbranch_execnz .LBB143_79
.LBB143_50:
	s_or_b64 exec, exec, s[14:15]
	s_and_saveexec_b64 s[14:15], s[4:5]
	s_cbranch_execz .LBB143_52
.LBB143_51:
	v_add_u32_e32 v18, v10, v8
	v_mov_b32_e32 v19, 0
	v_cvt_f16_f32_e32 v12, v17
	v_lshlrev_b64 v[18:19], 1, v[18:19]
	s_waitcnt lgkmcnt(0)
	v_mov_b32_e32 v10, s13
	v_add_co_u32_e64 v16, s[6:7], s12, v18
	v_addc_co_u32_e64 v17, s[6:7], v10, v19, s[6:7]
	global_store_short v[16:17], v12, off
.LBB143_52:
	s_or_b64 exec, exec, s[14:15]
	v_add3_u32 v10, v2, s11, 48
	v_cmp_gt_u32_e64 s[6:7], s8, v10
	s_and_b64 exec, exec, s[6:7]
	s_cbranch_execz .LBB143_64
; %bb.53:
	v_mul_lo_u32 v10, v10, s10
	s_and_saveexec_b64 s[14:15], vcc
	s_cbranch_execnz .LBB143_80
; %bb.54:
	s_or_b64 exec, exec, s[14:15]
	s_and_saveexec_b64 s[14:15], s[0:1]
	s_cbranch_execnz .LBB143_81
.LBB143_55:
	s_or_b64 exec, exec, s[14:15]
	s_and_saveexec_b64 s[14:15], s[2:3]
	s_cbranch_execnz .LBB143_82
.LBB143_56:
	s_or_b64 exec, exec, s[14:15]
	s_and_saveexec_b64 s[14:15], s[4:5]
	s_cbranch_execz .LBB143_58
.LBB143_57:
	v_add_u32_e32 v10, v10, v8
	v_mov_b32_e32 v11, 0
	v_cvt_f16_f32_e32 v9, v9
	v_lshlrev_b64 v[10:11], 1, v[10:11]
	s_waitcnt lgkmcnt(0)
	v_mov_b32_e32 v12, s13
	v_add_co_u32_e64 v10, s[6:7], s12, v10
	v_addc_co_u32_e64 v11, s[6:7], v12, v11, s[6:7]
	global_store_short v[10:11], v9, off
.LBB143_58:
	s_or_b64 exec, exec, s[14:15]
	v_add3_u32 v2, v2, s11, 56
	v_cmp_gt_u32_e64 s[6:7], s8, v2
	s_and_b64 exec, exec, s[6:7]
	s_cbranch_execz .LBB143_64
; %bb.59:
	v_mul_lo_u32 v2, v2, s10
	s_and_saveexec_b64 s[6:7], vcc
	s_cbranch_execnz .LBB143_83
; %bb.60:
	s_or_b64 exec, exec, s[6:7]
	s_and_saveexec_b64 s[6:7], s[0:1]
	s_cbranch_execnz .LBB143_84
.LBB143_61:
	s_or_b64 exec, exec, s[6:7]
	s_and_saveexec_b64 s[0:1], s[2:3]
	s_cbranch_execnz .LBB143_85
.LBB143_62:
	s_or_b64 exec, exec, s[0:1]
	s_and_b64 exec, exec, s[4:5]
	s_cbranch_execz .LBB143_64
.LBB143_63:
	v_add_u32_e32 v2, v2, v8
	v_mov_b32_e32 v3, 0
	v_cvt_f16_f32_e32 v5, v1
	v_lshlrev_b64 v[2:3], 1, v[2:3]
	s_waitcnt lgkmcnt(0)
	v_mov_b32_e32 v4, s13
	v_add_co_u32_e32 v0, vcc, s12, v2
	v_addc_co_u32_e32 v1, vcc, v4, v3, vcc
	global_store_short v[0:1], v5, off
.LBB143_64:
	s_endpgm
.LBB143_65:
	v_add_u32_e32 v44, v10, v0
	v_mov_b32_e32 v45, 0
	v_cvt_f16_f32_e32 v14, v91
	v_lshlrev_b64 v[44:45], 1, v[44:45]
	s_waitcnt lgkmcnt(0)
	v_mov_b32_e32 v12, s13
	v_add_co_u32_e64 v44, s[6:7], s12, v44
	v_addc_co_u32_e64 v45, s[6:7], v12, v45, s[6:7]
	global_store_short v[44:45], v14, off
	s_or_b64 exec, exec, s[14:15]
	s_and_saveexec_b64 s[14:15], s[0:1]
	s_cbranch_execz .LBB143_25
.LBB143_66:
	v_add_u32_e32 v44, v10, v4
	v_mov_b32_e32 v45, 0
	v_cvt_f16_f32_e32 v14, v90
	v_lshlrev_b64 v[44:45], 1, v[44:45]
	s_waitcnt lgkmcnt(0)
	v_mov_b32_e32 v12, s13
	v_add_co_u32_e64 v44, s[6:7], s12, v44
	v_addc_co_u32_e64 v45, s[6:7], v12, v45, s[6:7]
	global_store_short v[44:45], v14, off
	s_or_b64 exec, exec, s[14:15]
	s_and_saveexec_b64 s[14:15], s[2:3]
	s_cbranch_execz .LBB143_26
.LBB143_67:
	v_add_u32_e32 v44, v10, v6
	v_mov_b32_e32 v45, 0
	v_cvt_f16_f32_e32 v14, v88
	v_lshlrev_b64 v[44:45], 1, v[44:45]
	s_waitcnt lgkmcnt(0)
	v_mov_b32_e32 v12, s13
	v_add_co_u32_e64 v44, s[6:7], s12, v44
	v_addc_co_u32_e64 v45, s[6:7], v12, v45, s[6:7]
	global_store_short v[44:45], v14, off
	s_or_b64 exec, exec, s[14:15]
	s_and_saveexec_b64 s[14:15], s[4:5]
	s_cbranch_execnz .LBB143_27
	s_branch .LBB143_28
.LBB143_68:
	v_add_u32_e32 v44, v10, v0
	v_mov_b32_e32 v45, 0
	v_cvt_f16_f32_e32 v14, v85
	v_lshlrev_b64 v[44:45], 1, v[44:45]
	s_waitcnt lgkmcnt(0)
	v_mov_b32_e32 v12, s13
	v_add_co_u32_e64 v44, s[6:7], s12, v44
	v_addc_co_u32_e64 v45, s[6:7], v12, v45, s[6:7]
	global_store_short v[44:45], v14, off
	s_or_b64 exec, exec, s[14:15]
	s_and_saveexec_b64 s[14:15], s[0:1]
	s_cbranch_execz .LBB143_31
.LBB143_69:
	v_add_u32_e32 v44, v10, v4
	v_mov_b32_e32 v45, 0
	v_cvt_f16_f32_e32 v14, v49
	v_lshlrev_b64 v[44:45], 1, v[44:45]
	s_waitcnt lgkmcnt(0)
	v_mov_b32_e32 v12, s13
	v_add_co_u32_e64 v44, s[6:7], s12, v44
	v_addc_co_u32_e64 v45, s[6:7], v12, v45, s[6:7]
	global_store_short v[44:45], v14, off
	s_or_b64 exec, exec, s[14:15]
	s_and_saveexec_b64 s[14:15], s[2:3]
	s_cbranch_execz .LBB143_32
.LBB143_70:
	v_add_u32_e32 v44, v10, v6
	v_mov_b32_e32 v45, 0
	v_cvt_f16_f32_e32 v14, v43
	v_lshlrev_b64 v[44:45], 1, v[44:45]
	s_waitcnt lgkmcnt(0)
	v_mov_b32_e32 v12, s13
	v_add_co_u32_e64 v42, s[6:7], s12, v44
	v_addc_co_u32_e64 v43, s[6:7], v12, v45, s[6:7]
	global_store_short v[42:43], v14, off
	s_or_b64 exec, exec, s[14:15]
	s_and_saveexec_b64 s[14:15], s[4:5]
	s_cbranch_execnz .LBB143_33
	s_branch .LBB143_34
.LBB143_71:
	v_add_u32_e32 v40, v10, v0
	v_mov_b32_e32 v41, 0
	v_cvt_f16_f32_e32 v14, v39
	v_lshlrev_b64 v[40:41], 1, v[40:41]
	s_waitcnt lgkmcnt(0)
	v_mov_b32_e32 v12, s13
	v_add_co_u32_e64 v38, s[6:7], s12, v40
	v_addc_co_u32_e64 v39, s[6:7], v12, v41, s[6:7]
	global_store_short v[38:39], v14, off
	s_or_b64 exec, exec, s[14:15]
	s_and_saveexec_b64 s[14:15], s[0:1]
	s_cbranch_execz .LBB143_37
.LBB143_72:
	v_add_u32_e32 v38, v10, v4
	v_mov_b32_e32 v39, 0
	v_cvt_f16_f32_e32 v14, v37
	v_lshlrev_b64 v[38:39], 1, v[38:39]
	s_waitcnt lgkmcnt(0)
	v_mov_b32_e32 v12, s13
	v_add_co_u32_e64 v36, s[6:7], s12, v38
	v_addc_co_u32_e64 v37, s[6:7], v12, v39, s[6:7]
	global_store_short v[36:37], v14, off
	s_or_b64 exec, exec, s[14:15]
	s_and_saveexec_b64 s[14:15], s[2:3]
	s_cbranch_execz .LBB143_38
.LBB143_73:
	v_add_u32_e32 v36, v10, v6
	v_mov_b32_e32 v37, 0
	v_cvt_f16_f32_e32 v14, v35
	v_lshlrev_b64 v[36:37], 1, v[36:37]
	s_waitcnt lgkmcnt(0)
	v_mov_b32_e32 v12, s13
	v_add_co_u32_e64 v34, s[6:7], s12, v36
	v_addc_co_u32_e64 v35, s[6:7], v12, v37, s[6:7]
	global_store_short v[34:35], v14, off
	s_or_b64 exec, exec, s[14:15]
	s_and_saveexec_b64 s[14:15], s[4:5]
	s_cbranch_execnz .LBB143_39
	s_branch .LBB143_40
.LBB143_74:
	v_add_u32_e32 v32, v10, v0
	v_mov_b32_e32 v33, 0
	v_cvt_f16_f32_e32 v14, v31
	v_lshlrev_b64 v[32:33], 1, v[32:33]
	s_waitcnt lgkmcnt(0)
	v_mov_b32_e32 v12, s13
	v_add_co_u32_e64 v30, s[6:7], s12, v32
	v_addc_co_u32_e64 v31, s[6:7], v12, v33, s[6:7]
	global_store_short v[30:31], v14, off
	s_or_b64 exec, exec, s[14:15]
	s_and_saveexec_b64 s[14:15], s[0:1]
	s_cbranch_execz .LBB143_43
.LBB143_75:
	v_add_u32_e32 v30, v10, v4
	v_mov_b32_e32 v31, 0
	v_cvt_f16_f32_e32 v14, v29
	v_lshlrev_b64 v[30:31], 1, v[30:31]
	s_waitcnt lgkmcnt(0)
	v_mov_b32_e32 v12, s13
	v_add_co_u32_e64 v28, s[6:7], s12, v30
	v_addc_co_u32_e64 v29, s[6:7], v12, v31, s[6:7]
	global_store_short v[28:29], v14, off
	s_or_b64 exec, exec, s[14:15]
	s_and_saveexec_b64 s[14:15], s[2:3]
	s_cbranch_execz .LBB143_44
.LBB143_76:
	v_add_u32_e32 v28, v10, v6
	v_mov_b32_e32 v29, 0
	v_cvt_f16_f32_e32 v14, v27
	v_lshlrev_b64 v[28:29], 1, v[28:29]
	s_waitcnt lgkmcnt(0)
	v_mov_b32_e32 v12, s13
	v_add_co_u32_e64 v26, s[6:7], s12, v28
	v_addc_co_u32_e64 v27, s[6:7], v12, v29, s[6:7]
	global_store_short v[26:27], v14, off
	s_or_b64 exec, exec, s[14:15]
	s_and_saveexec_b64 s[14:15], s[4:5]
	s_cbranch_execnz .LBB143_45
	s_branch .LBB143_46
.LBB143_77:
	v_add_u32_e32 v24, v10, v0
	v_mov_b32_e32 v25, 0
	v_cvt_f16_f32_e32 v14, v23
	v_lshlrev_b64 v[24:25], 1, v[24:25]
	s_waitcnt lgkmcnt(0)
	v_mov_b32_e32 v12, s13
	v_add_co_u32_e64 v22, s[6:7], s12, v24
	v_addc_co_u32_e64 v23, s[6:7], v12, v25, s[6:7]
	global_store_short v[22:23], v14, off
	s_or_b64 exec, exec, s[14:15]
	s_and_saveexec_b64 s[14:15], s[0:1]
	s_cbranch_execz .LBB143_49
.LBB143_78:
	v_add_u32_e32 v22, v10, v4
	v_mov_b32_e32 v23, 0
	v_cvt_f16_f32_e32 v14, v21
	v_lshlrev_b64 v[22:23], 1, v[22:23]
	s_waitcnt lgkmcnt(0)
	v_mov_b32_e32 v12, s13
	v_add_co_u32_e64 v20, s[6:7], s12, v22
	v_addc_co_u32_e64 v21, s[6:7], v12, v23, s[6:7]
	global_store_short v[20:21], v14, off
	s_or_b64 exec, exec, s[14:15]
	s_and_saveexec_b64 s[14:15], s[2:3]
	s_cbranch_execz .LBB143_50
.LBB143_79:
	v_add_u32_e32 v20, v10, v6
	v_mov_b32_e32 v21, 0
	v_cvt_f16_f32_e32 v14, v19
	v_lshlrev_b64 v[20:21], 1, v[20:21]
	s_waitcnt lgkmcnt(0)
	v_mov_b32_e32 v12, s13
	v_add_co_u32_e64 v18, s[6:7], s12, v20
	v_addc_co_u32_e64 v19, s[6:7], v12, v21, s[6:7]
	global_store_short v[18:19], v14, off
	s_or_b64 exec, exec, s[14:15]
	s_and_saveexec_b64 s[14:15], s[4:5]
	s_cbranch_execnz .LBB143_51
	s_branch .LBB143_52
.LBB143_80:
	v_add_u32_e32 v16, v10, v0
	v_mov_b32_e32 v17, 0
	v_cvt_f16_f32_e32 v18, v15
	v_lshlrev_b64 v[16:17], 1, v[16:17]
	s_waitcnt lgkmcnt(0)
	v_mov_b32_e32 v12, s13
	v_add_co_u32_e64 v14, s[6:7], s12, v16
	v_addc_co_u32_e64 v15, s[6:7], v12, v17, s[6:7]
	global_store_short v[14:15], v18, off
	s_or_b64 exec, exec, s[14:15]
	s_and_saveexec_b64 s[14:15], s[0:1]
	s_cbranch_execz .LBB143_55
.LBB143_81:
	v_add_u32_e32 v14, v10, v4
	v_mov_b32_e32 v15, 0
	v_cvt_f16_f32_e32 v17, v13
	v_lshlrev_b64 v[14:15], 1, v[14:15]
	s_waitcnt lgkmcnt(0)
	v_mov_b32_e32 v16, s13
	v_add_co_u32_e64 v12, s[6:7], s12, v14
	v_addc_co_u32_e64 v13, s[6:7], v16, v15, s[6:7]
	global_store_short v[12:13], v17, off
	s_or_b64 exec, exec, s[14:15]
	s_and_saveexec_b64 s[14:15], s[2:3]
	s_cbranch_execz .LBB143_56
.LBB143_82:
	v_add_u32_e32 v12, v10, v6
	v_mov_b32_e32 v13, 0
	v_cvt_f16_f32_e32 v11, v11
	v_lshlrev_b64 v[12:13], 1, v[12:13]
	s_waitcnt lgkmcnt(0)
	v_mov_b32_e32 v14, s13
	v_add_co_u32_e64 v12, s[6:7], s12, v12
	v_addc_co_u32_e64 v13, s[6:7], v14, v13, s[6:7]
	global_store_short v[12:13], v11, off
	s_or_b64 exec, exec, s[14:15]
	s_and_saveexec_b64 s[14:15], s[4:5]
	s_cbranch_execnz .LBB143_57
	s_branch .LBB143_58
.LBB143_83:
	v_add_u32_e32 v10, v2, v0
	v_mov_b32_e32 v11, 0
	v_cvt_f16_f32_e32 v7, v7
	v_lshlrev_b64 v[10:11], 1, v[10:11]
	s_waitcnt lgkmcnt(0)
	v_mov_b32_e32 v0, s13
	v_add_co_u32_e32 v10, vcc, s12, v10
	v_addc_co_u32_e32 v11, vcc, v0, v11, vcc
	global_store_short v[10:11], v7, off
	s_or_b64 exec, exec, s[6:7]
	s_and_saveexec_b64 s[6:7], s[0:1]
	s_cbranch_execz .LBB143_61
.LBB143_84:
	v_add_u32_e32 v10, v2, v4
	v_mov_b32_e32 v11, 0
	v_cvt_f16_f32_e32 v7, v5
	v_lshlrev_b64 v[10:11], 1, v[10:11]
	s_waitcnt lgkmcnt(0)
	v_mov_b32_e32 v0, s13
	v_add_co_u32_e32 v4, vcc, s12, v10
	v_addc_co_u32_e32 v5, vcc, v0, v11, vcc
	global_store_short v[4:5], v7, off
	s_or_b64 exec, exec, s[6:7]
	s_and_saveexec_b64 s[0:1], s[2:3]
	s_cbranch_execz .LBB143_62
.LBB143_85:
	v_add_u32_e32 v4, v2, v6
	v_mov_b32_e32 v5, 0
	v_cvt_f16_f32_e32 v3, v3
	v_lshlrev_b64 v[4:5], 1, v[4:5]
	s_waitcnt lgkmcnt(0)
	v_mov_b32_e32 v0, s13
	v_add_co_u32_e32 v4, vcc, s12, v4
	v_addc_co_u32_e32 v5, vcc, v0, v5, vcc
	global_store_short v[4:5], v3, off
	s_or_b64 exec, exec, s[0:1]
	s_and_b64 exec, exec, s[4:5]
	s_cbranch_execnz .LBB143_63
	s_branch .LBB143_64
	.section	.rodata,"a",@progbits
	.p2align	6, 0x0
	.amdhsa_kernel _ZL12mul_mat_q5_1IN3c104HalfELb0EEvPKvS3_PT_iiiii
		.amdhsa_group_segment_fixed_size 46720
		.amdhsa_private_segment_fixed_size 0
		.amdhsa_kernarg_size 44
		.amdhsa_user_sgpr_count 6
		.amdhsa_user_sgpr_private_segment_buffer 1
		.amdhsa_user_sgpr_dispatch_ptr 0
		.amdhsa_user_sgpr_queue_ptr 0
		.amdhsa_user_sgpr_kernarg_segment_ptr 1
		.amdhsa_user_sgpr_dispatch_id 0
		.amdhsa_user_sgpr_flat_scratch_init 0
		.amdhsa_user_sgpr_kernarg_preload_length 0
		.amdhsa_user_sgpr_kernarg_preload_offset 0
		.amdhsa_user_sgpr_private_segment_size 0
		.amdhsa_uses_dynamic_stack 0
		.amdhsa_system_sgpr_private_segment_wavefront_offset 0
		.amdhsa_system_sgpr_workgroup_id_x 1
		.amdhsa_system_sgpr_workgroup_id_y 1
		.amdhsa_system_sgpr_workgroup_id_z 0
		.amdhsa_system_sgpr_workgroup_info 0
		.amdhsa_system_vgpr_workitem_id 1
		.amdhsa_next_free_vgpr 168
		.amdhsa_next_free_sgpr 17
		.amdhsa_accum_offset 168
		.amdhsa_reserve_vcc 1
		.amdhsa_reserve_flat_scratch 0
		.amdhsa_float_round_mode_32 0
		.amdhsa_float_round_mode_16_64 0
		.amdhsa_float_denorm_mode_32 3
		.amdhsa_float_denorm_mode_16_64 3
		.amdhsa_dx10_clamp 1
		.amdhsa_ieee_mode 1
		.amdhsa_fp16_overflow 0
		.amdhsa_tg_split 0
		.amdhsa_exception_fp_ieee_invalid_op 0
		.amdhsa_exception_fp_denorm_src 0
		.amdhsa_exception_fp_ieee_div_zero 0
		.amdhsa_exception_fp_ieee_overflow 0
		.amdhsa_exception_fp_ieee_underflow 0
		.amdhsa_exception_fp_ieee_inexact 0
		.amdhsa_exception_int_div_zero 0
	.end_amdhsa_kernel
	.section	.text._ZL12mul_mat_q5_1IN3c104HalfELb0EEvPKvS3_PT_iiiii,"axG",@progbits,_ZL12mul_mat_q5_1IN3c104HalfELb0EEvPKvS3_PT_iiiii,comdat
.Lfunc_end143:
	.size	_ZL12mul_mat_q5_1IN3c104HalfELb0EEvPKvS3_PT_iiiii, .Lfunc_end143-_ZL12mul_mat_q5_1IN3c104HalfELb0EEvPKvS3_PT_iiiii
                                        ; -- End function
	.section	.AMDGPU.csdata,"",@progbits
; Kernel info:
; codeLenInByte = 13104
; NumSgprs: 21
; NumVgprs: 168
; NumAgprs: 0
; TotalNumVgprs: 168
; ScratchSize: 0
; MemoryBound: 0
; FloatMode: 240
; IeeeMode: 1
; LDSByteSize: 46720 bytes/workgroup (compile time only)
; SGPRBlocks: 2
; VGPRBlocks: 20
; NumSGPRsForWavesPerEU: 21
; NumVGPRsForWavesPerEU: 168
; AccumOffset: 168
; Occupancy: 1
; WaveLimiterHint : 0
; COMPUTE_PGM_RSRC2:SCRATCH_EN: 0
; COMPUTE_PGM_RSRC2:USER_SGPR: 6
; COMPUTE_PGM_RSRC2:TRAP_HANDLER: 0
; COMPUTE_PGM_RSRC2:TGID_X_EN: 1
; COMPUTE_PGM_RSRC2:TGID_Y_EN: 1
; COMPUTE_PGM_RSRC2:TGID_Z_EN: 0
; COMPUTE_PGM_RSRC2:TIDIG_COMP_CNT: 1
; COMPUTE_PGM_RSRC3_GFX90A:ACCUM_OFFSET: 41
; COMPUTE_PGM_RSRC3_GFX90A:TG_SPLIT: 0
	.section	.text._ZL12mul_mat_q5_1IN3c104HalfELb1EEvPKvS3_PT_iiiii,"axG",@progbits,_ZL12mul_mat_q5_1IN3c104HalfELb1EEvPKvS3_PT_iiiii,comdat
	.globl	_ZL12mul_mat_q5_1IN3c104HalfELb1EEvPKvS3_PT_iiiii ; -- Begin function _ZL12mul_mat_q5_1IN3c104HalfELb1EEvPKvS3_PT_iiiii
	.p2align	8
	.type	_ZL12mul_mat_q5_1IN3c104HalfELb1EEvPKvS3_PT_iiiii,@function
_ZL12mul_mat_q5_1IN3c104HalfELb1EEvPKvS3_PT_iiiii: ; @_ZL12mul_mat_q5_1IN3c104HalfELb1EEvPKvS3_PT_iiiii
; %bb.0:
	s_load_dwordx4 s[8:11], s[4:5], 0x18
	s_load_dword s14, s[4:5], 0x28
	s_lshl_b32 s15, s7, 6
	v_bfe_u32 v45, v0, 10, 10
	s_waitcnt lgkmcnt(0)
	s_cmp_gt_i32 s8, 31
	s_cbranch_scc1 .LBB144_2
; %bb.1:
	v_bfe_u32 v2, v0, 10, 10
	v_and_b32_e32 v41, 0x3ff, v0
	v_add_u32_e32 v59, s15, v2
	s_mov_b64 s[0:1], 0
	s_mov_b32 s2, 0
	s_branch .LBB144_3
.LBB144_2:
	s_mov_b64 s[0:1], -1
                                        ; implicit-def: $sgpr2
                                        ; implicit-def: $vgpr2
                                        ; implicit-def: $vgpr41
                                        ; implicit-def: $vgpr59
.LBB144_3:
	s_load_dwordx2 s[12:13], s[4:5], 0x10
	s_lshl_b32 s6, s6, 7
	s_andn2_b64 vcc, exec, s[0:1]
	v_mov_b32_e32 v1, s2
	v_mov_b32_e32 v9, s2
	;; [unrolled: 1-line block ×32, first 2 shown]
	s_cbranch_vccnz .LBB144_13
; %bb.4:
	s_load_dwordx4 s[0:3], s[4:5], 0x0
	s_ashr_i32 s4, s8, 31
	s_lshr_b32 s4, s4, 27
	s_ashr_i32 s5, s11, 31
	s_add_i32 s4, s8, s4
	s_lshr_b32 s5, s5, 27
	s_ashr_i32 s4, s4, 5
	s_add_i32 s5, s11, s5
	s_ashr_i32 s11, s5, 5
	s_mul_i32 s5, s4, s6
	s_mul_hi_i32 s7, s5, 24
	s_mul_i32 s5, s5, 24
	s_waitcnt lgkmcnt(0)
	s_add_u32 s5, s0, s5
	s_addc_u32 s7, s1, s7
	s_not_b32 s0, s6
	s_add_i32 s1, s0, s9
	v_and_b32_e32 v41, 0x3ff, v0
	v_min_i32_e32 v1, s1, v45
	v_lshlrev_b32_e32 v66, 3, v41
	s_movk_i32 s0, 0x104
	v_mul_lo_u32 v4, v1, s4
	v_mad_u64_u32 v[6:7], s[16:17], v1, s0, v[66:67]
	v_add_u32_e32 v1, 8, v45
	v_min_i32_e32 v3, s1, v1
	v_mul_lo_u32 v8, v3, s4
	v_mad_u64_u32 v[10:11], s[16:17], v3, s0, v[66:67]
	v_add_u32_e32 v3, 16, v45
	v_min_i32_e32 v5, s1, v3
	;; [unrolled: 4-line block ×15, first 2 shown]
	v_lshrrev_b32_e32 v69, 3, v41
	v_mul_lo_u32 v64, v15, s4
	v_mad_u64_u32 v[66:67], s[16:17], v15, s0, v[66:67]
	v_lshl_add_u32 v15, v45, 2, v69
	v_min_i32_e32 v17, s1, v15
	v_add_u32_e32 v23, 32, v15
	v_add_u32_e32 v27, 64, v15
	;; [unrolled: 1-line block ×3, first 2 shown]
	v_min_i32_e32 v23, s1, v23
	v_min_i32_e32 v27, s1, v27
	;; [unrolled: 1-line block ×3, first 2 shown]
	v_lshlrev_b32_e32 v33, 2, v41
	v_lshrrev_b32_e32 v0, 2, v41
	v_ashrrev_i32_e32 v19, 31, v17
	v_ashrrev_i32_e32 v25, 31, v23
	v_ashrrev_i32_e32 v29, 31, v27
	v_ashrrev_i32_e32 v31, 31, v15
	v_and_b32_e32 v33, 28, v33
	v_and_b32_e32 v80, 3, v41
	v_lshrrev_b32_e32 v19, 30, v19
	v_lshrrev_b32_e32 v25, 30, v25
	;; [unrolled: 1-line block ×4, first 2 shown]
	v_add_u32_e32 v59, s15, v45
	s_add_i32 s1, s10, -1
	v_add_co_u32_e32 v78, vcc, s2, v33
	v_lshl_add_u32 v33, v45, 3, v0
	v_lshlrev_b32_e32 v2, 2, v80
	v_and_b32_e32 v68, 7, v41
	v_add_u32_e32 v19, v17, v19
	v_add_u32_e32 v25, v23, v25
	v_add_u32_e32 v29, v27, v29
	v_add_u32_e32 v31, v15, v31
	v_cvt_f64_i32_e32 v[82:83], s1
	v_mov_b32_e32 v35, s3
	v_and_b32_e32 v33, 63, v33
	v_cvt_f64_u32_e32 v[84:85], v59
	v_and_b32_e32 v19, -4, v19
	v_lshlrev_b32_e32 v21, 2, v68
	s_mov_b32 s9, 0xa200
	v_and_b32_e32 v25, -4, v25
	v_and_b32_e32 v29, -4, v29
	;; [unrolled: 1-line block ×3, first 2 shown]
	v_addc_co_u32_e32 v79, vcc, 0, v35, vcc
	v_or_b32_e32 v35, s15, v33
	v_lshl_or_b32 v33, v33, 4, v2
	v_min_f64 v[84:85], v[84:85], v[82:83]
	v_add3_u32 v19, v19, v21, s9
	v_add3_u32 v25, v25, v21, s9
	;; [unrolled: 1-line block ×4, first 2 shown]
	v_and_b32_e32 v31, 31, v41
	v_add_u32_e32 v73, 0xb280, v33
	v_cvt_i32_f64_e32 v33, v[84:85]
	v_min_i32_e32 v35, s1, v35
	v_mul_lo_u32 v75, s11, v33
	v_lshlrev_b32_e32 v31, 2, v31
	v_lshlrev_b32_e32 v33, 7, v45
	v_mad_u64_u32 v[80:81], s[16:17], v35, s11, v[80:81]
	v_or_b32_e32 v35, v33, v31
	v_add_u32_e32 v77, 0x8200, v35
	v_add_u32_e32 v35, 8, v59
	v_cvt_f64_u32_e32 v[84:85], v35
	v_lshl_or_b32 v1, v1, 7, v31
	v_min_f64 v[84:85], v[84:85], v[82:83]
	v_add_u32_e32 v116, 0x8200, v1
	v_add_u32_e32 v1, 16, v59
	v_cvt_i32_f64_e32 v35, v[84:85]
	v_cvt_f64_u32_e32 v[84:85], v1
	v_min_f64 v[84:85], v[84:85], v[82:83]
	v_cvt_i32_f64_e32 v1, v[84:85]
	v_mul_lo_u32 v117, s11, v1
	v_lshl_or_b32 v1, v3, 7, v31
	v_add_u32_e32 v118, 0x8200, v1
	v_add_u32_e32 v1, 24, v59
	v_cvt_f64_u32_e32 v[84:85], v1
	v_min_f64 v[84:85], v[84:85], v[82:83]
	v_cvt_i32_f64_e32 v1, v[84:85]
	v_mul_lo_u32 v119, s11, v1
	v_lshl_or_b32 v1, v5, 7, v31
	v_add_u32_e32 v120, 0x8200, v1
	v_add_u32_e32 v1, 32, v59
	;; [unrolled: 7-line block ×6, first 2 shown]
	v_add_u32_e32 v3, 64, v41
	v_add_u32_e32 v5, 0x60, v41
	v_lshlrev_b32_e32 v7, 5, v41
	v_lshrrev_b32_e32 v130, 3, v1
	v_and_b32_e32 v1, 0x1fc, v1
	v_and_b32_e32 v5, 0x1fc, v5
	;; [unrolled: 1-line block ×3, first 2 shown]
	v_add_u32_e32 v1, v7, v1
	v_and_b32_e32 v9, 0xfc, v41
	v_mul_lo_u32 v70, v17, s4
	v_lshlrev_b32_e32 v17, 5, v17
	v_mul_lo_u32 v72, v23, s4
	v_lshlrev_b32_e32 v23, 5, v23
	;; [unrolled: 2-line block ×4, first 2 shown]
	v_add_u32_e32 v5, v7, v5
	v_add_u32_e32 v3, v7, v3
	;; [unrolled: 1-line block ×4, first 2 shown]
	v_mov_b32_e32 v9, 0xb280
	v_add_u32_e32 v139, 0xa610, v1
	v_mov_b32_e32 v1, 0x80
	s_mov_b32 s8, 0
	v_mov_b32_e32 v49, 0
	v_mul_lo_u32 v81, s11, v35
	v_mul_u32_u24_e32 v129, 0x104, v41
	v_add_u32_e32 v131, 0xae00, v5
	v_add_u32_e32 v132, 0xaa00, v3
	;; [unrolled: 1-line block ×4, first 2 shown]
	v_lshl_add_u32 v136, v45, 4, v9
	v_add_u32_e32 v137, 0xae10, v5
	v_add_u32_e32 v138, 0xaa10, v3
	;; [unrolled: 1-line block ×3, first 2 shown]
	v_mad_u32_u24 v141, v41, s0, v1
	v_add_u32_e32 v142, v19, v17
	v_add_u32_e32 v143, v25, v23
	;; [unrolled: 1-line block ×4, first 2 shown]
	v_mov_b32_e32 v63, 0
	v_mov_b32_e32 v53, 0
	;; [unrolled: 1-line block ×31, first 2 shown]
	s_branch .LBB144_6
.LBB144_5:                              ;   in Loop: Header=BB144_6 Depth=1
	s_add_i32 s8, s8, 8
	s_cmp_ge_i32 s8, s4
	s_cbranch_scc1 .LBB144_12
.LBB144_6:                              ; =>This Loop Header: Depth=1
                                        ;     Child Loop BB144_7 Depth 2
                                        ;     Child Loop BB144_10 Depth 2
	s_mul_i32 s0, s8, 24
	s_mul_hi_u32 s1, s8, 24
	s_add_u32 s0, s5, s0
	s_addc_u32 s1, s7, s1
	v_mad_u64_u32 v[82:83], s[16:17], v0, 24, s[0:1]
	v_mad_i64_i32 v[84:85], s[16:17], v4, 24, v[82:83]
	v_add_co_u32_e32 v86, vcc, v84, v2
	v_mad_i64_i32 v[92:93], s[16:17], v16, 24, v[82:83]
	v_addc_co_u32_e32 v87, vcc, 0, v85, vcc
	v_mad_i64_i32 v[88:89], s[16:17], v8, 24, v[82:83]
	v_mad_i64_i32 v[90:91], s[16:17], v12, 24, v[82:83]
	global_load_dword v100, v[92:93], off offset:4
	global_load_dword v101, v[90:91], off offset:4
	;; [unrolled: 1-line block ×4, first 2 shown]
                                        ; kill: killed $vgpr84 killed $vgpr85
	global_load_dword v104, v[86:87], off offset:8
	v_add_co_u32_e32 v84, vcc, v88, v2
	v_addc_co_u32_e32 v85, vcc, 0, v89, vcc
	global_load_dword v105, v[84:85], off offset:8
	v_add_co_u32_e32 v84, vcc, v90, v2
	v_addc_co_u32_e32 v85, vcc, 0, v91, vcc
	global_load_dword v106, v[84:85], off offset:8
	v_add_co_u32_e32 v84, vcc, v92, v2
	v_addc_co_u32_e32 v85, vcc, 0, v93, vcc
	global_load_dword v107, v[84:85], off offset:8
	v_mad_i64_i32 v[84:85], s[16:17], v20, 24, v[82:83]
	v_add_co_u32_e32 v92, vcc, v84, v2
	v_mad_i64_i32 v[86:87], s[16:17], v24, 24, v[82:83]
	v_addc_co_u32_e32 v93, vcc, 0, v85, vcc
	v_add_co_u32_e32 v94, vcc, v86, v2
	v_mad_i64_i32 v[88:89], s[16:17], v28, 24, v[82:83]
	v_addc_co_u32_e32 v95, vcc, 0, v87, vcc
	;; [unrolled: 3-line block ×3, first 2 shown]
	v_add_co_u32_e32 v98, vcc, v90, v2
	v_addc_co_u32_e32 v99, vcc, 0, v91, vcc
	global_load_dword v108, v[98:99], off offset:8
	global_load_dword v109, v[90:91], off offset:4
	;; [unrolled: 1-line block ×6, first 2 shown]
	v_add_u32_e32 v146, s8, v80
	v_mov_b32_e32 v147, v136
	v_mov_b32_e32 v148, v135
	;; [unrolled: 1-line block ×7, first 2 shown]
	s_waitcnt vmcnt(10)
	v_ashrrev_i32_e32 v86, v2, v103
	v_lshlrev_b32_e32 v89, 4, v86
	v_lshlrev_b32_e32 v90, 11, v86
	s_waitcnt vmcnt(9)
	v_and_b32_e32 v88, 0xf0f0f0f, v104
	v_and_b32_e32 v89, 16, v89
	;; [unrolled: 1-line block ×3, first 2 shown]
	v_or3_b32 v88, v89, v88, v90
	global_load_dword v89, v[92:93], off offset:8
	s_nop 0
	global_load_dword v84, v[84:85], off offset:4
	v_lshrrev_b32_e32 v87, 4, v104
	v_lshrrev_b32_e32 v91, 12, v86
	;; [unrolled: 1-line block ×3, first 2 shown]
	v_and_b32_e32 v87, 0xf0f0f0f, v87
	v_lshlrev_b32_e32 v95, 2, v86
	v_lshlrev_b32_e32 v96, 18, v86
	;; [unrolled: 1-line block ×4, first 2 shown]
	v_and_b32_e32 v91, 16, v91
	v_and_b32_e32 v94, 0x1000, v94
	;; [unrolled: 1-line block ×5, first 2 shown]
	v_or3_b32 v87, v91, v87, v94
	v_and_b32_e32 v85, 0x10000000, v97
	v_or3_b32 v85, v87, v95, v85
	v_or3_b32 v86, v88, v96, v86
	ds_write2_b32 v6, v86, v85 offset1:1
	v_ashrrev_i32_e32 v85, v2, v102
	v_lshlrev_b32_e32 v86, 4, v85
	v_lshlrev_b32_e32 v87, 11, v85
	s_waitcnt vmcnt(10)
	v_lshrrev_b32_e32 v88, 4, v105
	v_lshrrev_b32_e32 v90, 12, v85
	v_lshrrev_b32_e32 v91, 5, v85
	v_and_b32_e32 v88, 0xf0f0f0f, v88
	v_and_b32_e32 v92, 0xf0f0f0f, v105
	v_and_b32_e32 v90, 16, v90
	v_and_b32_e32 v86, 16, v86
	v_and_b32_e32 v91, 0x1000, v91
	v_and_b32_e32 v87, 0x1000, v87
	v_or3_b32 v86, v86, v92, v87
	v_or3_b32 v87, v90, v88, v91
	v_lshlrev_b32_e32 v88, 2, v85
	v_lshlrev_b32_e32 v90, 18, v85
	v_lshlrev_b32_e32 v91, 9, v85
	v_lshlrev_b32_e32 v85, 25, v85
	v_and_b32_e32 v90, 0x100000, v90
	v_and_b32_e32 v88, 0x100000, v88
	v_and_b32_e32 v85, 0x10000000, v85
	v_and_b32_e32 v91, 0x10000000, v91
	v_or3_b32 v87, v87, v88, v91
	v_or3_b32 v85, v86, v90, v85
	ds_write2_b32 v10, v85, v87 offset1:1
	v_ashrrev_i32_e32 v85, v2, v101
	v_lshlrev_b32_e32 v86, 4, v85
	v_lshlrev_b32_e32 v87, 11, v85
	s_waitcnt vmcnt(9)
	v_lshrrev_b32_e32 v88, 4, v106
	v_lshrrev_b32_e32 v90, 12, v85
	v_lshrrev_b32_e32 v91, 5, v85
	v_and_b32_e32 v88, 0xf0f0f0f, v88
	v_and_b32_e32 v92, 0xf0f0f0f, v106
	v_and_b32_e32 v90, 16, v90
	v_and_b32_e32 v86, 16, v86
	v_and_b32_e32 v91, 0x1000, v91
	v_and_b32_e32 v87, 0x1000, v87
	v_or3_b32 v86, v86, v92, v87
	v_or3_b32 v87, v90, v88, v91
	v_lshlrev_b32_e32 v88, 2, v85
	v_lshlrev_b32_e32 v90, 18, v85
	v_lshlrev_b32_e32 v91, 9, v85
	v_lshlrev_b32_e32 v85, 25, v85
	v_and_b32_e32 v90, 0x100000, v90
	v_and_b32_e32 v88, 0x100000, v88
	v_and_b32_e32 v85, 0x10000000, v85
	;; [unrolled: 26-line block ×3, first 2 shown]
	v_and_b32_e32 v91, 0x10000000, v91
	v_or3_b32 v87, v87, v88, v91
	v_or3_b32 v85, v86, v90, v85
	s_waitcnt vmcnt(0)
	v_ashrrev_i32_e32 v84, v2, v84
	ds_write2_b32 v18, v85, v87 offset1:1
	v_lshlrev_b32_e32 v85, 4, v84
	v_lshlrev_b32_e32 v86, 11, v84
	v_lshrrev_b32_e32 v87, 4, v89
	v_and_b32_e32 v89, 0xf0f0f0f, v89
	v_and_b32_e32 v85, 16, v85
	;; [unrolled: 1-line block ×3, first 2 shown]
	v_lshrrev_b32_e32 v88, 12, v84
	v_lshrrev_b32_e32 v90, 5, v84
	v_or3_b32 v100, v85, v89, v86
	v_lshlrev_b32_e32 v85, 2, v84
	v_lshlrev_b32_e32 v86, 18, v84
	;; [unrolled: 1-line block ×4, first 2 shown]
	v_and_b32_e32 v103, 0x100000, v85
	v_and_b32_e32 v105, 0x10000000, v84
	v_mad_i64_i32 v[84:85], s[16:17], v36, 24, v[82:83]
	v_and_b32_e32 v87, 0xf0f0f0f, v87
	v_and_b32_e32 v88, 16, v88
	;; [unrolled: 1-line block ×4, first 2 shown]
	v_add_co_u32_e32 v86, vcc, v84, v2
	v_or3_b32 v101, v88, v87, v90
	v_addc_co_u32_e32 v87, vcc, 0, v85, vcc
	v_mad_i64_i32 v[88:89], s[16:17], v40, 24, v[82:83]
	v_add_co_u32_e32 v90, vcc, v88, v2
	v_addc_co_u32_e32 v91, vcc, 0, v89, vcc
	v_mad_i64_i32 v[92:93], s[16:17], v44, 24, v[82:83]
	v_add_co_u32_e32 v94, vcc, v92, v2
	v_addc_co_u32_e32 v95, vcc, 0, v93, vcc
	v_mad_i64_i32 v[96:97], s[16:17], v48, 24, v[82:83]
	v_add_co_u32_e32 v98, vcc, v96, v2
	v_addc_co_u32_e32 v99, vcc, 0, v97, vcc
	global_load_dword v98, v[98:99], off offset:8
	s_nop 0
	global_load_dword v99, v[96:97], off offset:4
	global_load_dword v106, v[94:95], off offset:8
	;; [unrolled: 1-line block ×5, first 2 shown]
	s_nop 0
	global_load_dword v86, v[86:87], off offset:8
	s_nop 0
	global_load_dword v84, v[84:85], off offset:4
	v_and_b32_e32 v85, 0x10000000, v104
	v_or3_b32 v85, v101, v103, v85
	v_or3_b32 v87, v100, v102, v105
	ds_write2_b32 v22, v87, v85 offset1:1
	v_ashrrev_i32_e32 v85, v2, v113
	v_lshlrev_b32_e32 v87, 4, v85
	v_lshlrev_b32_e32 v88, 11, v85
	v_lshrrev_b32_e32 v89, 4, v112
	v_lshrrev_b32_e32 v90, 12, v85
	v_lshrrev_b32_e32 v91, 5, v85
	v_and_b32_e32 v89, 0xf0f0f0f, v89
	v_and_b32_e32 v92, 0xf0f0f0f, v112
	v_and_b32_e32 v90, 16, v90
	v_and_b32_e32 v87, 16, v87
	v_and_b32_e32 v91, 0x1000, v91
	v_and_b32_e32 v88, 0x1000, v88
	v_or3_b32 v87, v87, v92, v88
	v_or3_b32 v88, v90, v89, v91
	v_lshlrev_b32_e32 v89, 2, v85
	v_lshlrev_b32_e32 v90, 18, v85
	v_lshlrev_b32_e32 v91, 9, v85
	v_lshlrev_b32_e32 v85, 25, v85
	v_and_b32_e32 v90, 0x100000, v90
	v_and_b32_e32 v89, 0x100000, v89
	v_and_b32_e32 v85, 0x10000000, v85
	v_and_b32_e32 v91, 0x10000000, v91
	v_or3_b32 v88, v88, v89, v91
	v_or3_b32 v85, v87, v90, v85
	ds_write2_b32 v26, v85, v88 offset1:1
	v_ashrrev_i32_e32 v85, v2, v111
	v_lshlrev_b32_e32 v87, 4, v85
	v_lshlrev_b32_e32 v88, 11, v85
	v_lshrrev_b32_e32 v89, 4, v110
	v_lshrrev_b32_e32 v90, 12, v85
	v_lshrrev_b32_e32 v91, 5, v85
	v_and_b32_e32 v89, 0xf0f0f0f, v89
	v_and_b32_e32 v92, 0xf0f0f0f, v110
	v_and_b32_e32 v90, 16, v90
	v_and_b32_e32 v87, 16, v87
	v_and_b32_e32 v91, 0x1000, v91
	v_and_b32_e32 v88, 0x1000, v88
	v_or3_b32 v87, v87, v92, v88
	v_or3_b32 v88, v90, v89, v91
	v_lshlrev_b32_e32 v89, 2, v85
	v_lshlrev_b32_e32 v90, 18, v85
	v_lshlrev_b32_e32 v91, 9, v85
	v_lshlrev_b32_e32 v85, 25, v85
	v_and_b32_e32 v90, 0x100000, v90
	v_and_b32_e32 v89, 0x100000, v89
	v_and_b32_e32 v85, 0x10000000, v85
	;; [unrolled: 25-line block ×3, first 2 shown]
	v_and_b32_e32 v91, 0x10000000, v91
	v_or3_b32 v88, v88, v89, v91
	v_or3_b32 v85, v87, v90, v85
	ds_write2_b32 v34, v85, v88 offset1:1
	s_waitcnt vmcnt(0)
	v_ashrrev_i32_e32 v84, v2, v84
	v_lshlrev_b32_e32 v85, 4, v84
	v_lshlrev_b32_e32 v87, 11, v84
	v_lshrrev_b32_e32 v88, 4, v86
	v_and_b32_e32 v86, 0xf0f0f0f, v86
	v_and_b32_e32 v85, 16, v85
	;; [unrolled: 1-line block ×3, first 2 shown]
	v_lshrrev_b32_e32 v89, 12, v84
	v_lshrrev_b32_e32 v90, 5, v84
	v_or3_b32 v100, v85, v86, v87
	v_lshlrev_b32_e32 v85, 2, v84
	v_lshlrev_b32_e32 v86, 18, v84
	;; [unrolled: 1-line block ×4, first 2 shown]
	v_and_b32_e32 v103, 0x100000, v85
	v_and_b32_e32 v105, 0x10000000, v84
	v_mad_i64_i32 v[84:85], s[16:17], v52, 24, v[82:83]
	v_and_b32_e32 v88, 0xf0f0f0f, v88
	v_and_b32_e32 v89, 16, v89
	;; [unrolled: 1-line block ×4, first 2 shown]
	v_add_co_u32_e32 v86, vcc, v84, v2
	v_or3_b32 v101, v89, v88, v90
	v_addc_co_u32_e32 v87, vcc, 0, v85, vcc
	v_mad_i64_i32 v[88:89], s[16:17], v56, 24, v[82:83]
	v_add_co_u32_e32 v90, vcc, v88, v2
	v_addc_co_u32_e32 v91, vcc, 0, v89, vcc
	v_mad_i64_i32 v[92:93], s[16:17], v60, 24, v[82:83]
	v_add_co_u32_e32 v94, vcc, v92, v2
	;; [unrolled: 3-line block ×3, first 2 shown]
	v_addc_co_u32_e32 v97, vcc, 0, v83, vcc
	global_load_dword v108, v[96:97], off offset:8
	global_load_dword v109, v[82:83], off offset:4
	;; [unrolled: 1-line block ×4, first 2 shown]
	s_nop 0
	global_load_dword v82, v[90:91], off offset:8
	global_load_dword v83, v[88:89], off offset:4
	s_nop 0
	global_load_dword v86, v[86:87], off offset:8
	s_nop 0
	global_load_dword v84, v[84:85], off offset:4
	v_and_b32_e32 v85, 0x10000000, v104
	v_or3_b32 v85, v101, v103, v85
	v_or3_b32 v87, v100, v102, v105
	ds_write2_b32 v38, v87, v85 offset1:1
	v_ashrrev_i32_e32 v85, v2, v115
	v_lshlrev_b32_e32 v87, 4, v85
	v_lshlrev_b32_e32 v88, 11, v85
	v_lshrrev_b32_e32 v89, 4, v114
	v_lshrrev_b32_e32 v90, 12, v85
	v_lshrrev_b32_e32 v91, 5, v85
	v_and_b32_e32 v89, 0xf0f0f0f, v89
	v_and_b32_e32 v92, 0xf0f0f0f, v114
	v_and_b32_e32 v90, 16, v90
	v_and_b32_e32 v87, 16, v87
	v_and_b32_e32 v91, 0x1000, v91
	v_and_b32_e32 v88, 0x1000, v88
	v_or3_b32 v87, v87, v92, v88
	v_or3_b32 v88, v90, v89, v91
	v_lshlrev_b32_e32 v89, 2, v85
	v_lshlrev_b32_e32 v90, 18, v85
	v_lshlrev_b32_e32 v91, 9, v85
	v_lshlrev_b32_e32 v85, 25, v85
	v_and_b32_e32 v90, 0x100000, v90
	v_and_b32_e32 v89, 0x100000, v89
	v_and_b32_e32 v85, 0x10000000, v85
	v_and_b32_e32 v91, 0x10000000, v91
	v_or3_b32 v88, v88, v89, v91
	v_or3_b32 v85, v87, v90, v85
	ds_write2_b32 v42, v85, v88 offset1:1
	v_ashrrev_i32_e32 v85, v2, v107
	v_lshlrev_b32_e32 v87, 4, v85
	v_lshlrev_b32_e32 v88, 11, v85
	v_lshrrev_b32_e32 v89, 4, v106
	v_lshrrev_b32_e32 v90, 12, v85
	v_lshrrev_b32_e32 v91, 5, v85
	v_and_b32_e32 v89, 0xf0f0f0f, v89
	v_and_b32_e32 v92, 0xf0f0f0f, v106
	v_and_b32_e32 v90, 16, v90
	v_and_b32_e32 v87, 16, v87
	v_and_b32_e32 v91, 0x1000, v91
	v_and_b32_e32 v88, 0x1000, v88
	v_or3_b32 v87, v87, v92, v88
	v_or3_b32 v88, v90, v89, v91
	v_lshlrev_b32_e32 v89, 2, v85
	v_lshlrev_b32_e32 v90, 18, v85
	v_lshlrev_b32_e32 v91, 9, v85
	v_lshlrev_b32_e32 v85, 25, v85
	v_and_b32_e32 v90, 0x100000, v90
	v_and_b32_e32 v89, 0x100000, v89
	v_and_b32_e32 v85, 0x10000000, v85
	;; [unrolled: 25-line block ×3, first 2 shown]
	v_and_b32_e32 v91, 0x10000000, v91
	v_or3_b32 v88, v88, v89, v91
	v_or3_b32 v85, v87, v90, v85
	ds_write2_b32 v50, v85, v88 offset1:1
	s_waitcnt vmcnt(0)
	v_ashrrev_i32_e32 v84, v2, v84
	v_lshlrev_b32_e32 v85, 4, v84
	v_lshlrev_b32_e32 v87, 11, v84
	v_lshrrev_b32_e32 v88, 4, v86
	v_lshrrev_b32_e32 v89, 12, v84
	;; [unrolled: 1-line block ×3, first 2 shown]
	v_and_b32_e32 v88, 0xf0f0f0f, v88
	v_and_b32_e32 v86, 0xf0f0f0f, v86
	;; [unrolled: 1-line block ×6, first 2 shown]
	v_or3_b32 v85, v85, v86, v87
	v_or3_b32 v86, v89, v88, v90
	v_lshlrev_b32_e32 v87, 2, v84
	v_lshlrev_b32_e32 v88, 18, v84
	;; [unrolled: 1-line block ×4, first 2 shown]
	v_and_b32_e32 v88, 0x100000, v88
	v_and_b32_e32 v87, 0x100000, v87
	;; [unrolled: 1-line block ×4, first 2 shown]
	v_ashrrev_i32_e32 v98, v2, v83
	v_lshrrev_b32_e32 v83, 4, v82
	v_or3_b32 v86, v86, v87, v89
	v_or3_b32 v84, v85, v88, v84
	v_and_b32_e32 v103, 0xf0f0f0f, v83
	v_and_b32_e32 v104, 0xf0f0f0f, v82
	v_mad_u64_u32 v[82:83], s[0:1], v68, 24, s[0:1]
	ds_write2_b32 v54, v84, v86 offset1:1
	v_mad_i64_i32 v[84:85], s[0:1], v70, 24, v[82:83]
	v_mad_i64_i32 v[86:87], s[0:1], v72, 24, v[82:83]
	;; [unrolled: 1-line block ×4, first 2 shown]
	v_add_u32_e32 v96, s8, v69
	global_load_dword v105, v[84:85], off
	global_load_dword v106, v[86:87], off
	;; [unrolled: 1-line block ×4, first 2 shown]
	v_add_u32_e32 v82, v96, v75
	v_add_u32_e32 v84, v96, v81
	;; [unrolled: 1-line block ×5, first 2 shown]
	v_mad_i64_i32 v[82:83], s[0:1], v82, 36, v[78:79]
	v_mad_i64_i32 v[84:85], s[0:1], v84, 36, v[78:79]
	;; [unrolled: 1-line block ×5, first 2 shown]
	v_add_u32_e32 v92, v96, v123
	v_add_u32_e32 v94, v96, v125
	;; [unrolled: 1-line block ×3, first 2 shown]
	v_mad_i64_i32 v[92:93], s[0:1], v92, 36, v[78:79]
	v_mad_i64_i32 v[94:95], s[0:1], v94, 36, v[78:79]
	v_mad_i64_i32 v[96:97], s[0:1], v96, 36, v[78:79]
	global_load_dword v113, v[82:83], off offset:4
	s_nop 0
	global_load_dword v84, v[84:85], off offset:4
	s_nop 0
	;; [unrolled: 2-line block ×3, first 2 shown]
	global_load_dword v86, v[88:89], off offset:4
	global_load_dword v87, v[90:91], off offset:4
	s_nop 0
	global_load_dword v88, v[92:93], off offset:4
	global_load_dword v89, v[94:95], off offset:4
	;; [unrolled: 1-line block ×3, first 2 shown]
	v_mad_u64_u32 v[82:83], s[0:1], v146, 36, s[2:3]
	global_load_dword v82, v[82:83], off
	v_lshlrev_b32_e32 v99, 4, v98
	v_lshlrev_b32_e32 v100, 11, v98
	v_lshrrev_b32_e32 v101, 12, v98
	v_lshrrev_b32_e32 v102, 5, v98
	v_and_b32_e32 v83, 16, v101
	v_and_b32_e32 v91, 16, v99
	;; [unrolled: 1-line block ×4, first 2 shown]
	v_or3_b32 v91, v91, v104, v93
	v_or3_b32 v83, v83, v103, v92
	v_lshlrev_b32_e32 v92, 2, v98
	v_lshlrev_b32_e32 v93, 18, v98
	;; [unrolled: 1-line block ×4, first 2 shown]
	v_and_b32_e32 v93, 0x100000, v93
	v_and_b32_e32 v92, 0x100000, v92
	;; [unrolled: 1-line block ×4, first 2 shown]
	v_or3_b32 v83, v83, v92, v94
	v_or3_b32 v91, v91, v93, v95
	ds_write2_b32 v58, v91, v83 offset1:1
	v_ashrrev_i32_e32 v83, v2, v111
	v_lshlrev_b32_e32 v91, 4, v83
	v_lshlrev_b32_e32 v92, 11, v83
	v_lshrrev_b32_e32 v93, 4, v110
	v_lshrrev_b32_e32 v94, 12, v83
	;; [unrolled: 1-line block ×3, first 2 shown]
	v_and_b32_e32 v93, 0xf0f0f0f, v93
	v_and_b32_e32 v96, 0xf0f0f0f, v110
	;; [unrolled: 1-line block ×6, first 2 shown]
	v_or3_b32 v91, v91, v96, v92
	v_or3_b32 v92, v94, v93, v95
	v_lshlrev_b32_e32 v93, 2, v83
	v_lshlrev_b32_e32 v94, 18, v83
	;; [unrolled: 1-line block ×4, first 2 shown]
	v_and_b32_e32 v94, 0x100000, v94
	v_and_b32_e32 v93, 0x100000, v93
	;; [unrolled: 1-line block ×4, first 2 shown]
	v_or3_b32 v92, v92, v93, v95
	v_or3_b32 v83, v91, v94, v83
	ds_write2_b32 v62, v83, v92 offset1:1
	v_ashrrev_i32_e32 v83, v2, v109
	v_lshlrev_b32_e32 v91, 4, v83
	v_lshlrev_b32_e32 v92, 11, v83
	v_lshrrev_b32_e32 v93, 4, v108
	v_lshrrev_b32_e32 v94, 12, v83
	;; [unrolled: 1-line block ×3, first 2 shown]
	v_and_b32_e32 v93, 0xf0f0f0f, v93
	v_and_b32_e32 v96, 0xf0f0f0f, v108
	v_and_b32_e32 v94, 16, v94
	v_and_b32_e32 v91, 16, v91
	v_and_b32_e32 v95, 0x1000, v95
	v_and_b32_e32 v92, 0x1000, v92
	v_or3_b32 v91, v91, v96, v92
	v_or3_b32 v92, v94, v93, v95
	v_lshlrev_b32_e32 v93, 2, v83
	v_lshlrev_b32_e32 v94, 18, v83
	;; [unrolled: 1-line block ×4, first 2 shown]
	v_and_b32_e32 v94, 0x100000, v94
	v_and_b32_e32 v93, 0x100000, v93
	;; [unrolled: 1-line block ×4, first 2 shown]
	v_or3_b32 v92, v92, v93, v95
	v_or3_b32 v83, v91, v94, v83
	s_mov_b32 s0, -4
	ds_write2_b32 v66, v83, v92 offset1:1
	s_waitcnt vmcnt(12)
	ds_write_b32 v142, v105
	s_waitcnt vmcnt(11)
	ds_write_b32 v143, v106
	;; [unrolled: 2-line block ×13, first 2 shown]
	s_waitcnt lgkmcnt(0)
	s_barrier
.LBB144_7:                              ;   Parent Loop BB144_6 Depth=1
                                        ; =>  This Inner Loop Header: Depth=2
	ds_read_b128 v[158:161], v148
	ds_read_b128 v[162:165], v148 offset:16
	ds_read2_b32 v[114:115], v147 offset1:32
	ds_read_b32 v154, v150
	ds_read2_b32 v[82:83], v149 offset1:1
	ds_read2_b32 v[86:87], v149 offset0:2 offset1:3
	ds_read2_b32 v[88:89], v149 offset0:4 offset1:5
	;; [unrolled: 1-line block ×3, first 2 shown]
	v_mov_b32_e32 v84, 0
	s_waitcnt lgkmcnt(3)
	v_dot4c_i32_i8_e32 v84, v82, v158
	v_dot4c_i32_i8_e32 v84, v83, v162
	s_waitcnt lgkmcnt(2)
	v_dot4c_i32_i8_e32 v84, v86, v159
	v_dot4c_i32_i8_e32 v84, v87, v163
	;; [unrolled: 3-line block ×4, first 2 shown]
	v_pk_mul_f16 v85, v114, v154
	v_add_u32_e32 v90, 0x2088, v149
	v_add_u32_e32 v95, 0x2090, v149
	v_cvt_f32_i32_e32 v84, v84
	v_mov_b32_e32 v94, 0
	v_add_u32_e32 v98, 0x4108, v149
	v_add_u32_e32 v102, 0x4110, v149
	v_fma_mix_f32 v84, v85, v84, v85 op_sel:[0,0,1] op_sel_hi:[1,0,1]
	v_add_f32_e32 v49, v49, v84
	v_add_u32_e32 v84, 0x2080, v149
	ds_read_b32 v155, v151
	ds_read2_b32 v[84:85], v84 offset1:1
	ds_read2_b32 v[90:91], v90 offset1:1
	ds_read2_b32 v[96:97], v95 offset1:1
	v_add_u32_e32 v95, 0x2098, v149
	ds_read2_b32 v[100:101], v95 offset1:1
	s_waitcnt lgkmcnt(3)
	v_dot4c_i32_i8_e32 v94, v84, v158
	v_dot4c_i32_i8_e32 v94, v85, v162
	s_waitcnt lgkmcnt(2)
	v_dot4c_i32_i8_e32 v94, v90, v159
	v_dot4c_i32_i8_e32 v94, v91, v163
	;; [unrolled: 3-line block ×4, first 2 shown]
	v_pk_mul_f16 v95, v114, v155
	v_mov_b32_e32 v104, 0
	v_add_u32_e32 v105, 0x4118, v149
	v_cvt_f32_i32_e32 v94, v94
	v_add_u32_e32 v108, 0x6188, v149
	v_add_u32_e32 v110, 0x6190, v149
	v_mov_b32_e32 v166, 0
	v_fma_mix_f32 v94, v95, v94, v95 op_sel:[0,0,1] op_sel_hi:[1,0,1]
	v_add_f32_e32 v71, v71, v94
	v_add_u32_e32 v94, 0x4100, v149
	ds_read_b32 v156, v152
	ds_read2_b32 v[94:95], v94 offset1:1
	ds_read2_b32 v[98:99], v98 offset1:1
	;; [unrolled: 1-line block ×4, first 2 shown]
	s_waitcnt lgkmcnt(4)
	v_pk_mul_f16 v105, v114, v156
	s_waitcnt lgkmcnt(3)
	v_dot4c_i32_i8_e32 v104, v94, v158
	v_dot4c_i32_i8_e32 v104, v95, v162
	s_waitcnt lgkmcnt(2)
	v_dot4c_i32_i8_e32 v104, v98, v159
	v_dot4c_i32_i8_e32 v104, v99, v163
	;; [unrolled: 3-line block ×4, first 2 shown]
	v_add_u32_e32 v112, 0x6198, v149
	s_add_i32 s0, s0, 4
	v_add_u32_e32 v152, 4, v152
	v_cvt_f32_i32_e32 v104, v104
	v_add_u32_e32 v151, 4, v151
	v_add_u32_e32 v150, 4, v150
	s_cmp_lt_u32 s0, 12
	v_fma_mix_f32 v104, v105, v104, v105 op_sel:[0,0,1] op_sel_hi:[1,0,1]
	v_add_f32_e32 v67, v67, v104
	v_add_u32_e32 v104, 0x6180, v149
	ds_read_b32 v157, v153
	ds_read2_b32 v[104:105], v104 offset1:1
	ds_read2_b32 v[108:109], v108 offset1:1
	;; [unrolled: 1-line block ×4, first 2 shown]
	s_waitcnt lgkmcnt(4)
	v_pk_mul_f16 v114, v114, v157
	s_waitcnt lgkmcnt(3)
	v_dot4c_i32_i8_e32 v166, v104, v158
	v_dot4c_i32_i8_e32 v166, v105, v162
	s_waitcnt lgkmcnt(2)
	v_dot4c_i32_i8_e32 v166, v108, v159
	v_dot4c_i32_i8_e32 v166, v109, v163
	;; [unrolled: 3-line block ×4, first 2 shown]
	v_add_u32_e32 v153, 4, v153
	v_add_u32_e32 v149, 32, v149
	s_nop 0
	v_cvt_f32_i32_e32 v158, v166
	v_pk_mul_f16 v166, v154, v115
	v_fma_mix_f32 v114, v114, v158, v114 op_sel:[0,0,1] op_sel_hi:[1,0,1]
	ds_read_b128 v[158:161], v148 offset:1024
	ds_read_b128 v[162:165], v148 offset:1040
	v_add_f32_e32 v65, v65, v114
	v_mov_b32_e32 v114, 0
	s_waitcnt lgkmcnt(1)
	v_dot4c_i32_i8_e32 v114, v82, v158
	s_waitcnt lgkmcnt(0)
	v_dot4c_i32_i8_e32 v114, v83, v162
	v_dot4c_i32_i8_e32 v114, v86, v159
	;; [unrolled: 1-line block ×7, first 2 shown]
	s_nop 2
	v_cvt_f32_i32_e32 v114, v114
	v_fma_mix_f32 v114, v114, v166, v166 op_sel:[0,0,1] op_sel_hi:[0,1,1]
	v_add_f32_e32 v63, v63, v114
	v_mov_b32_e32 v114, 0
	v_dot4c_i32_i8_e32 v114, v84, v158
	v_dot4c_i32_i8_e32 v114, v85, v162
	;; [unrolled: 1-line block ×8, first 2 shown]
	v_pk_mul_f16 v166, v155, v115
	s_nop 1
	v_cvt_f32_i32_e32 v114, v114
	v_fma_mix_f32 v114, v114, v166, v166 op_sel:[0,0,1] op_sel_hi:[0,1,1]
	v_add_f32_e32 v61, v61, v114
	v_mov_b32_e32 v114, 0
	v_dot4c_i32_i8_e32 v114, v94, v158
	v_dot4c_i32_i8_e32 v114, v95, v162
	;; [unrolled: 1-line block ×8, first 2 shown]
	v_pk_mul_f16 v166, v156, v115
	v_pk_mul_f16 v115, v157, v115
	s_nop 0
	v_cvt_f32_i32_e32 v114, v114
	v_fma_mix_f32 v114, v114, v166, v166 op_sel:[0,0,1] op_sel_hi:[0,1,1]
	v_add_f32_e32 v57, v57, v114
	v_mov_b32_e32 v114, 0
	v_dot4c_i32_i8_e32 v114, v104, v158
	v_dot4c_i32_i8_e32 v114, v105, v162
	;; [unrolled: 1-line block ×8, first 2 shown]
	v_mov_b32_e32 v166, 0
	s_nop 1
	v_cvt_f32_i32_e32 v114, v114
	v_fma_mix_f32 v114, v114, v115, v115 op_sel:[0,0,1] op_sel_hi:[0,1,1]
	v_add_f32_e32 v55, v55, v114
	ds_read_b128 v[158:161], v148 offset:2048
	ds_read_b128 v[162:165], v148 offset:2064
	ds_read2_b32 v[114:115], v147 offset0:64 offset1:96
	s_waitcnt lgkmcnt(2)
	v_dot4c_i32_i8_e32 v166, v82, v158
	s_waitcnt lgkmcnt(1)
	v_dot4c_i32_i8_e32 v166, v83, v162
	v_dot4c_i32_i8_e32 v166, v86, v159
	;; [unrolled: 1-line block ×7, first 2 shown]
	s_waitcnt lgkmcnt(0)
	v_pk_mul_f16 v167, v154, v114
	s_nop 0
	v_cvt_f32_i32_e32 v166, v166
	v_fma_mix_f32 v166, v166, v167, v167 op_sel:[0,0,1] op_sel_hi:[0,1,1]
	v_add_f32_e32 v53, v53, v166
	v_mov_b32_e32 v166, 0
	v_dot4c_i32_i8_e32 v166, v84, v158
	v_dot4c_i32_i8_e32 v166, v85, v162
	;; [unrolled: 1-line block ×8, first 2 shown]
	v_pk_mul_f16 v167, v155, v114
	s_nop 1
	v_cvt_f32_i32_e32 v166, v166
	v_fma_mix_f32 v166, v166, v167, v167 op_sel:[0,0,1] op_sel_hi:[0,1,1]
	v_add_f32_e32 v51, v51, v166
	v_mov_b32_e32 v166, 0
	v_dot4c_i32_i8_e32 v166, v94, v158
	v_dot4c_i32_i8_e32 v166, v95, v162
	;; [unrolled: 1-line block ×8, first 2 shown]
	v_pk_mul_f16 v167, v156, v114
	v_pk_mul_f16 v114, v157, v114
	s_nop 0
	v_cvt_f32_i32_e32 v166, v166
	v_fma_mix_f32 v166, v166, v167, v167 op_sel:[0,0,1] op_sel_hi:[0,1,1]
	v_add_f32_e32 v47, v47, v166
	v_mov_b32_e32 v166, 0
	v_dot4c_i32_i8_e32 v166, v104, v158
	v_dot4c_i32_i8_e32 v166, v105, v162
	;; [unrolled: 1-line block ×8, first 2 shown]
	s_nop 2
	v_cvt_f32_i32_e32 v158, v166
	v_pk_mul_f16 v166, v154, v115
	v_fma_mix_f32 v114, v158, v114, v114 op_sel:[0,0,1] op_sel_hi:[0,1,1]
	ds_read_b128 v[158:161], v148 offset:3072
	ds_read_b128 v[162:165], v148 offset:3088
	v_add_f32_e32 v43, v43, v114
	v_mov_b32_e32 v114, 0
	s_waitcnt lgkmcnt(1)
	v_dot4c_i32_i8_e32 v114, v82, v158
	s_waitcnt lgkmcnt(0)
	v_dot4c_i32_i8_e32 v114, v83, v162
	v_dot4c_i32_i8_e32 v114, v86, v159
	;; [unrolled: 1-line block ×7, first 2 shown]
	s_nop 2
	v_cvt_f32_i32_e32 v114, v114
	v_fma_mix_f32 v114, v114, v166, v166 op_sel:[0,0,1] op_sel_hi:[0,1,1]
	v_add_f32_e32 v39, v39, v114
	v_mov_b32_e32 v114, 0
	v_dot4c_i32_i8_e32 v114, v84, v158
	v_dot4c_i32_i8_e32 v114, v85, v162
	;; [unrolled: 1-line block ×8, first 2 shown]
	v_pk_mul_f16 v166, v155, v115
	s_nop 1
	v_cvt_f32_i32_e32 v114, v114
	v_fma_mix_f32 v114, v114, v166, v166 op_sel:[0,0,1] op_sel_hi:[0,1,1]
	v_add_f32_e32 v37, v37, v114
	v_mov_b32_e32 v114, 0
	v_dot4c_i32_i8_e32 v114, v94, v158
	v_dot4c_i32_i8_e32 v114, v95, v162
	;; [unrolled: 1-line block ×8, first 2 shown]
	v_pk_mul_f16 v166, v156, v115
	v_pk_mul_f16 v115, v157, v115
	s_nop 0
	v_cvt_f32_i32_e32 v114, v114
	v_fma_mix_f32 v114, v114, v166, v166 op_sel:[0,0,1] op_sel_hi:[0,1,1]
	v_add_f32_e32 v35, v35, v114
	v_mov_b32_e32 v114, 0
	v_dot4c_i32_i8_e32 v114, v104, v158
	v_dot4c_i32_i8_e32 v114, v105, v162
	;; [unrolled: 1-line block ×8, first 2 shown]
	v_mov_b32_e32 v166, 0
	s_nop 1
	v_cvt_f32_i32_e32 v114, v114
	v_fma_mix_f32 v114, v114, v115, v115 op_sel:[0,0,1] op_sel_hi:[0,1,1]
	v_add_f32_e32 v33, v33, v114
	ds_read_b128 v[158:161], v148 offset:4096
	ds_read_b128 v[162:165], v148 offset:4112
	ds_read2_b32 v[114:115], v147 offset0:128 offset1:160
	s_waitcnt lgkmcnt(2)
	v_dot4c_i32_i8_e32 v166, v82, v158
	s_waitcnt lgkmcnt(1)
	v_dot4c_i32_i8_e32 v166, v83, v162
	v_dot4c_i32_i8_e32 v166, v86, v159
	;; [unrolled: 1-line block ×7, first 2 shown]
	s_waitcnt lgkmcnt(0)
	v_pk_mul_f16 v167, v154, v114
	s_nop 0
	v_cvt_f32_i32_e32 v166, v166
	v_fma_mix_f32 v166, v166, v167, v167 op_sel:[0,0,1] op_sel_hi:[0,1,1]
	v_add_f32_e32 v31, v31, v166
	v_mov_b32_e32 v166, 0
	v_dot4c_i32_i8_e32 v166, v84, v158
	v_dot4c_i32_i8_e32 v166, v85, v162
	;; [unrolled: 1-line block ×8, first 2 shown]
	v_pk_mul_f16 v167, v155, v114
	s_nop 1
	v_cvt_f32_i32_e32 v166, v166
	v_fma_mix_f32 v166, v166, v167, v167 op_sel:[0,0,1] op_sel_hi:[0,1,1]
	v_add_f32_e32 v29, v29, v166
	v_mov_b32_e32 v166, 0
	v_dot4c_i32_i8_e32 v166, v94, v158
	v_dot4c_i32_i8_e32 v166, v95, v162
	;; [unrolled: 1-line block ×8, first 2 shown]
	v_pk_mul_f16 v167, v156, v114
	v_pk_mul_f16 v114, v157, v114
	s_nop 0
	v_cvt_f32_i32_e32 v166, v166
	v_fma_mix_f32 v166, v166, v167, v167 op_sel:[0,0,1] op_sel_hi:[0,1,1]
	v_add_f32_e32 v27, v27, v166
	v_mov_b32_e32 v166, 0
	v_dot4c_i32_i8_e32 v166, v104, v158
	v_dot4c_i32_i8_e32 v166, v105, v162
	;; [unrolled: 1-line block ×8, first 2 shown]
	s_nop 2
	v_cvt_f32_i32_e32 v158, v166
	v_pk_mul_f16 v166, v154, v115
	v_fma_mix_f32 v114, v158, v114, v114 op_sel:[0,0,1] op_sel_hi:[0,1,1]
	ds_read_b128 v[158:161], v148 offset:5120
	ds_read_b128 v[162:165], v148 offset:5136
	v_add_f32_e32 v25, v25, v114
	v_mov_b32_e32 v114, 0
	s_waitcnt lgkmcnt(1)
	v_dot4c_i32_i8_e32 v114, v82, v158
	s_waitcnt lgkmcnt(0)
	v_dot4c_i32_i8_e32 v114, v83, v162
	v_dot4c_i32_i8_e32 v114, v86, v159
	v_dot4c_i32_i8_e32 v114, v87, v163
	v_dot4c_i32_i8_e32 v114, v88, v160
	v_dot4c_i32_i8_e32 v114, v89, v164
	v_dot4c_i32_i8_e32 v114, v92, v161
	v_dot4c_i32_i8_e32 v114, v93, v165
	s_nop 2
	v_cvt_f32_i32_e32 v114, v114
	v_fma_mix_f32 v114, v114, v166, v166 op_sel:[0,0,1] op_sel_hi:[0,1,1]
	v_add_f32_e32 v23, v23, v114
	v_mov_b32_e32 v114, 0
	v_dot4c_i32_i8_e32 v114, v84, v158
	v_dot4c_i32_i8_e32 v114, v85, v162
	v_dot4c_i32_i8_e32 v114, v90, v159
	v_dot4c_i32_i8_e32 v114, v91, v163
	v_dot4c_i32_i8_e32 v114, v96, v160
	v_dot4c_i32_i8_e32 v114, v97, v164
	v_dot4c_i32_i8_e32 v114, v100, v161
	v_dot4c_i32_i8_e32 v114, v101, v165
	v_pk_mul_f16 v166, v155, v115
	s_nop 1
	v_cvt_f32_i32_e32 v114, v114
	v_fma_mix_f32 v114, v114, v166, v166 op_sel:[0,0,1] op_sel_hi:[0,1,1]
	v_add_f32_e32 v21, v21, v114
	v_mov_b32_e32 v114, 0
	v_dot4c_i32_i8_e32 v114, v94, v158
	v_dot4c_i32_i8_e32 v114, v95, v162
	;; [unrolled: 1-line block ×8, first 2 shown]
	v_pk_mul_f16 v166, v156, v115
	v_pk_mul_f16 v115, v157, v115
	s_nop 0
	v_cvt_f32_i32_e32 v114, v114
	v_fma_mix_f32 v114, v114, v166, v166 op_sel:[0,0,1] op_sel_hi:[0,1,1]
	v_add_f32_e32 v19, v19, v114
	v_mov_b32_e32 v114, 0
	v_dot4c_i32_i8_e32 v114, v104, v158
	v_dot4c_i32_i8_e32 v114, v105, v162
	;; [unrolled: 1-line block ×8, first 2 shown]
	v_mov_b32_e32 v166, 0
	s_nop 1
	v_cvt_f32_i32_e32 v114, v114
	v_fma_mix_f32 v114, v114, v115, v115 op_sel:[0,0,1] op_sel_hi:[0,1,1]
	v_add_f32_e32 v17, v17, v114
	ds_read_b128 v[158:161], v148 offset:6144
	ds_read_b128 v[162:165], v148 offset:6160
	ds_read2_b32 v[114:115], v147 offset0:192 offset1:224
	v_add_u32_e32 v147, 4, v147
	s_waitcnt lgkmcnt(2)
	v_dot4c_i32_i8_e32 v166, v82, v158
	s_waitcnt lgkmcnt(1)
	v_dot4c_i32_i8_e32 v166, v83, v162
	v_dot4c_i32_i8_e32 v166, v86, v159
	;; [unrolled: 1-line block ×7, first 2 shown]
	s_waitcnt lgkmcnt(0)
	v_pk_mul_f16 v167, v154, v114
	s_nop 0
	v_cvt_f32_i32_e32 v166, v166
	v_fma_mix_f32 v166, v166, v167, v167 op_sel:[0,0,1] op_sel_hi:[0,1,1]
	v_add_f32_e32 v15, v15, v166
	v_mov_b32_e32 v166, 0
	v_dot4c_i32_i8_e32 v166, v84, v158
	v_dot4c_i32_i8_e32 v166, v85, v162
	;; [unrolled: 1-line block ×8, first 2 shown]
	v_pk_mul_f16 v167, v155, v114
	s_nop 1
	v_cvt_f32_i32_e32 v166, v166
	v_fma_mix_f32 v166, v166, v167, v167 op_sel:[0,0,1] op_sel_hi:[0,1,1]
	v_add_f32_e32 v13, v13, v166
	v_mov_b32_e32 v166, 0
	v_dot4c_i32_i8_e32 v166, v94, v158
	v_dot4c_i32_i8_e32 v166, v95, v162
	;; [unrolled: 1-line block ×8, first 2 shown]
	v_pk_mul_f16 v167, v156, v114
	v_pk_mul_f16 v114, v157, v114
	s_nop 0
	v_cvt_f32_i32_e32 v166, v166
	v_fma_mix_f32 v166, v166, v167, v167 op_sel:[0,0,1] op_sel_hi:[0,1,1]
	v_add_f32_e32 v11, v11, v166
	v_mov_b32_e32 v166, 0
	v_dot4c_i32_i8_e32 v166, v104, v158
	v_dot4c_i32_i8_e32 v166, v105, v162
	;; [unrolled: 1-line block ×8, first 2 shown]
	s_nop 2
	v_cvt_f32_i32_e32 v158, v166
	v_fma_mix_f32 v114, v158, v114, v114 op_sel:[0,0,1] op_sel_hi:[0,1,1]
	ds_read_b128 v[158:161], v148 offset:7168
	ds_read_b128 v[162:165], v148 offset:7184
	v_add_f32_e32 v9, v9, v114
	v_mov_b32_e32 v114, 0
	v_add_u32_e32 v148, 32, v148
	s_waitcnt lgkmcnt(1)
	v_dot4c_i32_i8_e32 v114, v82, v158
	s_waitcnt lgkmcnt(0)
	v_dot4c_i32_i8_e32 v114, v83, v162
	v_dot4c_i32_i8_e32 v114, v86, v159
	v_dot4c_i32_i8_e32 v114, v87, v163
	v_dot4c_i32_i8_e32 v114, v88, v160
	v_dot4c_i32_i8_e32 v114, v89, v164
	v_dot4c_i32_i8_e32 v114, v92, v161
	v_dot4c_i32_i8_e32 v114, v93, v165
	v_pk_mul_f16 v82, v154, v115
	s_nop 1
	v_cvt_f32_i32_e32 v83, v114
	v_fma_mix_f32 v82, v83, v82, v82 op_sel:[0,0,1] op_sel_hi:[0,1,1]
	v_add_f32_e32 v7, v7, v82
	v_mov_b32_e32 v82, 0
	v_dot4c_i32_i8_e32 v82, v84, v158
	v_dot4c_i32_i8_e32 v82, v85, v162
	v_dot4c_i32_i8_e32 v82, v90, v159
	v_dot4c_i32_i8_e32 v82, v91, v163
	v_dot4c_i32_i8_e32 v82, v96, v160
	v_dot4c_i32_i8_e32 v82, v97, v164
	v_dot4c_i32_i8_e32 v82, v100, v161
	v_dot4c_i32_i8_e32 v82, v101, v165
	v_pk_mul_f16 v83, v155, v115
	s_nop 1
	v_cvt_f32_i32_e32 v82, v82
	v_fma_mix_f32 v82, v82, v83, v83 op_sel:[0,0,1] op_sel_hi:[0,1,1]
	v_add_f32_e32 v5, v5, v82
	v_mov_b32_e32 v82, 0
	v_dot4c_i32_i8_e32 v82, v94, v158
	;; [unrolled: 14-line block ×3, first 2 shown]
	v_dot4c_i32_i8_e32 v82, v105, v162
	v_dot4c_i32_i8_e32 v82, v108, v159
	;; [unrolled: 1-line block ×7, first 2 shown]
	v_pk_mul_f16 v83, v157, v115
	s_nop 1
	v_cvt_f32_i32_e32 v82, v82
	v_fma_mix_f32 v82, v82, v83, v83 op_sel:[0,0,1] op_sel_hi:[0,1,1]
	v_add_f32_e32 v1, v1, v82
	s_cbranch_scc1 .LBB144_7
; %bb.8:                                ;   in Loop: Header=BB144_6 Depth=1
	s_or_b32 s0, s8, 4
	s_cmp_ge_i32 s0, s4
	s_barrier
	s_cbranch_scc1 .LBB144_5
; %bb.9:                                ;   in Loop: Header=BB144_6 Depth=1
	v_add_u32_e32 v96, s8, v130
	v_add_u32_e32 v82, v96, v75
	;; [unrolled: 1-line block ×6, first 2 shown]
	v_mad_i64_i32 v[82:83], s[0:1], v82, 36, v[78:79]
	v_mad_i64_i32 v[84:85], s[0:1], v84, 36, v[78:79]
	;; [unrolled: 1-line block ×5, first 2 shown]
	v_add_u32_e32 v92, v96, v123
	v_add_u32_e32 v94, v96, v125
	;; [unrolled: 1-line block ×3, first 2 shown]
	v_mad_i64_i32 v[92:93], s[0:1], v92, 36, v[78:79]
	v_mad_i64_i32 v[94:95], s[0:1], v94, 36, v[78:79]
	;; [unrolled: 1-line block ×3, first 2 shown]
	global_load_dword v98, v[82:83], off offset:4
	s_nop 0
	global_load_dword v84, v[84:85], off offset:4
	s_nop 0
	;; [unrolled: 2-line block ×3, first 2 shown]
	global_load_dword v86, v[88:89], off offset:4
	global_load_dword v87, v[90:91], off offset:4
                                        ; kill: killed $vgpr88_vgpr89
                                        ; kill: killed $vgpr90_vgpr91
	s_nop 0
	global_load_dword v88, v[92:93], off offset:4
	global_load_dword v89, v[94:95], off offset:4
	;; [unrolled: 1-line block ×3, first 2 shown]
	v_add_u32_e32 v82, 4, v146
	v_mad_u64_u32 v[82:83], s[0:1], v82, 36, s[2:3]
	global_load_dword v82, v[82:83], off
	s_mov_b32 s0, 12
	v_mov_b32_e32 v146, v136
	v_mov_b32_e32 v147, v135
	;; [unrolled: 1-line block ×7, first 2 shown]
	s_waitcnt vmcnt(8)
	ds_write_b32 v77, v98
	s_waitcnt vmcnt(7)
	ds_write_b32 v116, v84
	;; [unrolled: 2-line block ×9, first 2 shown]
	s_waitcnt lgkmcnt(0)
	s_barrier
.LBB144_10:                             ;   Parent Loop BB144_6 Depth=1
                                        ; =>  This Inner Loop Header: Depth=2
	ds_read_b128 v[158:161], v147
	ds_read_b128 v[162:165], v147 offset:16
	ds_read2_b32 v[114:115], v146 offset1:32
	ds_read_b32 v153, v149
	ds_read2_b32 v[82:83], v148 offset1:1
	ds_read2_b32 v[86:87], v148 offset0:2 offset1:3
	ds_read2_b32 v[88:89], v148 offset0:4 offset1:5
	;; [unrolled: 1-line block ×3, first 2 shown]
	v_mov_b32_e32 v84, 0
	s_waitcnt lgkmcnt(3)
	v_dot4c_i32_i8_e32 v84, v82, v158
	v_dot4c_i32_i8_e32 v84, v83, v162
	s_waitcnt lgkmcnt(2)
	v_dot4c_i32_i8_e32 v84, v86, v159
	v_dot4c_i32_i8_e32 v84, v87, v163
	;; [unrolled: 3-line block ×4, first 2 shown]
	v_pk_mul_f16 v85, v114, v153
	v_add_u32_e32 v90, 0x2088, v148
	v_add_u32_e32 v95, 0x2090, v148
	v_cvt_f32_i32_e32 v84, v84
	v_mov_b32_e32 v94, 0
	v_add_u32_e32 v98, 0x4108, v148
	v_add_u32_e32 v102, 0x4110, v148
	v_fma_mix_f32 v84, v85, v84, v85 op_sel:[0,0,1] op_sel_hi:[1,0,1]
	v_add_f32_e32 v49, v49, v84
	v_add_u32_e32 v84, 0x2080, v148
	ds_read_b32 v154, v150
	ds_read2_b32 v[84:85], v84 offset1:1
	ds_read2_b32 v[90:91], v90 offset1:1
	ds_read2_b32 v[96:97], v95 offset1:1
	v_add_u32_e32 v95, 0x2098, v148
	ds_read2_b32 v[100:101], v95 offset1:1
	s_waitcnt lgkmcnt(3)
	v_dot4c_i32_i8_e32 v94, v84, v158
	v_dot4c_i32_i8_e32 v94, v85, v162
	s_waitcnt lgkmcnt(2)
	v_dot4c_i32_i8_e32 v94, v90, v159
	v_dot4c_i32_i8_e32 v94, v91, v163
	;; [unrolled: 3-line block ×4, first 2 shown]
	v_pk_mul_f16 v95, v114, v154
	v_mov_b32_e32 v104, 0
	v_add_u32_e32 v105, 0x4118, v148
	v_cvt_f32_i32_e32 v94, v94
	v_add_u32_e32 v108, 0x6188, v148
	v_add_u32_e32 v110, 0x6190, v148
	v_mov_b32_e32 v157, 0
	v_fma_mix_f32 v94, v95, v94, v95 op_sel:[0,0,1] op_sel_hi:[1,0,1]
	v_add_f32_e32 v71, v71, v94
	v_add_u32_e32 v94, 0x4100, v148
	ds_read_b32 v155, v151
	ds_read2_b32 v[94:95], v94 offset1:1
	ds_read2_b32 v[98:99], v98 offset1:1
	;; [unrolled: 1-line block ×4, first 2 shown]
	s_waitcnt lgkmcnt(4)
	v_pk_mul_f16 v105, v114, v155
	s_waitcnt lgkmcnt(3)
	v_dot4c_i32_i8_e32 v104, v94, v158
	v_dot4c_i32_i8_e32 v104, v95, v162
	s_waitcnt lgkmcnt(2)
	v_dot4c_i32_i8_e32 v104, v98, v159
	v_dot4c_i32_i8_e32 v104, v99, v163
	;; [unrolled: 3-line block ×4, first 2 shown]
	v_add_u32_e32 v112, 0x6198, v148
	s_add_i32 s0, s0, 4
	v_add_u32_e32 v151, 4, v151
	v_cvt_f32_i32_e32 v104, v104
	v_add_u32_e32 v150, 4, v150
	v_add_u32_e32 v149, 4, v149
	s_cmp_lt_u32 s0, 28
	v_fma_mix_f32 v104, v105, v104, v105 op_sel:[0,0,1] op_sel_hi:[1,0,1]
	v_add_f32_e32 v67, v67, v104
	v_add_u32_e32 v104, 0x6180, v148
	ds_read_b32 v156, v152
	ds_read2_b32 v[104:105], v104 offset1:1
	ds_read2_b32 v[108:109], v108 offset1:1
	;; [unrolled: 1-line block ×4, first 2 shown]
	s_waitcnt lgkmcnt(4)
	v_pk_mul_f16 v114, v114, v156
	s_waitcnt lgkmcnt(3)
	v_dot4c_i32_i8_e32 v157, v104, v158
	v_dot4c_i32_i8_e32 v157, v105, v162
	s_waitcnt lgkmcnt(2)
	v_dot4c_i32_i8_e32 v157, v108, v159
	v_dot4c_i32_i8_e32 v157, v109, v163
	;; [unrolled: 3-line block ×4, first 2 shown]
	ds_read_b128 v[158:161], v147 offset:1024
	ds_read_b128 v[162:165], v147 offset:1040
	v_add_u32_e32 v152, 4, v152
	v_cvt_f32_i32_e32 v157, v157
	v_add_u32_e32 v148, 32, v148
	v_fma_mix_f32 v114, v114, v157, v114 op_sel:[0,0,1] op_sel_hi:[1,0,1]
	v_add_f32_e32 v65, v65, v114
	v_mov_b32_e32 v114, 0
	s_waitcnt lgkmcnt(1)
	v_dot4c_i32_i8_e32 v114, v82, v158
	s_waitcnt lgkmcnt(0)
	v_dot4c_i32_i8_e32 v114, v83, v162
	v_dot4c_i32_i8_e32 v114, v86, v159
	;; [unrolled: 1-line block ×7, first 2 shown]
	v_pk_mul_f16 v157, v153, v115
	s_nop 1
	v_cvt_f32_i32_e32 v114, v114
	v_fma_mix_f32 v114, v114, v157, v157 op_sel:[0,0,1] op_sel_hi:[0,1,1]
	v_add_f32_e32 v63, v63, v114
	v_mov_b32_e32 v114, 0
	v_dot4c_i32_i8_e32 v114, v84, v158
	v_dot4c_i32_i8_e32 v114, v85, v162
	;; [unrolled: 1-line block ×8, first 2 shown]
	v_pk_mul_f16 v157, v154, v115
	s_nop 1
	v_cvt_f32_i32_e32 v114, v114
	v_fma_mix_f32 v114, v114, v157, v157 op_sel:[0,0,1] op_sel_hi:[0,1,1]
	v_add_f32_e32 v61, v61, v114
	v_mov_b32_e32 v114, 0
	v_dot4c_i32_i8_e32 v114, v94, v158
	v_dot4c_i32_i8_e32 v114, v95, v162
	;; [unrolled: 1-line block ×8, first 2 shown]
	v_pk_mul_f16 v157, v155, v115
	v_pk_mul_f16 v115, v156, v115
	s_nop 0
	v_cvt_f32_i32_e32 v114, v114
	v_fma_mix_f32 v114, v114, v157, v157 op_sel:[0,0,1] op_sel_hi:[0,1,1]
	v_add_f32_e32 v57, v57, v114
	v_mov_b32_e32 v114, 0
	v_dot4c_i32_i8_e32 v114, v104, v158
	v_dot4c_i32_i8_e32 v114, v105, v162
	;; [unrolled: 1-line block ×8, first 2 shown]
	v_mov_b32_e32 v157, 0
	s_nop 1
	v_cvt_f32_i32_e32 v114, v114
	v_fma_mix_f32 v114, v114, v115, v115 op_sel:[0,0,1] op_sel_hi:[0,1,1]
	v_add_f32_e32 v55, v55, v114
	ds_read_b128 v[158:161], v147 offset:2048
	ds_read_b128 v[162:165], v147 offset:2064
	ds_read2_b32 v[114:115], v146 offset0:64 offset1:96
	s_waitcnt lgkmcnt(2)
	v_dot4c_i32_i8_e32 v157, v82, v158
	s_waitcnt lgkmcnt(1)
	v_dot4c_i32_i8_e32 v157, v83, v162
	v_dot4c_i32_i8_e32 v157, v86, v159
	v_dot4c_i32_i8_e32 v157, v87, v163
	v_dot4c_i32_i8_e32 v157, v88, v160
	v_dot4c_i32_i8_e32 v157, v89, v164
	v_dot4c_i32_i8_e32 v157, v92, v161
	v_dot4c_i32_i8_e32 v157, v93, v165
	s_waitcnt lgkmcnt(0)
	v_pk_mul_f16 v166, v153, v114
	s_nop 0
	v_cvt_f32_i32_e32 v157, v157
	v_fma_mix_f32 v157, v157, v166, v166 op_sel:[0,0,1] op_sel_hi:[0,1,1]
	v_add_f32_e32 v53, v53, v157
	v_mov_b32_e32 v157, 0
	v_dot4c_i32_i8_e32 v157, v84, v158
	v_dot4c_i32_i8_e32 v157, v85, v162
	;; [unrolled: 1-line block ×8, first 2 shown]
	v_pk_mul_f16 v166, v154, v114
	s_nop 1
	v_cvt_f32_i32_e32 v157, v157
	v_fma_mix_f32 v157, v157, v166, v166 op_sel:[0,0,1] op_sel_hi:[0,1,1]
	v_add_f32_e32 v51, v51, v157
	v_mov_b32_e32 v157, 0
	v_dot4c_i32_i8_e32 v157, v94, v158
	v_dot4c_i32_i8_e32 v157, v95, v162
	;; [unrolled: 1-line block ×8, first 2 shown]
	v_pk_mul_f16 v166, v155, v114
	v_pk_mul_f16 v114, v156, v114
	s_nop 0
	v_cvt_f32_i32_e32 v157, v157
	v_fma_mix_f32 v157, v157, v166, v166 op_sel:[0,0,1] op_sel_hi:[0,1,1]
	v_add_f32_e32 v47, v47, v157
	v_mov_b32_e32 v157, 0
	v_dot4c_i32_i8_e32 v157, v104, v158
	v_dot4c_i32_i8_e32 v157, v105, v162
	;; [unrolled: 1-line block ×8, first 2 shown]
	ds_read_b128 v[158:161], v147 offset:3072
	ds_read_b128 v[162:165], v147 offset:3088
	s_nop 0
	v_cvt_f32_i32_e32 v157, v157
	v_fma_mix_f32 v114, v157, v114, v114 op_sel:[0,0,1] op_sel_hi:[0,1,1]
	v_add_f32_e32 v43, v43, v114
	v_mov_b32_e32 v114, 0
	s_waitcnt lgkmcnt(1)
	v_dot4c_i32_i8_e32 v114, v82, v158
	s_waitcnt lgkmcnt(0)
	v_dot4c_i32_i8_e32 v114, v83, v162
	v_dot4c_i32_i8_e32 v114, v86, v159
	;; [unrolled: 1-line block ×7, first 2 shown]
	v_pk_mul_f16 v157, v153, v115
	s_nop 1
	v_cvt_f32_i32_e32 v114, v114
	v_fma_mix_f32 v114, v114, v157, v157 op_sel:[0,0,1] op_sel_hi:[0,1,1]
	v_add_f32_e32 v39, v39, v114
	v_mov_b32_e32 v114, 0
	v_dot4c_i32_i8_e32 v114, v84, v158
	v_dot4c_i32_i8_e32 v114, v85, v162
	;; [unrolled: 1-line block ×8, first 2 shown]
	v_pk_mul_f16 v157, v154, v115
	s_nop 1
	v_cvt_f32_i32_e32 v114, v114
	v_fma_mix_f32 v114, v114, v157, v157 op_sel:[0,0,1] op_sel_hi:[0,1,1]
	v_add_f32_e32 v37, v37, v114
	v_mov_b32_e32 v114, 0
	v_dot4c_i32_i8_e32 v114, v94, v158
	v_dot4c_i32_i8_e32 v114, v95, v162
	;; [unrolled: 1-line block ×8, first 2 shown]
	v_pk_mul_f16 v157, v155, v115
	v_pk_mul_f16 v115, v156, v115
	s_nop 0
	v_cvt_f32_i32_e32 v114, v114
	v_fma_mix_f32 v114, v114, v157, v157 op_sel:[0,0,1] op_sel_hi:[0,1,1]
	v_add_f32_e32 v35, v35, v114
	v_mov_b32_e32 v114, 0
	v_dot4c_i32_i8_e32 v114, v104, v158
	v_dot4c_i32_i8_e32 v114, v105, v162
	;; [unrolled: 1-line block ×8, first 2 shown]
	v_mov_b32_e32 v157, 0
	s_nop 1
	v_cvt_f32_i32_e32 v114, v114
	v_fma_mix_f32 v114, v114, v115, v115 op_sel:[0,0,1] op_sel_hi:[0,1,1]
	v_add_f32_e32 v33, v33, v114
	ds_read_b128 v[158:161], v147 offset:4096
	ds_read_b128 v[162:165], v147 offset:4112
	ds_read2_b32 v[114:115], v146 offset0:128 offset1:160
	s_waitcnt lgkmcnt(2)
	v_dot4c_i32_i8_e32 v157, v82, v158
	s_waitcnt lgkmcnt(1)
	v_dot4c_i32_i8_e32 v157, v83, v162
	v_dot4c_i32_i8_e32 v157, v86, v159
	;; [unrolled: 1-line block ×7, first 2 shown]
	s_waitcnt lgkmcnt(0)
	v_pk_mul_f16 v166, v153, v114
	s_nop 0
	v_cvt_f32_i32_e32 v157, v157
	v_fma_mix_f32 v157, v157, v166, v166 op_sel:[0,0,1] op_sel_hi:[0,1,1]
	v_add_f32_e32 v31, v31, v157
	v_mov_b32_e32 v157, 0
	v_dot4c_i32_i8_e32 v157, v84, v158
	v_dot4c_i32_i8_e32 v157, v85, v162
	;; [unrolled: 1-line block ×8, first 2 shown]
	v_pk_mul_f16 v166, v154, v114
	s_nop 1
	v_cvt_f32_i32_e32 v157, v157
	v_fma_mix_f32 v157, v157, v166, v166 op_sel:[0,0,1] op_sel_hi:[0,1,1]
	v_add_f32_e32 v29, v29, v157
	v_mov_b32_e32 v157, 0
	v_dot4c_i32_i8_e32 v157, v94, v158
	v_dot4c_i32_i8_e32 v157, v95, v162
	;; [unrolled: 1-line block ×8, first 2 shown]
	v_pk_mul_f16 v166, v155, v114
	v_pk_mul_f16 v114, v156, v114
	s_nop 0
	v_cvt_f32_i32_e32 v157, v157
	v_fma_mix_f32 v157, v157, v166, v166 op_sel:[0,0,1] op_sel_hi:[0,1,1]
	v_add_f32_e32 v27, v27, v157
	v_mov_b32_e32 v157, 0
	v_dot4c_i32_i8_e32 v157, v104, v158
	v_dot4c_i32_i8_e32 v157, v105, v162
	;; [unrolled: 1-line block ×8, first 2 shown]
	ds_read_b128 v[158:161], v147 offset:5120
	ds_read_b128 v[162:165], v147 offset:5136
	s_nop 0
	v_cvt_f32_i32_e32 v157, v157
	v_fma_mix_f32 v114, v157, v114, v114 op_sel:[0,0,1] op_sel_hi:[0,1,1]
	v_add_f32_e32 v25, v25, v114
	v_mov_b32_e32 v114, 0
	s_waitcnt lgkmcnt(1)
	v_dot4c_i32_i8_e32 v114, v82, v158
	s_waitcnt lgkmcnt(0)
	v_dot4c_i32_i8_e32 v114, v83, v162
	v_dot4c_i32_i8_e32 v114, v86, v159
	;; [unrolled: 1-line block ×7, first 2 shown]
	v_pk_mul_f16 v157, v153, v115
	s_nop 1
	v_cvt_f32_i32_e32 v114, v114
	v_fma_mix_f32 v114, v114, v157, v157 op_sel:[0,0,1] op_sel_hi:[0,1,1]
	v_add_f32_e32 v23, v23, v114
	v_mov_b32_e32 v114, 0
	v_dot4c_i32_i8_e32 v114, v84, v158
	v_dot4c_i32_i8_e32 v114, v85, v162
	;; [unrolled: 1-line block ×8, first 2 shown]
	v_pk_mul_f16 v157, v154, v115
	s_nop 1
	v_cvt_f32_i32_e32 v114, v114
	v_fma_mix_f32 v114, v114, v157, v157 op_sel:[0,0,1] op_sel_hi:[0,1,1]
	v_add_f32_e32 v21, v21, v114
	v_mov_b32_e32 v114, 0
	v_dot4c_i32_i8_e32 v114, v94, v158
	v_dot4c_i32_i8_e32 v114, v95, v162
	v_dot4c_i32_i8_e32 v114, v98, v159
	v_dot4c_i32_i8_e32 v114, v99, v163
	v_dot4c_i32_i8_e32 v114, v102, v160
	v_dot4c_i32_i8_e32 v114, v103, v164
	v_dot4c_i32_i8_e32 v114, v106, v161
	v_dot4c_i32_i8_e32 v114, v107, v165
	v_pk_mul_f16 v157, v155, v115
	v_pk_mul_f16 v115, v156, v115
	s_nop 0
	v_cvt_f32_i32_e32 v114, v114
	v_fma_mix_f32 v114, v114, v157, v157 op_sel:[0,0,1] op_sel_hi:[0,1,1]
	v_add_f32_e32 v19, v19, v114
	v_mov_b32_e32 v114, 0
	v_dot4c_i32_i8_e32 v114, v104, v158
	v_dot4c_i32_i8_e32 v114, v105, v162
	;; [unrolled: 1-line block ×8, first 2 shown]
	v_mov_b32_e32 v157, 0
	s_nop 1
	v_cvt_f32_i32_e32 v114, v114
	v_fma_mix_f32 v114, v114, v115, v115 op_sel:[0,0,1] op_sel_hi:[0,1,1]
	v_add_f32_e32 v17, v17, v114
	ds_read_b128 v[158:161], v147 offset:6144
	ds_read_b128 v[162:165], v147 offset:6160
	ds_read2_b32 v[114:115], v146 offset0:192 offset1:224
	v_add_u32_e32 v146, 4, v146
	s_waitcnt lgkmcnt(2)
	v_dot4c_i32_i8_e32 v157, v82, v158
	s_waitcnt lgkmcnt(1)
	v_dot4c_i32_i8_e32 v157, v83, v162
	v_dot4c_i32_i8_e32 v157, v86, v159
	;; [unrolled: 1-line block ×7, first 2 shown]
	s_waitcnt lgkmcnt(0)
	v_pk_mul_f16 v166, v153, v114
	s_nop 0
	v_cvt_f32_i32_e32 v157, v157
	v_fma_mix_f32 v157, v157, v166, v166 op_sel:[0,0,1] op_sel_hi:[0,1,1]
	v_add_f32_e32 v15, v15, v157
	v_mov_b32_e32 v157, 0
	v_dot4c_i32_i8_e32 v157, v84, v158
	v_dot4c_i32_i8_e32 v157, v85, v162
	;; [unrolled: 1-line block ×8, first 2 shown]
	v_pk_mul_f16 v166, v154, v114
	s_nop 1
	v_cvt_f32_i32_e32 v157, v157
	v_fma_mix_f32 v157, v157, v166, v166 op_sel:[0,0,1] op_sel_hi:[0,1,1]
	v_add_f32_e32 v13, v13, v157
	v_mov_b32_e32 v157, 0
	v_dot4c_i32_i8_e32 v157, v94, v158
	v_dot4c_i32_i8_e32 v157, v95, v162
	;; [unrolled: 1-line block ×8, first 2 shown]
	v_pk_mul_f16 v166, v155, v114
	v_pk_mul_f16 v114, v156, v114
	s_nop 0
	v_cvt_f32_i32_e32 v157, v157
	v_fma_mix_f32 v157, v157, v166, v166 op_sel:[0,0,1] op_sel_hi:[0,1,1]
	v_add_f32_e32 v11, v11, v157
	v_mov_b32_e32 v157, 0
	v_dot4c_i32_i8_e32 v157, v104, v158
	v_dot4c_i32_i8_e32 v157, v105, v162
	;; [unrolled: 1-line block ×8, first 2 shown]
	ds_read_b128 v[158:161], v147 offset:7168
	ds_read_b128 v[162:165], v147 offset:7184
	v_add_u32_e32 v147, 32, v147
	v_cvt_f32_i32_e32 v157, v157
	v_fma_mix_f32 v114, v157, v114, v114 op_sel:[0,0,1] op_sel_hi:[0,1,1]
	v_add_f32_e32 v9, v9, v114
	v_mov_b32_e32 v114, 0
	s_waitcnt lgkmcnt(1)
	v_dot4c_i32_i8_e32 v114, v82, v158
	s_waitcnt lgkmcnt(0)
	v_dot4c_i32_i8_e32 v114, v83, v162
	v_dot4c_i32_i8_e32 v114, v86, v159
	v_dot4c_i32_i8_e32 v114, v87, v163
	v_dot4c_i32_i8_e32 v114, v88, v160
	v_dot4c_i32_i8_e32 v114, v89, v164
	v_dot4c_i32_i8_e32 v114, v92, v161
	v_dot4c_i32_i8_e32 v114, v93, v165
	v_pk_mul_f16 v82, v153, v115
	s_nop 1
	v_cvt_f32_i32_e32 v83, v114
	v_fma_mix_f32 v82, v83, v82, v82 op_sel:[0,0,1] op_sel_hi:[0,1,1]
	v_add_f32_e32 v7, v7, v82
	v_mov_b32_e32 v82, 0
	v_dot4c_i32_i8_e32 v82, v84, v158
	v_dot4c_i32_i8_e32 v82, v85, v162
	v_dot4c_i32_i8_e32 v82, v90, v159
	v_dot4c_i32_i8_e32 v82, v91, v163
	v_dot4c_i32_i8_e32 v82, v96, v160
	v_dot4c_i32_i8_e32 v82, v97, v164
	v_dot4c_i32_i8_e32 v82, v100, v161
	v_dot4c_i32_i8_e32 v82, v101, v165
	v_pk_mul_f16 v83, v154, v115
	s_nop 1
	v_cvt_f32_i32_e32 v82, v82
	v_fma_mix_f32 v82, v82, v83, v83 op_sel:[0,0,1] op_sel_hi:[0,1,1]
	v_add_f32_e32 v5, v5, v82
	v_mov_b32_e32 v82, 0
	v_dot4c_i32_i8_e32 v82, v94, v158
	;; [unrolled: 14-line block ×3, first 2 shown]
	v_dot4c_i32_i8_e32 v82, v105, v162
	v_dot4c_i32_i8_e32 v82, v108, v159
	;; [unrolled: 1-line block ×7, first 2 shown]
	v_pk_mul_f16 v83, v156, v115
	s_nop 1
	v_cvt_f32_i32_e32 v82, v82
	v_fma_mix_f32 v82, v82, v83, v83 op_sel:[0,0,1] op_sel_hi:[0,1,1]
	v_add_f32_e32 v1, v1, v82
	s_cbranch_scc1 .LBB144_10
; %bb.11:                               ;   in Loop: Header=BB144_6 Depth=1
	s_barrier
	s_branch .LBB144_5
.LBB144_12:
	v_mov_b32_e32 v2, v45
.LBB144_13:
	v_cmp_gt_u32_e32 vcc, s10, v59
	s_and_saveexec_b64 s[0:1], vcc
	s_cbranch_execz .LBB144_64
; %bb.14:
	v_add_u32_e32 v0, s6, v41
	v_mul_lo_u32 v10, v59, s14
	v_cmp_gt_u32_e32 vcc, s14, v0
	s_and_saveexec_b64 s[2:3], vcc
	s_cbranch_execz .LBB144_16
; %bb.15:
	v_add_u32_e32 v40, v0, v10
	v_mov_b32_e32 v41, 0
	v_cvt_f16_f32_e32 v6, v49
	v_lshlrev_b64 v[40:41], 1, v[40:41]
	s_waitcnt lgkmcnt(0)
	v_mov_b32_e32 v4, s13
	v_add_co_u32_e64 v40, s[0:1], s12, v40
	v_addc_co_u32_e64 v41, s[0:1], v4, v41, s[0:1]
	global_store_short v[40:41], v6, off
.LBB144_16:
	s_or_b64 exec, exec, s[2:3]
	v_add_u32_e32 v4, 32, v0
	v_cmp_gt_u32_e64 s[0:1], s14, v4
	s_and_saveexec_b64 s[4:5], s[0:1]
	s_cbranch_execz .LBB144_18
; %bb.17:
	v_add_u32_e32 v40, v4, v10
	v_mov_b32_e32 v41, 0
	v_cvt_f16_f32_e32 v8, v71
	v_lshlrev_b64 v[40:41], 1, v[40:41]
	s_waitcnt lgkmcnt(0)
	v_mov_b32_e32 v6, s13
	v_add_co_u32_e64 v40, s[2:3], s12, v40
	v_addc_co_u32_e64 v41, s[2:3], v6, v41, s[2:3]
	global_store_short v[40:41], v8, off
.LBB144_18:
	s_or_b64 exec, exec, s[4:5]
	v_add_u32_e32 v6, 64, v0
	v_cmp_gt_u32_e64 s[2:3], s14, v6
	s_and_saveexec_b64 s[6:7], s[2:3]
	;; [unrolled: 16-line block ×3, first 2 shown]
	s_cbranch_execz .LBB144_22
; %bb.21:
	v_add_u32_e32 v40, v8, v10
	v_mov_b32_e32 v41, 0
	v_cvt_f16_f32_e32 v12, v65
	v_lshlrev_b64 v[40:41], 1, v[40:41]
	s_waitcnt lgkmcnt(0)
	v_mov_b32_e32 v10, s13
	v_add_co_u32_e64 v40, s[6:7], s12, v40
	v_addc_co_u32_e64 v41, s[6:7], v10, v41, s[6:7]
	global_store_short v[40:41], v12, off
.LBB144_22:
	s_or_b64 exec, exec, s[8:9]
	v_add3_u32 v10, v2, s15, 8
	v_cmp_gt_u32_e64 s[6:7], s10, v10
	s_and_b64 exec, exec, s[6:7]
	s_cbranch_execz .LBB144_64
; %bb.23:
	v_mul_lo_u32 v10, v10, s14
	s_and_saveexec_b64 s[8:9], vcc
	s_cbranch_execnz .LBB144_65
; %bb.24:
	s_or_b64 exec, exec, s[8:9]
	s_and_saveexec_b64 s[8:9], s[0:1]
	s_cbranch_execnz .LBB144_66
.LBB144_25:
	s_or_b64 exec, exec, s[8:9]
	s_and_saveexec_b64 s[8:9], s[2:3]
	s_cbranch_execnz .LBB144_67
.LBB144_26:
	s_or_b64 exec, exec, s[8:9]
	s_and_saveexec_b64 s[8:9], s[4:5]
	s_cbranch_execz .LBB144_28
.LBB144_27:
	v_add_u32_e32 v40, v10, v8
	v_mov_b32_e32 v41, 0
	v_cvt_f16_f32_e32 v12, v55
	v_lshlrev_b64 v[40:41], 1, v[40:41]
	s_waitcnt lgkmcnt(0)
	v_mov_b32_e32 v10, s13
	v_add_co_u32_e64 v40, s[6:7], s12, v40
	v_addc_co_u32_e64 v41, s[6:7], v10, v41, s[6:7]
	global_store_short v[40:41], v12, off
.LBB144_28:
	s_or_b64 exec, exec, s[8:9]
	v_add3_u32 v10, v2, s15, 16
	v_cmp_gt_u32_e64 s[6:7], s10, v10
	s_and_b64 exec, exec, s[6:7]
	s_cbranch_execz .LBB144_64
; %bb.29:
	v_mul_lo_u32 v10, v10, s14
	s_and_saveexec_b64 s[8:9], vcc
	s_cbranch_execnz .LBB144_68
; %bb.30:
	s_or_b64 exec, exec, s[8:9]
	s_and_saveexec_b64 s[8:9], s[0:1]
	s_cbranch_execnz .LBB144_69
.LBB144_31:
	s_or_b64 exec, exec, s[8:9]
	s_and_saveexec_b64 s[8:9], s[2:3]
	s_cbranch_execnz .LBB144_70
.LBB144_32:
	s_or_b64 exec, exec, s[8:9]
	s_and_saveexec_b64 s[8:9], s[4:5]
	s_cbranch_execz .LBB144_34
.LBB144_33:
	v_add_u32_e32 v40, v10, v8
	v_mov_b32_e32 v41, 0
	v_cvt_f16_f32_e32 v12, v43
	v_lshlrev_b64 v[40:41], 1, v[40:41]
	s_waitcnt lgkmcnt(0)
	v_mov_b32_e32 v10, s13
	v_add_co_u32_e64 v40, s[6:7], s12, v40
	v_addc_co_u32_e64 v41, s[6:7], v10, v41, s[6:7]
	global_store_short v[40:41], v12, off
.LBB144_34:
	s_or_b64 exec, exec, s[8:9]
	v_add3_u32 v10, v2, s15, 24
	v_cmp_gt_u32_e64 s[6:7], s10, v10
	s_and_b64 exec, exec, s[6:7]
	s_cbranch_execz .LBB144_64
; %bb.35:
	v_mul_lo_u32 v10, v10, s14
	s_and_saveexec_b64 s[8:9], vcc
	s_cbranch_execnz .LBB144_71
; %bb.36:
	s_or_b64 exec, exec, s[8:9]
	s_and_saveexec_b64 s[8:9], s[0:1]
	s_cbranch_execnz .LBB144_72
.LBB144_37:
	s_or_b64 exec, exec, s[8:9]
	s_and_saveexec_b64 s[8:9], s[2:3]
	s_cbranch_execnz .LBB144_73
.LBB144_38:
	s_or_b64 exec, exec, s[8:9]
	s_and_saveexec_b64 s[8:9], s[4:5]
	s_cbranch_execz .LBB144_40
.LBB144_39:
	v_add_u32_e32 v34, v10, v8
	v_mov_b32_e32 v35, 0
	v_cvt_f16_f32_e32 v12, v33
	v_lshlrev_b64 v[34:35], 1, v[34:35]
	s_waitcnt lgkmcnt(0)
	v_mov_b32_e32 v10, s13
	v_add_co_u32_e64 v32, s[6:7], s12, v34
	v_addc_co_u32_e64 v33, s[6:7], v10, v35, s[6:7]
	global_store_short v[32:33], v12, off
.LBB144_40:
	s_or_b64 exec, exec, s[8:9]
	v_add3_u32 v10, v2, s15, 32
	v_cmp_gt_u32_e64 s[6:7], s10, v10
	s_and_b64 exec, exec, s[6:7]
	s_cbranch_execz .LBB144_64
; %bb.41:
	v_mul_lo_u32 v10, v10, s14
	s_and_saveexec_b64 s[8:9], vcc
	s_cbranch_execnz .LBB144_74
; %bb.42:
	s_or_b64 exec, exec, s[8:9]
	s_and_saveexec_b64 s[8:9], s[0:1]
	s_cbranch_execnz .LBB144_75
.LBB144_43:
	s_or_b64 exec, exec, s[8:9]
	s_and_saveexec_b64 s[8:9], s[2:3]
	s_cbranch_execnz .LBB144_76
.LBB144_44:
	s_or_b64 exec, exec, s[8:9]
	s_and_saveexec_b64 s[8:9], s[4:5]
	s_cbranch_execz .LBB144_46
.LBB144_45:
	v_add_u32_e32 v26, v10, v8
	v_mov_b32_e32 v27, 0
	v_cvt_f16_f32_e32 v12, v25
	v_lshlrev_b64 v[26:27], 1, v[26:27]
	s_waitcnt lgkmcnt(0)
	v_mov_b32_e32 v10, s13
	v_add_co_u32_e64 v24, s[6:7], s12, v26
	v_addc_co_u32_e64 v25, s[6:7], v10, v27, s[6:7]
	global_store_short v[24:25], v12, off
.LBB144_46:
	s_or_b64 exec, exec, s[8:9]
	v_add3_u32 v10, v2, s15, 40
	v_cmp_gt_u32_e64 s[6:7], s10, v10
	s_and_b64 exec, exec, s[6:7]
	s_cbranch_execz .LBB144_64
; %bb.47:
	v_mul_lo_u32 v10, v10, s14
	s_and_saveexec_b64 s[8:9], vcc
	s_cbranch_execnz .LBB144_77
; %bb.48:
	s_or_b64 exec, exec, s[8:9]
	s_and_saveexec_b64 s[8:9], s[0:1]
	s_cbranch_execnz .LBB144_78
.LBB144_49:
	s_or_b64 exec, exec, s[8:9]
	s_and_saveexec_b64 s[8:9], s[2:3]
	s_cbranch_execnz .LBB144_79
.LBB144_50:
	s_or_b64 exec, exec, s[8:9]
	s_and_saveexec_b64 s[8:9], s[4:5]
	s_cbranch_execz .LBB144_52
.LBB144_51:
	v_add_u32_e32 v18, v10, v8
	v_mov_b32_e32 v19, 0
	v_cvt_f16_f32_e32 v12, v17
	v_lshlrev_b64 v[18:19], 1, v[18:19]
	s_waitcnt lgkmcnt(0)
	v_mov_b32_e32 v10, s13
	v_add_co_u32_e64 v16, s[6:7], s12, v18
	v_addc_co_u32_e64 v17, s[6:7], v10, v19, s[6:7]
	global_store_short v[16:17], v12, off
.LBB144_52:
	s_or_b64 exec, exec, s[8:9]
	v_add3_u32 v10, v2, s15, 48
	v_cmp_gt_u32_e64 s[6:7], s10, v10
	s_and_b64 exec, exec, s[6:7]
	s_cbranch_execz .LBB144_64
; %bb.53:
	v_mul_lo_u32 v10, v10, s14
	s_and_saveexec_b64 s[8:9], vcc
	s_cbranch_execnz .LBB144_80
; %bb.54:
	s_or_b64 exec, exec, s[8:9]
	s_and_saveexec_b64 s[8:9], s[0:1]
	s_cbranch_execnz .LBB144_81
.LBB144_55:
	s_or_b64 exec, exec, s[8:9]
	s_and_saveexec_b64 s[8:9], s[2:3]
	s_cbranch_execnz .LBB144_82
.LBB144_56:
	s_or_b64 exec, exec, s[8:9]
	s_and_saveexec_b64 s[8:9], s[4:5]
	s_cbranch_execz .LBB144_58
.LBB144_57:
	v_add_u32_e32 v10, v10, v8
	v_mov_b32_e32 v11, 0
	v_cvt_f16_f32_e32 v9, v9
	v_lshlrev_b64 v[10:11], 1, v[10:11]
	s_waitcnt lgkmcnt(0)
	v_mov_b32_e32 v12, s13
	v_add_co_u32_e64 v10, s[6:7], s12, v10
	v_addc_co_u32_e64 v11, s[6:7], v12, v11, s[6:7]
	global_store_short v[10:11], v9, off
.LBB144_58:
	s_or_b64 exec, exec, s[8:9]
	v_add3_u32 v2, v2, s15, 56
	v_cmp_gt_u32_e64 s[6:7], s10, v2
	s_and_b64 exec, exec, s[6:7]
	s_cbranch_execz .LBB144_64
; %bb.59:
	v_mul_lo_u32 v2, v2, s14
	s_and_saveexec_b64 s[6:7], vcc
	s_cbranch_execnz .LBB144_83
; %bb.60:
	s_or_b64 exec, exec, s[6:7]
	s_and_saveexec_b64 s[6:7], s[0:1]
	s_cbranch_execnz .LBB144_84
.LBB144_61:
	s_or_b64 exec, exec, s[6:7]
	s_and_saveexec_b64 s[0:1], s[2:3]
	s_cbranch_execnz .LBB144_85
.LBB144_62:
	s_or_b64 exec, exec, s[0:1]
	s_and_b64 exec, exec, s[4:5]
	s_cbranch_execz .LBB144_64
.LBB144_63:
	v_add_u32_e32 v2, v2, v8
	v_mov_b32_e32 v3, 0
	v_cvt_f16_f32_e32 v5, v1
	v_lshlrev_b64 v[2:3], 1, v[2:3]
	s_waitcnt lgkmcnt(0)
	v_mov_b32_e32 v4, s13
	v_add_co_u32_e32 v0, vcc, s12, v2
	v_addc_co_u32_e32 v1, vcc, v4, v3, vcc
	global_store_short v[0:1], v5, off
.LBB144_64:
	s_endpgm
.LBB144_65:
	v_add_u32_e32 v40, v10, v0
	v_mov_b32_e32 v41, 0
	v_cvt_f16_f32_e32 v14, v63
	v_lshlrev_b64 v[40:41], 1, v[40:41]
	s_waitcnt lgkmcnt(0)
	v_mov_b32_e32 v12, s13
	v_add_co_u32_e64 v40, s[6:7], s12, v40
	v_addc_co_u32_e64 v41, s[6:7], v12, v41, s[6:7]
	global_store_short v[40:41], v14, off
	s_or_b64 exec, exec, s[8:9]
	s_and_saveexec_b64 s[8:9], s[0:1]
	s_cbranch_execz .LBB144_25
.LBB144_66:
	v_add_u32_e32 v40, v10, v4
	v_mov_b32_e32 v41, 0
	v_cvt_f16_f32_e32 v14, v61
	v_lshlrev_b64 v[40:41], 1, v[40:41]
	s_waitcnt lgkmcnt(0)
	v_mov_b32_e32 v12, s13
	v_add_co_u32_e64 v40, s[6:7], s12, v40
	v_addc_co_u32_e64 v41, s[6:7], v12, v41, s[6:7]
	global_store_short v[40:41], v14, off
	s_or_b64 exec, exec, s[8:9]
	s_and_saveexec_b64 s[8:9], s[2:3]
	s_cbranch_execz .LBB144_26
.LBB144_67:
	v_add_u32_e32 v40, v10, v6
	v_mov_b32_e32 v41, 0
	v_cvt_f16_f32_e32 v14, v57
	v_lshlrev_b64 v[40:41], 1, v[40:41]
	s_waitcnt lgkmcnt(0)
	v_mov_b32_e32 v12, s13
	v_add_co_u32_e64 v40, s[6:7], s12, v40
	v_addc_co_u32_e64 v41, s[6:7], v12, v41, s[6:7]
	global_store_short v[40:41], v14, off
	s_or_b64 exec, exec, s[8:9]
	s_and_saveexec_b64 s[8:9], s[4:5]
	s_cbranch_execnz .LBB144_27
	s_branch .LBB144_28
.LBB144_68:
	v_add_u32_e32 v40, v10, v0
	v_mov_b32_e32 v41, 0
	v_cvt_f16_f32_e32 v14, v53
	v_lshlrev_b64 v[40:41], 1, v[40:41]
	s_waitcnt lgkmcnt(0)
	v_mov_b32_e32 v12, s13
	v_add_co_u32_e64 v40, s[6:7], s12, v40
	v_addc_co_u32_e64 v41, s[6:7], v12, v41, s[6:7]
	global_store_short v[40:41], v14, off
	s_or_b64 exec, exec, s[8:9]
	s_and_saveexec_b64 s[8:9], s[0:1]
	s_cbranch_execz .LBB144_31
.LBB144_69:
	v_add_u32_e32 v40, v10, v4
	v_mov_b32_e32 v41, 0
	v_cvt_f16_f32_e32 v14, v51
	v_lshlrev_b64 v[40:41], 1, v[40:41]
	s_waitcnt lgkmcnt(0)
	v_mov_b32_e32 v12, s13
	v_add_co_u32_e64 v40, s[6:7], s12, v40
	v_addc_co_u32_e64 v41, s[6:7], v12, v41, s[6:7]
	global_store_short v[40:41], v14, off
	s_or_b64 exec, exec, s[8:9]
	s_and_saveexec_b64 s[8:9], s[2:3]
	s_cbranch_execz .LBB144_32
.LBB144_70:
	v_add_u32_e32 v40, v10, v6
	v_mov_b32_e32 v41, 0
	v_cvt_f16_f32_e32 v14, v47
	v_lshlrev_b64 v[40:41], 1, v[40:41]
	s_waitcnt lgkmcnt(0)
	v_mov_b32_e32 v12, s13
	v_add_co_u32_e64 v40, s[6:7], s12, v40
	v_addc_co_u32_e64 v41, s[6:7], v12, v41, s[6:7]
	global_store_short v[40:41], v14, off
	s_or_b64 exec, exec, s[8:9]
	s_and_saveexec_b64 s[8:9], s[4:5]
	s_cbranch_execnz .LBB144_33
	s_branch .LBB144_34
.LBB144_71:
	v_add_u32_e32 v40, v10, v0
	v_mov_b32_e32 v41, 0
	v_cvt_f16_f32_e32 v14, v39
	v_lshlrev_b64 v[40:41], 1, v[40:41]
	s_waitcnt lgkmcnt(0)
	v_mov_b32_e32 v12, s13
	v_add_co_u32_e64 v38, s[6:7], s12, v40
	v_addc_co_u32_e64 v39, s[6:7], v12, v41, s[6:7]
	global_store_short v[38:39], v14, off
	s_or_b64 exec, exec, s[8:9]
	s_and_saveexec_b64 s[8:9], s[0:1]
	s_cbranch_execz .LBB144_37
.LBB144_72:
	v_add_u32_e32 v38, v10, v4
	v_mov_b32_e32 v39, 0
	v_cvt_f16_f32_e32 v14, v37
	v_lshlrev_b64 v[38:39], 1, v[38:39]
	s_waitcnt lgkmcnt(0)
	v_mov_b32_e32 v12, s13
	v_add_co_u32_e64 v36, s[6:7], s12, v38
	v_addc_co_u32_e64 v37, s[6:7], v12, v39, s[6:7]
	global_store_short v[36:37], v14, off
	s_or_b64 exec, exec, s[8:9]
	s_and_saveexec_b64 s[8:9], s[2:3]
	s_cbranch_execz .LBB144_38
.LBB144_73:
	v_add_u32_e32 v36, v10, v6
	v_mov_b32_e32 v37, 0
	v_cvt_f16_f32_e32 v14, v35
	v_lshlrev_b64 v[36:37], 1, v[36:37]
	s_waitcnt lgkmcnt(0)
	v_mov_b32_e32 v12, s13
	v_add_co_u32_e64 v34, s[6:7], s12, v36
	v_addc_co_u32_e64 v35, s[6:7], v12, v37, s[6:7]
	global_store_short v[34:35], v14, off
	s_or_b64 exec, exec, s[8:9]
	s_and_saveexec_b64 s[8:9], s[4:5]
	s_cbranch_execnz .LBB144_39
	s_branch .LBB144_40
.LBB144_74:
	v_add_u32_e32 v32, v10, v0
	v_mov_b32_e32 v33, 0
	v_cvt_f16_f32_e32 v14, v31
	v_lshlrev_b64 v[32:33], 1, v[32:33]
	s_waitcnt lgkmcnt(0)
	v_mov_b32_e32 v12, s13
	v_add_co_u32_e64 v30, s[6:7], s12, v32
	v_addc_co_u32_e64 v31, s[6:7], v12, v33, s[6:7]
	global_store_short v[30:31], v14, off
	s_or_b64 exec, exec, s[8:9]
	s_and_saveexec_b64 s[8:9], s[0:1]
	s_cbranch_execz .LBB144_43
.LBB144_75:
	v_add_u32_e32 v30, v10, v4
	v_mov_b32_e32 v31, 0
	v_cvt_f16_f32_e32 v14, v29
	v_lshlrev_b64 v[30:31], 1, v[30:31]
	s_waitcnt lgkmcnt(0)
	v_mov_b32_e32 v12, s13
	v_add_co_u32_e64 v28, s[6:7], s12, v30
	v_addc_co_u32_e64 v29, s[6:7], v12, v31, s[6:7]
	global_store_short v[28:29], v14, off
	s_or_b64 exec, exec, s[8:9]
	s_and_saveexec_b64 s[8:9], s[2:3]
	s_cbranch_execz .LBB144_44
.LBB144_76:
	v_add_u32_e32 v28, v10, v6
	v_mov_b32_e32 v29, 0
	v_cvt_f16_f32_e32 v14, v27
	v_lshlrev_b64 v[28:29], 1, v[28:29]
	s_waitcnt lgkmcnt(0)
	v_mov_b32_e32 v12, s13
	v_add_co_u32_e64 v26, s[6:7], s12, v28
	v_addc_co_u32_e64 v27, s[6:7], v12, v29, s[6:7]
	global_store_short v[26:27], v14, off
	s_or_b64 exec, exec, s[8:9]
	s_and_saveexec_b64 s[8:9], s[4:5]
	s_cbranch_execnz .LBB144_45
	s_branch .LBB144_46
.LBB144_77:
	v_add_u32_e32 v24, v10, v0
	v_mov_b32_e32 v25, 0
	v_cvt_f16_f32_e32 v14, v23
	v_lshlrev_b64 v[24:25], 1, v[24:25]
	s_waitcnt lgkmcnt(0)
	v_mov_b32_e32 v12, s13
	v_add_co_u32_e64 v22, s[6:7], s12, v24
	v_addc_co_u32_e64 v23, s[6:7], v12, v25, s[6:7]
	global_store_short v[22:23], v14, off
	s_or_b64 exec, exec, s[8:9]
	s_and_saveexec_b64 s[8:9], s[0:1]
	s_cbranch_execz .LBB144_49
.LBB144_78:
	v_add_u32_e32 v22, v10, v4
	v_mov_b32_e32 v23, 0
	v_cvt_f16_f32_e32 v14, v21
	v_lshlrev_b64 v[22:23], 1, v[22:23]
	s_waitcnt lgkmcnt(0)
	v_mov_b32_e32 v12, s13
	v_add_co_u32_e64 v20, s[6:7], s12, v22
	v_addc_co_u32_e64 v21, s[6:7], v12, v23, s[6:7]
	global_store_short v[20:21], v14, off
	s_or_b64 exec, exec, s[8:9]
	s_and_saveexec_b64 s[8:9], s[2:3]
	s_cbranch_execz .LBB144_50
.LBB144_79:
	v_add_u32_e32 v20, v10, v6
	v_mov_b32_e32 v21, 0
	v_cvt_f16_f32_e32 v14, v19
	v_lshlrev_b64 v[20:21], 1, v[20:21]
	s_waitcnt lgkmcnt(0)
	v_mov_b32_e32 v12, s13
	v_add_co_u32_e64 v18, s[6:7], s12, v20
	v_addc_co_u32_e64 v19, s[6:7], v12, v21, s[6:7]
	global_store_short v[18:19], v14, off
	s_or_b64 exec, exec, s[8:9]
	s_and_saveexec_b64 s[8:9], s[4:5]
	s_cbranch_execnz .LBB144_51
	s_branch .LBB144_52
.LBB144_80:
	v_add_u32_e32 v16, v10, v0
	v_mov_b32_e32 v17, 0
	v_cvt_f16_f32_e32 v18, v15
	v_lshlrev_b64 v[16:17], 1, v[16:17]
	s_waitcnt lgkmcnt(0)
	v_mov_b32_e32 v12, s13
	v_add_co_u32_e64 v14, s[6:7], s12, v16
	v_addc_co_u32_e64 v15, s[6:7], v12, v17, s[6:7]
	global_store_short v[14:15], v18, off
	s_or_b64 exec, exec, s[8:9]
	s_and_saveexec_b64 s[8:9], s[0:1]
	s_cbranch_execz .LBB144_55
.LBB144_81:
	v_add_u32_e32 v14, v10, v4
	v_mov_b32_e32 v15, 0
	v_cvt_f16_f32_e32 v17, v13
	v_lshlrev_b64 v[14:15], 1, v[14:15]
	s_waitcnt lgkmcnt(0)
	v_mov_b32_e32 v16, s13
	v_add_co_u32_e64 v12, s[6:7], s12, v14
	v_addc_co_u32_e64 v13, s[6:7], v16, v15, s[6:7]
	global_store_short v[12:13], v17, off
	s_or_b64 exec, exec, s[8:9]
	s_and_saveexec_b64 s[8:9], s[2:3]
	s_cbranch_execz .LBB144_56
.LBB144_82:
	v_add_u32_e32 v12, v10, v6
	v_mov_b32_e32 v13, 0
	v_cvt_f16_f32_e32 v11, v11
	v_lshlrev_b64 v[12:13], 1, v[12:13]
	s_waitcnt lgkmcnt(0)
	v_mov_b32_e32 v14, s13
	v_add_co_u32_e64 v12, s[6:7], s12, v12
	v_addc_co_u32_e64 v13, s[6:7], v14, v13, s[6:7]
	global_store_short v[12:13], v11, off
	s_or_b64 exec, exec, s[8:9]
	s_and_saveexec_b64 s[8:9], s[4:5]
	s_cbranch_execnz .LBB144_57
	s_branch .LBB144_58
.LBB144_83:
	v_add_u32_e32 v10, v2, v0
	v_mov_b32_e32 v11, 0
	v_cvt_f16_f32_e32 v7, v7
	v_lshlrev_b64 v[10:11], 1, v[10:11]
	s_waitcnt lgkmcnt(0)
	v_mov_b32_e32 v0, s13
	v_add_co_u32_e32 v10, vcc, s12, v10
	v_addc_co_u32_e32 v11, vcc, v0, v11, vcc
	global_store_short v[10:11], v7, off
	s_or_b64 exec, exec, s[6:7]
	s_and_saveexec_b64 s[6:7], s[0:1]
	s_cbranch_execz .LBB144_61
.LBB144_84:
	v_add_u32_e32 v10, v2, v4
	v_mov_b32_e32 v11, 0
	v_cvt_f16_f32_e32 v7, v5
	v_lshlrev_b64 v[10:11], 1, v[10:11]
	s_waitcnt lgkmcnt(0)
	v_mov_b32_e32 v0, s13
	v_add_co_u32_e32 v4, vcc, s12, v10
	v_addc_co_u32_e32 v5, vcc, v0, v11, vcc
	global_store_short v[4:5], v7, off
	s_or_b64 exec, exec, s[6:7]
	s_and_saveexec_b64 s[0:1], s[2:3]
	s_cbranch_execz .LBB144_62
.LBB144_85:
	v_add_u32_e32 v4, v2, v6
	v_mov_b32_e32 v5, 0
	v_cvt_f16_f32_e32 v3, v3
	v_lshlrev_b64 v[4:5], 1, v[4:5]
	s_waitcnt lgkmcnt(0)
	v_mov_b32_e32 v0, s13
	v_add_co_u32_e32 v4, vcc, s12, v4
	v_addc_co_u32_e32 v5, vcc, v0, v5, vcc
	global_store_short v[4:5], v3, off
	s_or_b64 exec, exec, s[0:1]
	s_and_b64 exec, exec, s[4:5]
	s_cbranch_execnz .LBB144_63
	s_branch .LBB144_64
	.section	.rodata,"a",@progbits
	.p2align	6, 0x0
	.amdhsa_kernel _ZL12mul_mat_q5_1IN3c104HalfELb1EEvPKvS3_PT_iiiii
		.amdhsa_group_segment_fixed_size 46720
		.amdhsa_private_segment_fixed_size 0
		.amdhsa_kernarg_size 44
		.amdhsa_user_sgpr_count 6
		.amdhsa_user_sgpr_private_segment_buffer 1
		.amdhsa_user_sgpr_dispatch_ptr 0
		.amdhsa_user_sgpr_queue_ptr 0
		.amdhsa_user_sgpr_kernarg_segment_ptr 1
		.amdhsa_user_sgpr_dispatch_id 0
		.amdhsa_user_sgpr_flat_scratch_init 0
		.amdhsa_user_sgpr_kernarg_preload_length 0
		.amdhsa_user_sgpr_kernarg_preload_offset 0
		.amdhsa_user_sgpr_private_segment_size 0
		.amdhsa_uses_dynamic_stack 0
		.amdhsa_system_sgpr_private_segment_wavefront_offset 0
		.amdhsa_system_sgpr_workgroup_id_x 1
		.amdhsa_system_sgpr_workgroup_id_y 1
		.amdhsa_system_sgpr_workgroup_id_z 0
		.amdhsa_system_sgpr_workgroup_info 0
		.amdhsa_system_vgpr_workitem_id 1
		.amdhsa_next_free_vgpr 168
		.amdhsa_next_free_sgpr 18
		.amdhsa_accum_offset 168
		.amdhsa_reserve_vcc 1
		.amdhsa_reserve_flat_scratch 0
		.amdhsa_float_round_mode_32 0
		.amdhsa_float_round_mode_16_64 0
		.amdhsa_float_denorm_mode_32 3
		.amdhsa_float_denorm_mode_16_64 3
		.amdhsa_dx10_clamp 1
		.amdhsa_ieee_mode 1
		.amdhsa_fp16_overflow 0
		.amdhsa_tg_split 0
		.amdhsa_exception_fp_ieee_invalid_op 0
		.amdhsa_exception_fp_denorm_src 0
		.amdhsa_exception_fp_ieee_div_zero 0
		.amdhsa_exception_fp_ieee_overflow 0
		.amdhsa_exception_fp_ieee_underflow 0
		.amdhsa_exception_fp_ieee_inexact 0
		.amdhsa_exception_int_div_zero 0
	.end_amdhsa_kernel
	.section	.text._ZL12mul_mat_q5_1IN3c104HalfELb1EEvPKvS3_PT_iiiii,"axG",@progbits,_ZL12mul_mat_q5_1IN3c104HalfELb1EEvPKvS3_PT_iiiii,comdat
.Lfunc_end144:
	.size	_ZL12mul_mat_q5_1IN3c104HalfELb1EEvPKvS3_PT_iiiii, .Lfunc_end144-_ZL12mul_mat_q5_1IN3c104HalfELb1EEvPKvS3_PT_iiiii
                                        ; -- End function
	.section	.AMDGPU.csdata,"",@progbits
; Kernel info:
; codeLenInByte = 13432
; NumSgprs: 22
; NumVgprs: 168
; NumAgprs: 0
; TotalNumVgprs: 168
; ScratchSize: 0
; MemoryBound: 0
; FloatMode: 240
; IeeeMode: 1
; LDSByteSize: 46720 bytes/workgroup (compile time only)
; SGPRBlocks: 2
; VGPRBlocks: 20
; NumSGPRsForWavesPerEU: 22
; NumVGPRsForWavesPerEU: 168
; AccumOffset: 168
; Occupancy: 1
; WaveLimiterHint : 0
; COMPUTE_PGM_RSRC2:SCRATCH_EN: 0
; COMPUTE_PGM_RSRC2:USER_SGPR: 6
; COMPUTE_PGM_RSRC2:TRAP_HANDLER: 0
; COMPUTE_PGM_RSRC2:TGID_X_EN: 1
; COMPUTE_PGM_RSRC2:TGID_Y_EN: 1
; COMPUTE_PGM_RSRC2:TGID_Z_EN: 0
; COMPUTE_PGM_RSRC2:TIDIG_COMP_CNT: 1
; COMPUTE_PGM_RSRC3_GFX90A:ACCUM_OFFSET: 41
; COMPUTE_PGM_RSRC3_GFX90A:TG_SPLIT: 0
	.section	.text._ZL12mul_mat_q8_0IN3c104HalfELb0EEvPKvS3_PT_iiiii,"axG",@progbits,_ZL12mul_mat_q8_0IN3c104HalfELb0EEvPKvS3_PT_iiiii,comdat
	.globl	_ZL12mul_mat_q8_0IN3c104HalfELb0EEvPKvS3_PT_iiiii ; -- Begin function _ZL12mul_mat_q8_0IN3c104HalfELb0EEvPKvS3_PT_iiiii
	.p2align	8
	.type	_ZL12mul_mat_q8_0IN3c104HalfELb0EEvPKvS3_PT_iiiii,@function
_ZL12mul_mat_q8_0IN3c104HalfELb0EEvPKvS3_PT_iiiii: ; @_ZL12mul_mat_q8_0IN3c104HalfELb0EEvPKvS3_PT_iiiii
; %bb.0:
	s_load_dword s14, s[4:5], 0x18
	s_load_dwordx4 s[8:11], s[4:5], 0x20
	s_waitcnt lgkmcnt(0)
	s_lshl_b32 s11, s7, 6
	v_bfe_u32 v35, v0, 10, 10
	s_cmp_gt_i32 s14, 31
	s_cbranch_scc1 .LBB145_2
; %bb.1:
	v_bfe_u32 v34, v0, 10, 10
	v_and_b32_e32 v1, 0x3ff, v0
	v_add_u32_e32 v37, s11, v34
	s_mov_b64 s[0:1], 0
	s_mov_b32 s2, 0
	s_branch .LBB145_3
.LBB145_2:
	s_mov_b64 s[0:1], -1
                                        ; implicit-def: $sgpr2
                                        ; implicit-def: $vgpr34
                                        ; implicit-def: $vgpr1
                                        ; implicit-def: $vgpr37
.LBB145_3:
	s_load_dwordx2 s[12:13], s[4:5], 0x10
	s_lshl_b32 s6, s6, 7
	s_andn2_b64 vcc, exec, s[0:1]
	v_mov_b32_e32 v3, s2
	v_mov_b32_e32 v2, s2
	;; [unrolled: 1-line block ×32, first 2 shown]
	s_cbranch_vccnz .LBB145_9
; %bb.4:
	s_load_dwordx4 s[0:3], s[4:5], 0x0
	s_ashr_i32 s4, s14, 31
	s_lshr_b32 s4, s4, 27
	s_ashr_i32 s5, s9, 31
	s_add_i32 s14, s14, s4
	s_lshr_b32 s5, s5, 27
	s_ashr_i32 s4, s14, 5
	s_add_i32 s5, s9, s5
	s_ashr_i32 s9, s5, 5
	s_mul_i32 s5, s4, s6
	s_mul_hi_i32 s7, s5, 34
	s_mul_i32 s5, s5, 34
	s_waitcnt lgkmcnt(0)
	s_add_u32 s5, s0, s5
	v_and_b32_e32 v1, 0x3ff, v0
	s_addc_u32 s7, s1, s7
	v_lshlrev_b32_e32 v2, 2, v1
	s_movk_i32 s1, 0x84
	v_mul_lo_u32 v36, s4, v35
	v_mad_u32_u24 v39, v35, s1, v2
	s_lshl_b32 s1, s4, 3
	v_add_u32_e32 v38, s1, v36
	v_add_u32_e32 v40, s1, v38
	;; [unrolled: 1-line block ×11, first 2 shown]
	v_and_b32_e32 v34, 28, v2
	v_add_u32_e32 v60, s1, v58
	v_lshlrev_b32_e32 v2, 3, v35
	v_lshrrev_b32_e32 v3, 2, v1
	v_add_u32_e32 v62, s1, v60
	v_add_u32_e32 v4, v3, v2
	v_add_u16_e32 v2, v3, v2
	v_add_u32_e32 v64, s1, v62
	v_and_b32_e32 v68, 3, v1
	v_lshrrev_b16_e32 v2, 1, v2
	v_add_u32_e32 v66, s1, v64
	v_and_b32_e32 v2, 0x7fc, v2
	v_lshlrev_b32_e32 v5, 2, v68
	s_movk_i32 s1, 0x6200
	v_add3_u32 v6, v2, v5, s1
	v_add_u32_e32 v2, 64, v4
	v_mul_lo_u32 v70, s4, v4
	v_lshlrev_b32_e32 v7, 4, v4
	v_lshrrev_b32_e32 v3, 1, v2
	v_mov_b32_e32 v11, s3
	v_add_co_u32_e32 v74, vcc, s2, v34
	v_and_b32_e32 v4, 63, v4
	v_and_b32_e32 v3, 0xffc, v3
	v_add_u32_e32 v37, s11, v35
	s_add_i32 s14, s8, -1
	v_addc_co_u32_e32 v75, vcc, 0, v11, vcc
	v_or_b32_e32 v11, s11, v4
	v_lshl_or_b32 v4, v4, 4, v5
	v_add3_u32 v8, v3, v5, s1
	v_lshlrev_b32_e32 v9, 4, v2
	v_cvt_f64_i32_e32 v[2:3], s14
	v_add_u32_e32 v71, 0x6a40, v4
	v_cvt_f64_u32_e32 v[4:5], v37
	v_min_f64 v[4:5], v[4:5], v[2:3]
	v_cvt_i32_f64_e32 v4, v[4:5]
	v_mul_lo_u32 v73, s9, v4
	v_add_u32_e32 v4, 8, v37
	v_cvt_f64_u32_e32 v[4:5], v4
	v_min_f64 v[4:5], v[4:5], v[2:3]
	v_cvt_i32_f64_e32 v4, v[4:5]
	v_mul_lo_u32 v79, s9, v4
	;; [unrolled: 5-line block ×7, first 2 shown]
	v_add_u32_e32 v4, 56, v37
	v_cvt_f64_u32_e32 v[4:5], v4
	v_min_f64 v[2:3], v[4:5], v[2:3]
	v_add_u32_e32 v4, 0x60, v1
	v_add_u32_e32 v69, 0x3de0, v39
	v_min_i32_e32 v11, s14, v11
	v_cvt_i32_f64_e32 v2, v[2:3]
	v_add_u32_e32 v3, 64, v1
	v_lshrrev_b32_e32 v4, 1, v4
	v_mad_u64_u32 v[76:77], s[14:15], v11, s9, v[68:69]
	v_mul_lo_u32 v128, s9, v2
	v_add_u32_e32 v2, 32, v1
	v_lshlrev_b32_e32 v5, 4, v1
	v_and_b32_e32 v4, 0xfc, v4
	s_movk_i32 s9, 0x6800
	v_lshrrev_b32_e32 v3, 1, v3
	v_add3_u32 v132, v5, v4, s9
	v_and_b32_e32 v3, 0xfc, v3
	s_movk_i32 s9, 0x6600
	v_lshrrev_b32_e32 v2, 1, v2
	v_lshrrev_b32_e32 v0, 3, v1
	v_add3_u32 v133, v5, v3, s9
	v_and_b32_e32 v2, 0xfc, v2
	s_movk_i32 s9, 0x6400
	s_mov_b32 s0, 0
	v_and_b32_e32 v10, 31, v1
	v_lshlrev_b32_e32 v11, 7, v35
	v_add3_u32 v134, v5, v2, s9
	v_lshlrev_b32_e32 v2, 2, v0
	v_lshl_or_b32 v10, v10, 2, v11
	v_add3_u32 v135, v5, v2, s1
	v_mov_b32_e32 v2, 0x6a40
	s_mov_b32 s1, s0
	v_add_u32_e32 v41, 0x420, v39
	v_add_u32_e32 v43, 0x840, v39
	;; [unrolled: 1-line block ×14, first 2 shown]
	v_lshl_add_u32 v72, s4, 6, v70
	v_add_u32_e32 v77, 0x4200, v10
	v_add_u32_e32 v81, 0x4600, v10
	;; [unrolled: 1-line block ×8, first 2 shown]
	v_mul_u32_u24_e32 v130, 0x84, v1
	v_add_u32_e32 v131, 0x4200, v11
	v_lshl_add_u32 v136, v35, 4, v2
	v_pk_mov_b32 v[32:33], s[0:1], s[0:1] op_sel:[0,1]
	v_add_u32_e32 v137, v6, v7
	v_add_u32_e32 v138, v8, v9
	v_pk_mov_b32 v[24:25], s[0:1], s[0:1] op_sel:[0,1]
	v_pk_mov_b32 v[16:17], s[0:1], s[0:1] op_sel:[0,1]
	;; [unrolled: 1-line block ×15, first 2 shown]
.LBB145_5:                              ; =>This Loop Header: Depth=1
                                        ;     Child Loop BB145_6 Depth 2
	s_mul_i32 s9, s0, 34
	s_mul_hi_u32 s1, s0, 34
	s_add_u32 s14, s5, s9
	s_addc_u32 s15, s7, s1
	v_mad_u64_u32 v[84:85], s[16:17], v0, 34, s[14:15]
	v_add_co_u32_e32 v78, vcc, v84, v34
	v_addc_co_u32_e32 v80, vcc, 0, v85, vcc
	v_add_co_u32_e32 v84, vcc, 2, v78
	v_addc_co_u32_e32 v85, vcc, 0, v80, vcc
	v_mad_u64_u32 v[88:89], s[16:17], v36, 34, v[84:85]
	v_mad_u64_u32 v[90:91], s[16:17], v38, 34, v[84:85]
	;; [unrolled: 1-line block ×8, first 2 shown]
	global_load_dword v78, v[88:89], off
	global_load_dword v80, v[90:91], off
	;; [unrolled: 1-line block ×8, first 2 shown]
	v_mad_u64_u32 v[88:89], s[16:17], v52, 34, v[84:85]
	v_mad_u64_u32 v[90:91], s[16:17], v54, 34, v[84:85]
	;; [unrolled: 1-line block ×8, first 2 shown]
	global_load_dword v108, v[88:89], off
	global_load_dword v109, v[90:91], off
	;; [unrolled: 1-line block ×3, first 2 shown]
                                        ; kill: killed $vgpr92_vgpr93
                                        ; kill: killed $vgpr90_vgpr91
                                        ; kill: killed $vgpr88_vgpr89
	global_load_dword v111, v[94:95], off
	global_load_dword v112, v[96:97], off
	;; [unrolled: 1-line block ×5, first 2 shown]
	v_mad_u64_u32 v[84:85], s[14:15], v68, 34, s[14:15]
	v_mad_u64_u32 v[88:89], s[14:15], v70, 34, v[84:85]
	;; [unrolled: 1-line block ×3, first 2 shown]
	v_add_u32_e32 v100, s0, v0
	global_load_ushort v116, v[88:89], off
	global_load_ushort v117, v[84:85], off
	v_add_u32_e32 v84, v100, v73
	v_add_u32_e32 v88, v100, v79
	;; [unrolled: 1-line block ×5, first 2 shown]
	v_mad_i64_i32 v[84:85], s[14:15], v84, 36, v[74:75]
	v_mad_i64_i32 v[88:89], s[14:15], v88, 36, v[74:75]
	;; [unrolled: 1-line block ×5, first 2 shown]
	v_add_u32_e32 v96, v100, v124
	v_add_u32_e32 v98, v100, v126
	;; [unrolled: 1-line block ×4, first 2 shown]
	v_mad_i64_i32 v[96:97], s[14:15], v96, 36, v[74:75]
	v_mad_i64_i32 v[98:99], s[14:15], v98, 36, v[74:75]
	;; [unrolled: 1-line block ×3, first 2 shown]
	v_mad_u64_u32 v[102:103], s[14:15], v102, 36, s[2:3]
	global_load_dword v84, v[84:85], off offset:4
	s_nop 0
	global_load_dword v85, v[88:89], off offset:4
	s_nop 0
	global_load_dword v88, v[90:91], off offset:4
	global_load_dword v89, v[92:93], off offset:4
	s_nop 0
	global_load_dword v90, v[94:95], off offset:4
	global_load_dword v91, v[102:103], off
	global_load_dword v92, v[96:97], off offset:4
	global_load_dword v93, v[98:99], off offset:4
	s_nop 0
	global_load_dword v94, v[100:101], off offset:4
	s_mov_b32 s1, -8
	v_mov_b32_e32 v139, v136
	v_mov_b32_e32 v140, v135
	v_mov_b32_e32 v141, v134
	v_mov_b32_e32 v142, v133
	s_waitcnt vmcnt(26)
	ds_write_b32 v39, v78
	s_waitcnt vmcnt(25)
	ds_write_b32 v41, v80
	;; [unrolled: 2-line block ×14, first 2 shown]
	v_mov_b32_e32 v143, v132
	v_mov_b32_e32 v144, v131
	;; [unrolled: 1-line block ×3, first 2 shown]
	s_waitcnt vmcnt(10)
	v_cvt_f32_f16_e32 v78, v116
	s_waitcnt vmcnt(9)
	v_cvt_f32_f16_e32 v80, v117
	ds_write_b32 v67, v114
	ds_write_b32 v69, v115
	;; [unrolled: 1-line block ×4, first 2 shown]
	s_waitcnt vmcnt(8)
	ds_write_b32 v77, v84
	s_waitcnt vmcnt(7)
	ds_write_b32 v81, v85
	;; [unrolled: 2-line block ×5, first 2 shown]
	s_waitcnt vmcnt(3)
	v_cvt_f32_f16_e32 v78, v91
	s_waitcnt vmcnt(2)
	ds_write_b32 v125, v92
	s_waitcnt vmcnt(1)
	ds_write_b32 v127, v93
	;; [unrolled: 2-line block ×3, first 2 shown]
	ds_write_b32 v71, v78
	s_waitcnt lgkmcnt(0)
	s_barrier
.LBB145_6:                              ;   Parent Loop BB145_5 Depth=1
                                        ; =>  This Inner Loop Header: Depth=2
	v_add_u32_e32 v80, 0x1080, v145
	ds_read2_b32 v[118:119], v139 offset1:32
	ds_read_b128 v[146:149], v144
	ds_read_b128 v[150:153], v144 offset:16
	ds_read_b32 v82, v140
	ds_read2_b32 v[90:91], v145 offset1:1
	ds_read2_b32 v[98:99], v145 offset0:2 offset1:3
	ds_read2_b32 v[104:105], v145 offset0:4 offset1:5
	;; [unrolled: 1-line block ×3, first 2 shown]
	ds_read_b32 v78, v141
	ds_read2_b32 v[84:85], v80 offset1:1
	v_add_u32_e32 v80, 0x1088, v145
	ds_read2_b32 v[92:93], v80 offset1:1
	v_add_u32_e32 v80, 0x1090, v145
	;; [unrolled: 2-line block ×3, first 2 shown]
	v_add_u32_e32 v86, 0x2100, v145
	ds_read2_b32 v[110:111], v80 offset1:1
	ds_read_b32 v80, v142
	ds_read2_b32 v[88:89], v86 offset1:1
	v_add_u32_e32 v86, 0x2108, v145
	ds_read2_b32 v[96:97], v86 offset1:1
	v_add_u32_e32 v86, 0x2110, v145
	;; [unrolled: 2-line block ×3, first 2 shown]
	v_add_u32_e32 v94, 0x3180, v145
	ds_read2_b32 v[114:115], v86 offset1:1
	ds_read_b32 v86, v143
	ds_read2_b32 v[94:95], v94 offset1:1
	v_add_u32_e32 v102, 0x3188, v145
	ds_read2_b32 v[102:103], v102 offset1:1
	v_add_u32_e32 v112, 0x3190, v145
	ds_read2_b32 v[112:113], v112 offset1:1
	v_mov_b32_e32 v156, 0
	v_mov_b32_e32 v158, 0
	;; [unrolled: 1-line block ×4, first 2 shown]
	s_waitcnt lgkmcnt(14)
	v_dot4c_i32_i8_e32 v156, v90, v146
	s_waitcnt lgkmcnt(12)
	v_dot4c_i32_i8_e32 v158, v84, v146
	;; [unrolled: 2-line block ×4, first 2 shown]
	v_add_u32_e32 v116, 0x3198, v145
	ds_read2_b32 v[116:117], v116 offset1:1
	v_dot4c_i32_i8_e32 v156, v91, v147
	v_dot4c_i32_i8_e32 v158, v85, v147
	v_dot4c_i32_i8_e32 v159, v89, v147
	v_dot4c_i32_i8_e32 v160, v95, v147
	v_dot4c_i32_i8_e32 v156, v98, v148
	v_dot4c_i32_i8_e32 v158, v92, v148
	v_dot4c_i32_i8_e32 v159, v96, v148
	s_waitcnt lgkmcnt(2)
	v_dot4c_i32_i8_e32 v160, v102, v148
	v_dot4c_i32_i8_e32 v156, v99, v149
	v_dot4c_i32_i8_e32 v158, v93, v149
	v_dot4c_i32_i8_e32 v159, v97, v149
	v_dot4c_i32_i8_e32 v160, v103, v149
	v_dot4c_i32_i8_e32 v156, v104, v150
	v_dot4c_i32_i8_e32 v158, v100, v150
	v_dot4c_i32_i8_e32 v159, v106, v150
	s_waitcnt lgkmcnt(1)
	v_dot4c_i32_i8_e32 v160, v112, v150
	;; [unrolled: 9-line block ×3, first 2 shown]
	v_dot4c_i32_i8_e32 v156, v109, v153
	v_dot4c_i32_i8_e32 v158, v111, v153
	;; [unrolled: 1-line block ×4, first 2 shown]
	ds_read_b128 v[146:149], v144 offset:1024
	ds_read_b128 v[150:153], v144 offset:1040
	v_mov_b32_e32 v157, 0
	v_cvt_f32_i32_e32 v156, v156
	v_pk_mul_f32 v[154:155], v[82:83], v[118:119] op_sel_hi:[0,1]
	s_waitcnt lgkmcnt(1)
	v_dot4c_i32_i8_e32 v157, v90, v146
	v_dot4c_i32_i8_e32 v157, v91, v147
	;; [unrolled: 1-line block ×4, first 2 shown]
	s_waitcnt lgkmcnt(0)
	v_dot4c_i32_i8_e32 v157, v104, v150
	v_dot4c_i32_i8_e32 v157, v105, v151
	;; [unrolled: 1-line block ×4, first 2 shown]
	s_add_i32 s1, s1, 8
	v_add_u32_e32 v145, 32, v145
	v_add_u32_e32 v143, 4, v143
	v_cvt_f32_i32_e32 v157, v157
	v_add_u32_e32 v142, 4, v142
	v_add_u32_e32 v141, 4, v141
	;; [unrolled: 1-line block ×3, first 2 shown]
	v_pk_fma_f32 v[32:33], v[154:155], v[156:157], v[32:33]
	v_mov_b32_e32 v156, 0
	v_dot4c_i32_i8_e32 v156, v84, v146
	v_dot4c_i32_i8_e32 v156, v85, v147
	;; [unrolled: 1-line block ×8, first 2 shown]
	v_pk_mul_f32 v[154:155], v[78:79], v[118:119] op_sel_hi:[0,1]
	s_cmp_lt_u32 s1, 24
	s_nop 0
	v_cvt_f32_i32_e32 v157, v156
	v_cvt_f32_i32_e32 v156, v158
	v_mov_b32_e32 v158, 0
	v_pk_fma_f32 v[30:31], v[154:155], v[156:157], v[30:31]
	v_mov_b32_e32 v156, 0
	v_dot4c_i32_i8_e32 v156, v88, v146
	v_dot4c_i32_i8_e32 v156, v89, v147
	;; [unrolled: 1-line block ×8, first 2 shown]
	v_pk_mul_f32 v[154:155], v[80:81], v[118:119] op_sel_hi:[0,1]
	v_pk_mul_f32 v[118:119], v[86:87], v[118:119] op_sel_hi:[0,1]
	s_nop 0
	v_cvt_f32_i32_e32 v157, v156
	v_cvt_f32_i32_e32 v156, v159
	v_mov_b32_e32 v159, 0
	v_pk_fma_f32 v[28:29], v[154:155], v[156:157], v[28:29]
	v_mov_b32_e32 v154, 0
	v_dot4c_i32_i8_e32 v154, v94, v146
	v_dot4c_i32_i8_e32 v154, v95, v147
	;; [unrolled: 1-line block ×8, first 2 shown]
	v_cvt_f32_i32_e32 v146, v160
	v_mov_b32_e32 v156, 0
	v_mov_b32_e32 v160, 0
	v_cvt_f32_i32_e32 v147, v154
	v_mov_b32_e32 v157, 0
	v_pk_fma_f32 v[26:27], v[118:119], v[146:147], v[26:27]
	ds_read2_b32 v[118:119], v139 offset0:64 offset1:96
	ds_read_b128 v[146:149], v144 offset:2048
	ds_read_b128 v[150:153], v144 offset:2064
	s_waitcnt lgkmcnt(2)
	v_pk_mul_f32 v[154:155], v[82:83], v[118:119] op_sel_hi:[0,1]
	s_waitcnt lgkmcnt(1)
	v_dot4c_i32_i8_e32 v156, v90, v146
	v_dot4c_i32_i8_e32 v158, v84, v146
	;; [unrolled: 1-line block ×16, first 2 shown]
	s_waitcnt lgkmcnt(0)
	v_dot4c_i32_i8_e32 v156, v104, v150
	v_dot4c_i32_i8_e32 v158, v100, v150
	;; [unrolled: 1-line block ×16, first 2 shown]
	ds_read_b128 v[146:149], v144 offset:3072
	ds_read_b128 v[150:153], v144 offset:3088
	v_cvt_f32_i32_e32 v156, v156
	s_waitcnt lgkmcnt(1)
	v_dot4c_i32_i8_e32 v157, v90, v146
	v_dot4c_i32_i8_e32 v157, v91, v147
	;; [unrolled: 1-line block ×4, first 2 shown]
	s_waitcnt lgkmcnt(0)
	v_dot4c_i32_i8_e32 v157, v104, v150
	v_dot4c_i32_i8_e32 v157, v105, v151
	;; [unrolled: 1-line block ×4, first 2 shown]
	s_nop 2
	v_cvt_f32_i32_e32 v157, v157
	v_pk_fma_f32 v[24:25], v[154:155], v[156:157], v[24:25]
	v_mov_b32_e32 v156, 0
	v_dot4c_i32_i8_e32 v156, v84, v146
	v_dot4c_i32_i8_e32 v156, v85, v147
	;; [unrolled: 1-line block ×8, first 2 shown]
	v_pk_mul_f32 v[154:155], v[78:79], v[118:119] op_sel_hi:[0,1]
	s_nop 1
	v_cvt_f32_i32_e32 v157, v156
	v_cvt_f32_i32_e32 v156, v158
	v_mov_b32_e32 v158, 0
	v_pk_fma_f32 v[22:23], v[154:155], v[156:157], v[22:23]
	v_mov_b32_e32 v156, 0
	v_dot4c_i32_i8_e32 v156, v88, v146
	v_dot4c_i32_i8_e32 v156, v89, v147
	;; [unrolled: 1-line block ×8, first 2 shown]
	v_pk_mul_f32 v[154:155], v[80:81], v[118:119] op_sel_hi:[0,1]
	v_pk_mul_f32 v[118:119], v[86:87], v[118:119] op_sel_hi:[0,1]
	s_nop 0
	v_cvt_f32_i32_e32 v157, v156
	v_cvt_f32_i32_e32 v156, v159
	v_mov_b32_e32 v159, 0
	v_pk_fma_f32 v[20:21], v[154:155], v[156:157], v[20:21]
	v_mov_b32_e32 v154, 0
	v_dot4c_i32_i8_e32 v154, v94, v146
	v_dot4c_i32_i8_e32 v154, v95, v147
	;; [unrolled: 1-line block ×8, first 2 shown]
	v_cvt_f32_i32_e32 v146, v160
	v_mov_b32_e32 v156, 0
	v_mov_b32_e32 v160, 0
	v_cvt_f32_i32_e32 v147, v154
	v_mov_b32_e32 v157, 0
	v_pk_fma_f32 v[18:19], v[118:119], v[146:147], v[18:19]
	ds_read2_b32 v[118:119], v139 offset0:128 offset1:160
	ds_read_b128 v[146:149], v144 offset:4096
	ds_read_b128 v[150:153], v144 offset:4112
	s_waitcnt lgkmcnt(2)
	v_pk_mul_f32 v[154:155], v[82:83], v[118:119] op_sel_hi:[0,1]
	s_waitcnt lgkmcnt(1)
	v_dot4c_i32_i8_e32 v156, v90, v146
	v_dot4c_i32_i8_e32 v158, v84, v146
	;; [unrolled: 1-line block ×16, first 2 shown]
	s_waitcnt lgkmcnt(0)
	v_dot4c_i32_i8_e32 v156, v104, v150
	v_dot4c_i32_i8_e32 v158, v100, v150
	v_dot4c_i32_i8_e32 v159, v106, v150
	v_dot4c_i32_i8_e32 v160, v112, v150
	v_dot4c_i32_i8_e32 v156, v105, v151
	v_dot4c_i32_i8_e32 v158, v101, v151
	v_dot4c_i32_i8_e32 v159, v107, v151
	v_dot4c_i32_i8_e32 v160, v113, v151
	v_dot4c_i32_i8_e32 v156, v108, v152
	v_dot4c_i32_i8_e32 v158, v110, v152
	v_dot4c_i32_i8_e32 v159, v114, v152
	v_dot4c_i32_i8_e32 v160, v116, v152
	v_dot4c_i32_i8_e32 v156, v109, v153
	v_dot4c_i32_i8_e32 v158, v111, v153
	v_dot4c_i32_i8_e32 v159, v115, v153
	v_dot4c_i32_i8_e32 v160, v117, v153
	ds_read_b128 v[146:149], v144 offset:5120
	ds_read_b128 v[150:153], v144 offset:5136
	v_cvt_f32_i32_e32 v156, v156
	s_waitcnt lgkmcnt(1)
	v_dot4c_i32_i8_e32 v157, v90, v146
	v_dot4c_i32_i8_e32 v157, v91, v147
	;; [unrolled: 1-line block ×4, first 2 shown]
	s_waitcnt lgkmcnt(0)
	v_dot4c_i32_i8_e32 v157, v104, v150
	v_dot4c_i32_i8_e32 v157, v105, v151
	;; [unrolled: 1-line block ×4, first 2 shown]
	s_nop 2
	v_cvt_f32_i32_e32 v157, v157
	v_pk_fma_f32 v[16:17], v[154:155], v[156:157], v[16:17]
	v_mov_b32_e32 v156, 0
	v_dot4c_i32_i8_e32 v156, v84, v146
	v_dot4c_i32_i8_e32 v156, v85, v147
	;; [unrolled: 1-line block ×8, first 2 shown]
	v_pk_mul_f32 v[154:155], v[78:79], v[118:119] op_sel_hi:[0,1]
	s_nop 1
	v_cvt_f32_i32_e32 v157, v156
	v_cvt_f32_i32_e32 v156, v158
	v_mov_b32_e32 v158, 0
	v_pk_fma_f32 v[14:15], v[154:155], v[156:157], v[14:15]
	v_mov_b32_e32 v156, 0
	v_dot4c_i32_i8_e32 v156, v88, v146
	v_dot4c_i32_i8_e32 v156, v89, v147
	;; [unrolled: 1-line block ×8, first 2 shown]
	v_pk_mul_f32 v[154:155], v[80:81], v[118:119] op_sel_hi:[0,1]
	v_pk_mul_f32 v[118:119], v[86:87], v[118:119] op_sel_hi:[0,1]
	s_nop 0
	v_cvt_f32_i32_e32 v157, v156
	v_cvt_f32_i32_e32 v156, v159
	v_pk_fma_f32 v[12:13], v[154:155], v[156:157], v[12:13]
	v_mov_b32_e32 v154, 0
	v_dot4c_i32_i8_e32 v154, v94, v146
	v_dot4c_i32_i8_e32 v154, v95, v147
	;; [unrolled: 1-line block ×8, first 2 shown]
	v_cvt_f32_i32_e32 v146, v160
	v_mov_b32_e32 v155, 0
	v_mov_b32_e32 v156, 0
	v_cvt_f32_i32_e32 v147, v154
	v_mov_b32_e32 v154, 0
	v_mov_b32_e32 v157, 0
	v_pk_fma_f32 v[10:11], v[118:119], v[146:147], v[10:11]
	ds_read2_b32 v[118:119], v139 offset0:192 offset1:224
	ds_read_b128 v[146:149], v144 offset:6144
	ds_read_b128 v[150:153], v144 offset:6160
	v_add_u32_e32 v139, 4, v139
	s_waitcnt lgkmcnt(1)
	v_dot4c_i32_i8_e32 v154, v90, v146
	v_dot4c_i32_i8_e32 v155, v84, v146
	;; [unrolled: 1-line block ×16, first 2 shown]
	s_waitcnt lgkmcnt(0)
	v_dot4c_i32_i8_e32 v154, v104, v150
	v_dot4c_i32_i8_e32 v155, v100, v150
	;; [unrolled: 1-line block ×16, first 2 shown]
	ds_read_b128 v[146:149], v144 offset:7168
	ds_read_b128 v[150:153], v144 offset:7184
	v_add_u32_e32 v144, 32, v144
	s_waitcnt lgkmcnt(1)
	v_dot4c_i32_i8_e32 v158, v90, v146
	v_dot4c_i32_i8_e32 v158, v91, v147
	v_pk_mul_f32 v[90:91], v[82:83], v[118:119] op_sel_hi:[0,1]
	v_mov_b32_e32 v82, 0
	v_dot4c_i32_i8_e32 v82, v84, v146
	v_dot4c_i32_i8_e32 v82, v85, v147
	v_pk_mul_f32 v[84:85], v[78:79], v[118:119] op_sel_hi:[0,1]
	v_mov_b32_e32 v78, 0
	v_dot4c_i32_i8_e32 v78, v88, v146
	v_dot4c_i32_i8_e32 v78, v89, v147
	;; [unrolled: 1-line block ×6, first 2 shown]
	s_waitcnt lgkmcnt(0)
	v_dot4c_i32_i8_e32 v158, v104, v150
	v_dot4c_i32_i8_e32 v78, v106, v150
	;; [unrolled: 1-line block ×10, first 2 shown]
	v_cvt_f32_i32_e32 v98, v154
	v_cvt_f32_i32_e32 v99, v158
	v_dot4c_i32_i8_e32 v82, v100, v150
	v_cvt_f32_i32_e32 v89, v78
	v_mov_b32_e32 v78, 0
	v_dot4c_i32_i8_e32 v82, v101, v151
	v_dot4c_i32_i8_e32 v78, v94, v146
	;; [unrolled: 1-line block ×6, first 2 shown]
	v_pk_fma_f32 v[8:9], v[90:91], v[98:99], v[8:9]
	v_cvt_f32_i32_e32 v90, v155
	v_cvt_f32_i32_e32 v91, v82
	v_dot4c_i32_i8_e32 v78, v103, v149
	v_cvt_f32_i32_e32 v88, v156
	v_dot4c_i32_i8_e32 v78, v112, v150
	v_dot4c_i32_i8_e32 v78, v113, v151
	;; [unrolled: 1-line block ×3, first 2 shown]
	v_pk_fma_f32 v[6:7], v[84:85], v[90:91], v[6:7]
	v_pk_mul_f32 v[84:85], v[80:81], v[118:119] op_sel_hi:[0,1]
	v_dot4c_i32_i8_e32 v78, v117, v153
	v_pk_fma_f32 v[4:5], v[84:85], v[88:89], v[4:5]
	v_cvt_f32_i32_e32 v88, v157
	v_pk_mul_f32 v[84:85], v[86:87], v[118:119] op_sel_hi:[0,1]
	v_cvt_f32_i32_e32 v89, v78
	v_pk_fma_f32 v[2:3], v[84:85], v[88:89], v[2:3]
	s_cbranch_scc1 .LBB145_6
; %bb.7:                                ;   in Loop: Header=BB145_5 Depth=1
	s_add_i32 s0, s0, 4
	s_cmp_ge_i32 s0, s4
	s_barrier
	s_cbranch_scc0 .LBB145_5
; %bb.8:
	v_mov_b32_e32 v34, v35
.LBB145_9:
	v_cmp_gt_u32_e32 vcc, s8, v37
	s_and_saveexec_b64 s[0:1], vcc
	s_cbranch_execz .LBB145_60
; %bb.10:
	v_add_u32_e32 v0, s6, v1
	v_mul_lo_u32 v35, v37, s10
	v_cmp_gt_u32_e32 vcc, s10, v0
	s_and_saveexec_b64 s[2:3], vcc
	s_cbranch_execz .LBB145_12
; %bb.11:
	v_add_u32_e32 v36, v0, v35
	v_mov_b32_e32 v37, 0
	v_cvt_f16_f32_e32 v32, v32
	v_lshlrev_b64 v[36:37], 1, v[36:37]
	s_waitcnt lgkmcnt(0)
	v_mov_b32_e32 v1, s13
	v_add_co_u32_e64 v36, s[0:1], s12, v36
	v_addc_co_u32_e64 v37, s[0:1], v1, v37, s[0:1]
	global_store_short v[36:37], v32, off
.LBB145_12:
	s_or_b64 exec, exec, s[2:3]
	v_add_u32_e32 v1, 32, v0
	v_cmp_gt_u32_e64 s[0:1], s10, v1
	s_and_saveexec_b64 s[4:5], s[0:1]
	s_cbranch_execz .LBB145_14
; %bb.13:
	v_add_u32_e32 v36, v1, v35
	v_mov_b32_e32 v37, 0
	v_cvt_f16_f32_e32 v30, v30
	v_lshlrev_b64 v[36:37], 1, v[36:37]
	s_waitcnt lgkmcnt(0)
	v_mov_b32_e32 v32, s13
	v_add_co_u32_e64 v36, s[2:3], s12, v36
	v_addc_co_u32_e64 v37, s[2:3], v32, v37, s[2:3]
	global_store_short v[36:37], v30, off
.LBB145_14:
	s_or_b64 exec, exec, s[4:5]
	v_add_u32_e32 v30, 64, v0
	v_cmp_gt_u32_e64 s[2:3], s10, v30
	s_and_saveexec_b64 s[6:7], s[2:3]
	;; [unrolled: 16-line block ×3, first 2 shown]
	s_cbranch_execz .LBB145_18
; %bb.17:
	v_add_u32_e32 v36, v28, v35
	v_mov_b32_e32 v37, 0
	v_cvt_f16_f32_e32 v26, v26
	v_lshlrev_b64 v[36:37], 1, v[36:37]
	s_waitcnt lgkmcnt(0)
	v_mov_b32_e32 v32, s13
	v_add_co_u32_e64 v36, s[6:7], s12, v36
	v_addc_co_u32_e64 v37, s[6:7], v32, v37, s[6:7]
	global_store_short v[36:37], v26, off
.LBB145_18:
	s_or_b64 exec, exec, s[14:15]
	v_add3_u32 v26, v34, s11, 8
	v_cmp_gt_u32_e64 s[6:7], s8, v26
	s_and_b64 exec, exec, s[6:7]
	s_cbranch_execz .LBB145_60
; %bb.19:
	v_mul_lo_u32 v26, v26, s10
	s_and_saveexec_b64 s[14:15], vcc
	s_cbranch_execnz .LBB145_61
; %bb.20:
	s_or_b64 exec, exec, s[14:15]
	s_and_saveexec_b64 s[14:15], s[0:1]
	s_cbranch_execnz .LBB145_62
.LBB145_21:
	s_or_b64 exec, exec, s[14:15]
	s_and_saveexec_b64 s[14:15], s[2:3]
	s_cbranch_execnz .LBB145_63
.LBB145_22:
	s_or_b64 exec, exec, s[14:15]
	s_and_saveexec_b64 s[14:15], s[4:5]
	s_cbranch_execz .LBB145_24
.LBB145_23:
	v_add_u32_e32 v32, v26, v28
	v_mov_b32_e32 v33, 0
	v_cvt_f16_f32_e32 v31, v27
	v_lshlrev_b64 v[32:33], 1, v[32:33]
	s_waitcnt lgkmcnt(0)
	v_mov_b32_e32 v29, s13
	v_add_co_u32_e64 v26, s[6:7], s12, v32
	v_addc_co_u32_e64 v27, s[6:7], v29, v33, s[6:7]
	global_store_short v[26:27], v31, off
.LBB145_24:
	s_or_b64 exec, exec, s[14:15]
	v_add3_u32 v26, v34, s11, 16
	v_cmp_gt_u32_e64 s[6:7], s8, v26
	s_and_b64 exec, exec, s[6:7]
	s_cbranch_execz .LBB145_60
; %bb.25:
	v_mul_lo_u32 v26, v26, s10
	s_and_saveexec_b64 s[14:15], vcc
	s_cbranch_execnz .LBB145_64
; %bb.26:
	s_or_b64 exec, exec, s[14:15]
	s_and_saveexec_b64 s[14:15], s[0:1]
	s_cbranch_execnz .LBB145_65
.LBB145_27:
	s_or_b64 exec, exec, s[14:15]
	s_and_saveexec_b64 s[14:15], s[2:3]
	s_cbranch_execnz .LBB145_66
.LBB145_28:
	s_or_b64 exec, exec, s[14:15]
	s_and_saveexec_b64 s[14:15], s[4:5]
	s_cbranch_execz .LBB145_30
.LBB145_29:
	v_add_u32_e32 v26, v26, v28
	v_mov_b32_e32 v27, 0
	v_cvt_f16_f32_e32 v18, v18
	v_lshlrev_b64 v[26:27], 1, v[26:27]
	s_waitcnt lgkmcnt(0)
	v_mov_b32_e32 v20, s13
	v_add_co_u32_e64 v26, s[6:7], s12, v26
	v_addc_co_u32_e64 v27, s[6:7], v20, v27, s[6:7]
	global_store_short v[26:27], v18, off
.LBB145_30:
	s_or_b64 exec, exec, s[14:15]
	v_add3_u32 v18, v34, s11, 24
	v_cmp_gt_u32_e64 s[6:7], s8, v18
	s_and_b64 exec, exec, s[6:7]
	s_cbranch_execz .LBB145_60
; %bb.31:
	v_mul_lo_u32 v18, v18, s10
	s_and_saveexec_b64 s[14:15], vcc
	s_cbranch_execnz .LBB145_67
; %bb.32:
	s_or_b64 exec, exec, s[14:15]
	s_and_saveexec_b64 s[14:15], s[0:1]
	s_cbranch_execnz .LBB145_68
.LBB145_33:
	s_or_b64 exec, exec, s[14:15]
	s_and_saveexec_b64 s[14:15], s[2:3]
	s_cbranch_execnz .LBB145_69
.LBB145_34:
	s_or_b64 exec, exec, s[14:15]
	s_and_saveexec_b64 s[14:15], s[4:5]
	s_cbranch_execz .LBB145_36
.LBB145_35:
	v_add_u32_e32 v20, v18, v28
	v_mov_b32_e32 v21, 0
	v_cvt_f16_f32_e32 v23, v19
	v_lshlrev_b64 v[20:21], 1, v[20:21]
	s_waitcnt lgkmcnt(0)
	v_mov_b32_e32 v22, s13
	v_add_co_u32_e64 v18, s[6:7], s12, v20
	v_addc_co_u32_e64 v19, s[6:7], v22, v21, s[6:7]
	global_store_short v[18:19], v23, off
.LBB145_36:
	s_or_b64 exec, exec, s[14:15]
	v_add3_u32 v18, v34, s11, 32
	v_cmp_gt_u32_e64 s[6:7], s8, v18
	s_and_b64 exec, exec, s[6:7]
	s_cbranch_execz .LBB145_60
; %bb.37:
	v_mul_lo_u32 v18, v18, s10
	s_and_saveexec_b64 s[14:15], vcc
	s_cbranch_execnz .LBB145_70
; %bb.38:
	s_or_b64 exec, exec, s[14:15]
	s_and_saveexec_b64 s[14:15], s[0:1]
	s_cbranch_execnz .LBB145_71
.LBB145_39:
	s_or_b64 exec, exec, s[14:15]
	s_and_saveexec_b64 s[14:15], s[2:3]
	s_cbranch_execnz .LBB145_72
.LBB145_40:
	s_or_b64 exec, exec, s[14:15]
	s_and_saveexec_b64 s[14:15], s[4:5]
	s_cbranch_execz .LBB145_42
.LBB145_41:
	v_add_u32_e32 v18, v18, v28
	v_mov_b32_e32 v19, 0
	v_cvt_f16_f32_e32 v10, v10
	v_lshlrev_b64 v[18:19], 1, v[18:19]
	s_waitcnt lgkmcnt(0)
	v_mov_b32_e32 v12, s13
	v_add_co_u32_e64 v18, s[6:7], s12, v18
	v_addc_co_u32_e64 v19, s[6:7], v12, v19, s[6:7]
	global_store_short v[18:19], v10, off
.LBB145_42:
	s_or_b64 exec, exec, s[14:15]
	v_add3_u32 v10, v34, s11, 40
	v_cmp_gt_u32_e64 s[6:7], s8, v10
	s_and_b64 exec, exec, s[6:7]
	s_cbranch_execz .LBB145_60
; %bb.43:
	v_mul_lo_u32 v10, v10, s10
	s_and_saveexec_b64 s[14:15], vcc
	s_cbranch_execnz .LBB145_73
; %bb.44:
	s_or_b64 exec, exec, s[14:15]
	s_and_saveexec_b64 s[14:15], s[0:1]
	s_cbranch_execnz .LBB145_74
.LBB145_45:
	s_or_b64 exec, exec, s[14:15]
	s_and_saveexec_b64 s[14:15], s[2:3]
	s_cbranch_execnz .LBB145_75
.LBB145_46:
	s_or_b64 exec, exec, s[14:15]
	s_and_saveexec_b64 s[14:15], s[4:5]
	s_cbranch_execz .LBB145_48
.LBB145_47:
	v_add_u32_e32 v12, v10, v28
	v_mov_b32_e32 v13, 0
	v_cvt_f16_f32_e32 v15, v11
	v_lshlrev_b64 v[12:13], 1, v[12:13]
	s_waitcnt lgkmcnt(0)
	v_mov_b32_e32 v14, s13
	v_add_co_u32_e64 v10, s[6:7], s12, v12
	v_addc_co_u32_e64 v11, s[6:7], v14, v13, s[6:7]
	global_store_short v[10:11], v15, off
.LBB145_48:
	s_or_b64 exec, exec, s[14:15]
	v_add3_u32 v10, v34, s11, 48
	v_cmp_gt_u32_e64 s[6:7], s8, v10
	s_and_b64 exec, exec, s[6:7]
	s_cbranch_execz .LBB145_60
; %bb.49:
	v_mul_lo_u32 v10, v10, s10
	s_and_saveexec_b64 s[14:15], vcc
	s_cbranch_execnz .LBB145_76
; %bb.50:
	s_or_b64 exec, exec, s[14:15]
	s_and_saveexec_b64 s[14:15], s[0:1]
	s_cbranch_execnz .LBB145_77
.LBB145_51:
	s_or_b64 exec, exec, s[14:15]
	s_and_saveexec_b64 s[14:15], s[2:3]
	s_cbranch_execnz .LBB145_78
.LBB145_52:
	s_or_b64 exec, exec, s[14:15]
	s_and_saveexec_b64 s[14:15], s[4:5]
	s_cbranch_execz .LBB145_54
.LBB145_53:
	v_add_u32_e32 v10, v10, v28
	v_mov_b32_e32 v11, 0
	v_cvt_f16_f32_e32 v2, v2
	v_lshlrev_b64 v[10:11], 1, v[10:11]
	s_waitcnt lgkmcnt(0)
	v_mov_b32_e32 v4, s13
	v_add_co_u32_e64 v10, s[6:7], s12, v10
	v_addc_co_u32_e64 v11, s[6:7], v4, v11, s[6:7]
	global_store_short v[10:11], v2, off
.LBB145_54:
	s_or_b64 exec, exec, s[14:15]
	v_add3_u32 v2, v34, s11, 56
	v_cmp_gt_u32_e64 s[6:7], s8, v2
	s_and_b64 exec, exec, s[6:7]
	s_cbranch_execz .LBB145_60
; %bb.55:
	v_mul_lo_u32 v2, v2, s10
	s_and_saveexec_b64 s[6:7], vcc
	s_cbranch_execnz .LBB145_79
; %bb.56:
	s_or_b64 exec, exec, s[6:7]
	s_and_saveexec_b64 s[6:7], s[0:1]
	s_cbranch_execnz .LBB145_80
.LBB145_57:
	s_or_b64 exec, exec, s[6:7]
	s_and_saveexec_b64 s[0:1], s[2:3]
	s_cbranch_execnz .LBB145_81
.LBB145_58:
	s_or_b64 exec, exec, s[0:1]
	s_and_b64 exec, exec, s[4:5]
	s_cbranch_execz .LBB145_60
.LBB145_59:
	v_add_u32_e32 v0, v2, v28
	v_mov_b32_e32 v1, 0
	v_cvt_f16_f32_e32 v3, v3
	v_lshlrev_b64 v[0:1], 1, v[0:1]
	s_waitcnt lgkmcnt(0)
	v_mov_b32_e32 v2, s13
	v_add_co_u32_e32 v0, vcc, s12, v0
	v_addc_co_u32_e32 v1, vcc, v2, v1, vcc
	global_store_short v[0:1], v3, off
.LBB145_60:
	s_endpgm
.LBB145_61:
	v_add_u32_e32 v36, v26, v0
	v_mov_b32_e32 v37, 0
	v_cvt_f16_f32_e32 v38, v33
	v_lshlrev_b64 v[36:37], 1, v[36:37]
	s_waitcnt lgkmcnt(0)
	v_mov_b32_e32 v35, s13
	v_add_co_u32_e64 v32, s[6:7], s12, v36
	v_addc_co_u32_e64 v33, s[6:7], v35, v37, s[6:7]
	global_store_short v[32:33], v38, off
	s_or_b64 exec, exec, s[14:15]
	s_and_saveexec_b64 s[14:15], s[0:1]
	s_cbranch_execz .LBB145_21
.LBB145_62:
	v_add_u32_e32 v32, v26, v1
	v_mov_b32_e32 v33, 0
	v_cvt_f16_f32_e32 v31, v31
	v_lshlrev_b64 v[32:33], 1, v[32:33]
	s_waitcnt lgkmcnt(0)
	v_mov_b32_e32 v35, s13
	v_add_co_u32_e64 v32, s[6:7], s12, v32
	v_addc_co_u32_e64 v33, s[6:7], v35, v33, s[6:7]
	global_store_short v[32:33], v31, off
	s_or_b64 exec, exec, s[14:15]
	s_and_saveexec_b64 s[14:15], s[2:3]
	s_cbranch_execz .LBB145_22
.LBB145_63:
	v_add_u32_e32 v32, v26, v30
	v_mov_b32_e32 v33, 0
	v_cvt_f16_f32_e32 v29, v29
	v_lshlrev_b64 v[32:33], 1, v[32:33]
	s_waitcnt lgkmcnt(0)
	v_mov_b32_e32 v31, s13
	v_add_co_u32_e64 v32, s[6:7], s12, v32
	v_addc_co_u32_e64 v33, s[6:7], v31, v33, s[6:7]
	global_store_short v[32:33], v29, off
	s_or_b64 exec, exec, s[14:15]
	s_and_saveexec_b64 s[14:15], s[4:5]
	s_cbranch_execnz .LBB145_23
	s_branch .LBB145_24
.LBB145_64:
	v_add_u32_e32 v32, v26, v0
	v_mov_b32_e32 v33, 0
	v_cvt_f16_f32_e32 v24, v24
	v_lshlrev_b64 v[32:33], 1, v[32:33]
	s_waitcnt lgkmcnt(0)
	v_mov_b32_e32 v27, s13
	v_add_co_u32_e64 v32, s[6:7], s12, v32
	v_addc_co_u32_e64 v33, s[6:7], v27, v33, s[6:7]
	global_store_short v[32:33], v24, off
	s_or_b64 exec, exec, s[14:15]
	s_and_saveexec_b64 s[14:15], s[0:1]
	s_cbranch_execz .LBB145_27
.LBB145_65:
	v_add_u32_e32 v32, v26, v1
	v_mov_b32_e32 v33, 0
	v_cvt_f16_f32_e32 v22, v22
	v_lshlrev_b64 v[32:33], 1, v[32:33]
	s_waitcnt lgkmcnt(0)
	v_mov_b32_e32 v24, s13
	v_add_co_u32_e64 v32, s[6:7], s12, v32
	v_addc_co_u32_e64 v33, s[6:7], v24, v33, s[6:7]
	global_store_short v[32:33], v22, off
	s_or_b64 exec, exec, s[14:15]
	s_and_saveexec_b64 s[14:15], s[2:3]
	s_cbranch_execz .LBB145_28
.LBB145_66:
	v_add_u32_e32 v32, v26, v30
	v_mov_b32_e32 v33, 0
	v_cvt_f16_f32_e32 v20, v20
	v_lshlrev_b64 v[32:33], 1, v[32:33]
	s_waitcnt lgkmcnt(0)
	v_mov_b32_e32 v22, s13
	v_add_co_u32_e64 v32, s[6:7], s12, v32
	v_addc_co_u32_e64 v33, s[6:7], v22, v33, s[6:7]
	global_store_short v[32:33], v20, off
	s_or_b64 exec, exec, s[14:15]
	s_and_saveexec_b64 s[14:15], s[4:5]
	s_cbranch_execnz .LBB145_29
	s_branch .LBB145_30
.LBB145_67:
	v_add_u32_e32 v26, v18, v0
	v_mov_b32_e32 v27, 0
	v_cvt_f16_f32_e32 v22, v25
	v_lshlrev_b64 v[26:27], 1, v[26:27]
	s_waitcnt lgkmcnt(0)
	v_mov_b32_e32 v20, s13
	v_add_co_u32_e64 v24, s[6:7], s12, v26
	v_addc_co_u32_e64 v25, s[6:7], v20, v27, s[6:7]
	global_store_short v[24:25], v22, off
	s_or_b64 exec, exec, s[14:15]
	s_and_saveexec_b64 s[14:15], s[0:1]
	s_cbranch_execz .LBB145_33
.LBB145_68:
	v_add_u32_e32 v24, v18, v1
	v_mov_b32_e32 v25, 0
	v_cvt_f16_f32_e32 v26, v23
	v_lshlrev_b64 v[24:25], 1, v[24:25]
	s_waitcnt lgkmcnt(0)
	v_mov_b32_e32 v20, s13
	v_add_co_u32_e64 v22, s[6:7], s12, v24
	v_addc_co_u32_e64 v23, s[6:7], v20, v25, s[6:7]
	global_store_short v[22:23], v26, off
	s_or_b64 exec, exec, s[14:15]
	s_and_saveexec_b64 s[14:15], s[2:3]
	s_cbranch_execz .LBB145_34
.LBB145_69:
	v_add_u32_e32 v22, v18, v30
	v_mov_b32_e32 v23, 0
	v_cvt_f16_f32_e32 v25, v21
	v_lshlrev_b64 v[22:23], 1, v[22:23]
	s_waitcnt lgkmcnt(0)
	v_mov_b32_e32 v24, s13
	v_add_co_u32_e64 v20, s[6:7], s12, v22
	v_addc_co_u32_e64 v21, s[6:7], v24, v23, s[6:7]
	global_store_short v[20:21], v25, off
	s_or_b64 exec, exec, s[14:15]
	s_and_saveexec_b64 s[14:15], s[4:5]
	s_cbranch_execnz .LBB145_35
	s_branch .LBB145_36
.LBB145_70:
	v_add_u32_e32 v20, v18, v0
	v_mov_b32_e32 v21, 0
	v_cvt_f16_f32_e32 v16, v16
	v_lshlrev_b64 v[20:21], 1, v[20:21]
	s_waitcnt lgkmcnt(0)
	v_mov_b32_e32 v19, s13
	v_add_co_u32_e64 v20, s[6:7], s12, v20
	v_addc_co_u32_e64 v21, s[6:7], v19, v21, s[6:7]
	global_store_short v[20:21], v16, off
	s_or_b64 exec, exec, s[14:15]
	s_and_saveexec_b64 s[14:15], s[0:1]
	s_cbranch_execz .LBB145_39
.LBB145_71:
	v_add_u32_e32 v20, v18, v1
	v_mov_b32_e32 v21, 0
	v_cvt_f16_f32_e32 v14, v14
	v_lshlrev_b64 v[20:21], 1, v[20:21]
	s_waitcnt lgkmcnt(0)
	v_mov_b32_e32 v16, s13
	v_add_co_u32_e64 v20, s[6:7], s12, v20
	v_addc_co_u32_e64 v21, s[6:7], v16, v21, s[6:7]
	global_store_short v[20:21], v14, off
	s_or_b64 exec, exec, s[14:15]
	s_and_saveexec_b64 s[14:15], s[2:3]
	s_cbranch_execz .LBB145_40
.LBB145_72:
	v_add_u32_e32 v20, v18, v30
	v_mov_b32_e32 v21, 0
	v_cvt_f16_f32_e32 v12, v12
	v_lshlrev_b64 v[20:21], 1, v[20:21]
	s_waitcnt lgkmcnt(0)
	v_mov_b32_e32 v14, s13
	v_add_co_u32_e64 v20, s[6:7], s12, v20
	v_addc_co_u32_e64 v21, s[6:7], v14, v21, s[6:7]
	global_store_short v[20:21], v12, off
	s_or_b64 exec, exec, s[14:15]
	s_and_saveexec_b64 s[14:15], s[4:5]
	s_cbranch_execnz .LBB145_41
	s_branch .LBB145_42
.LBB145_73:
	v_add_u32_e32 v18, v10, v0
	v_mov_b32_e32 v19, 0
	v_cvt_f16_f32_e32 v14, v17
	v_lshlrev_b64 v[18:19], 1, v[18:19]
	s_waitcnt lgkmcnt(0)
	v_mov_b32_e32 v12, s13
	v_add_co_u32_e64 v16, s[6:7], s12, v18
	v_addc_co_u32_e64 v17, s[6:7], v12, v19, s[6:7]
	global_store_short v[16:17], v14, off
	s_or_b64 exec, exec, s[14:15]
	s_and_saveexec_b64 s[14:15], s[0:1]
	s_cbranch_execz .LBB145_45
.LBB145_74:
	v_add_u32_e32 v16, v10, v1
	v_mov_b32_e32 v17, 0
	v_cvt_f16_f32_e32 v18, v15
	v_lshlrev_b64 v[16:17], 1, v[16:17]
	s_waitcnt lgkmcnt(0)
	v_mov_b32_e32 v12, s13
	v_add_co_u32_e64 v14, s[6:7], s12, v16
	v_addc_co_u32_e64 v15, s[6:7], v12, v17, s[6:7]
	global_store_short v[14:15], v18, off
	s_or_b64 exec, exec, s[14:15]
	s_and_saveexec_b64 s[14:15], s[2:3]
	s_cbranch_execz .LBB145_46
.LBB145_75:
	v_add_u32_e32 v14, v10, v30
	v_mov_b32_e32 v15, 0
	v_cvt_f16_f32_e32 v17, v13
	v_lshlrev_b64 v[14:15], 1, v[14:15]
	s_waitcnt lgkmcnt(0)
	v_mov_b32_e32 v16, s13
	v_add_co_u32_e64 v12, s[6:7], s12, v14
	v_addc_co_u32_e64 v13, s[6:7], v16, v15, s[6:7]
	global_store_short v[12:13], v17, off
	s_or_b64 exec, exec, s[14:15]
	s_and_saveexec_b64 s[14:15], s[4:5]
	s_cbranch_execnz .LBB145_47
	s_branch .LBB145_48
.LBB145_76:
	v_add_u32_e32 v12, v10, v0
	v_mov_b32_e32 v13, 0
	v_cvt_f16_f32_e32 v8, v8
	v_lshlrev_b64 v[12:13], 1, v[12:13]
	s_waitcnt lgkmcnt(0)
	v_mov_b32_e32 v11, s13
	v_add_co_u32_e64 v12, s[6:7], s12, v12
	v_addc_co_u32_e64 v13, s[6:7], v11, v13, s[6:7]
	global_store_short v[12:13], v8, off
	s_or_b64 exec, exec, s[14:15]
	s_and_saveexec_b64 s[14:15], s[0:1]
	s_cbranch_execz .LBB145_51
.LBB145_77:
	v_add_u32_e32 v12, v10, v1
	v_mov_b32_e32 v13, 0
	v_cvt_f16_f32_e32 v6, v6
	v_lshlrev_b64 v[12:13], 1, v[12:13]
	s_waitcnt lgkmcnt(0)
	v_mov_b32_e32 v8, s13
	v_add_co_u32_e64 v12, s[6:7], s12, v12
	v_addc_co_u32_e64 v13, s[6:7], v8, v13, s[6:7]
	global_store_short v[12:13], v6, off
	s_or_b64 exec, exec, s[14:15]
	s_and_saveexec_b64 s[14:15], s[2:3]
	s_cbranch_execz .LBB145_52
.LBB145_78:
	v_add_u32_e32 v12, v10, v30
	v_mov_b32_e32 v13, 0
	v_cvt_f16_f32_e32 v4, v4
	v_lshlrev_b64 v[12:13], 1, v[12:13]
	s_waitcnt lgkmcnt(0)
	v_mov_b32_e32 v6, s13
	v_add_co_u32_e64 v12, s[6:7], s12, v12
	v_addc_co_u32_e64 v13, s[6:7], v6, v13, s[6:7]
	global_store_short v[12:13], v4, off
	s_or_b64 exec, exec, s[14:15]
	s_and_saveexec_b64 s[14:15], s[4:5]
	s_cbranch_execnz .LBB145_53
	s_branch .LBB145_54
.LBB145_79:
	v_add_u32_e32 v10, v2, v0
	v_mov_b32_e32 v11, 0
	v_cvt_f16_f32_e32 v4, v9
	v_lshlrev_b64 v[10:11], 1, v[10:11]
	s_waitcnt lgkmcnt(0)
	v_mov_b32_e32 v0, s13
	v_add_co_u32_e32 v8, vcc, s12, v10
	v_addc_co_u32_e32 v9, vcc, v0, v11, vcc
	global_store_short v[8:9], v4, off
	s_or_b64 exec, exec, s[6:7]
	s_and_saveexec_b64 s[6:7], s[0:1]
	s_cbranch_execz .LBB145_57
.LBB145_80:
	v_add_u32_e32 v0, v2, v1
	v_mov_b32_e32 v1, 0
	v_cvt_f16_f32_e32 v6, v7
	v_lshlrev_b64 v[0:1], 1, v[0:1]
	s_waitcnt lgkmcnt(0)
	v_mov_b32_e32 v4, s13
	v_add_co_u32_e32 v0, vcc, s12, v0
	v_addc_co_u32_e32 v1, vcc, v4, v1, vcc
	global_store_short v[0:1], v6, off
	s_or_b64 exec, exec, s[6:7]
	s_and_saveexec_b64 s[0:1], s[2:3]
	s_cbranch_execz .LBB145_58
.LBB145_81:
	v_add_u32_e32 v0, v2, v30
	v_mov_b32_e32 v1, 0
	v_cvt_f16_f32_e32 v5, v5
	v_lshlrev_b64 v[0:1], 1, v[0:1]
	s_waitcnt lgkmcnt(0)
	v_mov_b32_e32 v4, s13
	v_add_co_u32_e32 v0, vcc, s12, v0
	v_addc_co_u32_e32 v1, vcc, v4, v1, vcc
	global_store_short v[0:1], v5, off
	s_or_b64 exec, exec, s[0:1]
	s_and_b64 exec, exec, s[4:5]
	s_cbranch_execnz .LBB145_59
	s_branch .LBB145_60
	.section	.rodata,"a",@progbits
	.p2align	6, 0x0
	.amdhsa_kernel _ZL12mul_mat_q8_0IN3c104HalfELb0EEvPKvS3_PT_iiiii
		.amdhsa_group_segment_fixed_size 28224
		.amdhsa_private_segment_fixed_size 0
		.amdhsa_kernarg_size 44
		.amdhsa_user_sgpr_count 6
		.amdhsa_user_sgpr_private_segment_buffer 1
		.amdhsa_user_sgpr_dispatch_ptr 0
		.amdhsa_user_sgpr_queue_ptr 0
		.amdhsa_user_sgpr_kernarg_segment_ptr 1
		.amdhsa_user_sgpr_dispatch_id 0
		.amdhsa_user_sgpr_flat_scratch_init 0
		.amdhsa_user_sgpr_kernarg_preload_length 0
		.amdhsa_user_sgpr_kernarg_preload_offset 0
		.amdhsa_user_sgpr_private_segment_size 0
		.amdhsa_uses_dynamic_stack 0
		.amdhsa_system_sgpr_private_segment_wavefront_offset 0
		.amdhsa_system_sgpr_workgroup_id_x 1
		.amdhsa_system_sgpr_workgroup_id_y 1
		.amdhsa_system_sgpr_workgroup_id_z 0
		.amdhsa_system_sgpr_workgroup_info 0
		.amdhsa_system_vgpr_workitem_id 1
		.amdhsa_next_free_vgpr 161
		.amdhsa_next_free_sgpr 18
		.amdhsa_accum_offset 164
		.amdhsa_reserve_vcc 1
		.amdhsa_reserve_flat_scratch 0
		.amdhsa_float_round_mode_32 0
		.amdhsa_float_round_mode_16_64 0
		.amdhsa_float_denorm_mode_32 3
		.amdhsa_float_denorm_mode_16_64 3
		.amdhsa_dx10_clamp 1
		.amdhsa_ieee_mode 1
		.amdhsa_fp16_overflow 0
		.amdhsa_tg_split 0
		.amdhsa_exception_fp_ieee_invalid_op 0
		.amdhsa_exception_fp_denorm_src 0
		.amdhsa_exception_fp_ieee_div_zero 0
		.amdhsa_exception_fp_ieee_overflow 0
		.amdhsa_exception_fp_ieee_underflow 0
		.amdhsa_exception_fp_ieee_inexact 0
		.amdhsa_exception_int_div_zero 0
	.end_amdhsa_kernel
	.section	.text._ZL12mul_mat_q8_0IN3c104HalfELb0EEvPKvS3_PT_iiiii,"axG",@progbits,_ZL12mul_mat_q8_0IN3c104HalfELb0EEvPKvS3_PT_iiiii,comdat
.Lfunc_end145:
	.size	_ZL12mul_mat_q8_0IN3c104HalfELb0EEvPKvS3_PT_iiiii, .Lfunc_end145-_ZL12mul_mat_q8_0IN3c104HalfELb0EEvPKvS3_PT_iiiii
                                        ; -- End function
	.section	.AMDGPU.csdata,"",@progbits
; Kernel info:
; codeLenInByte = 6876
; NumSgprs: 22
; NumVgprs: 161
; NumAgprs: 0
; TotalNumVgprs: 161
; ScratchSize: 0
; MemoryBound: 0
; FloatMode: 240
; IeeeMode: 1
; LDSByteSize: 28224 bytes/workgroup (compile time only)
; SGPRBlocks: 2
; VGPRBlocks: 20
; NumSGPRsForWavesPerEU: 22
; NumVGPRsForWavesPerEU: 161
; AccumOffset: 164
; Occupancy: 2
; WaveLimiterHint : 0
; COMPUTE_PGM_RSRC2:SCRATCH_EN: 0
; COMPUTE_PGM_RSRC2:USER_SGPR: 6
; COMPUTE_PGM_RSRC2:TRAP_HANDLER: 0
; COMPUTE_PGM_RSRC2:TGID_X_EN: 1
; COMPUTE_PGM_RSRC2:TGID_Y_EN: 1
; COMPUTE_PGM_RSRC2:TGID_Z_EN: 0
; COMPUTE_PGM_RSRC2:TIDIG_COMP_CNT: 1
; COMPUTE_PGM_RSRC3_GFX90A:ACCUM_OFFSET: 40
; COMPUTE_PGM_RSRC3_GFX90A:TG_SPLIT: 0
	.section	.text._ZL12mul_mat_q8_0IN3c104HalfELb1EEvPKvS3_PT_iiiii,"axG",@progbits,_ZL12mul_mat_q8_0IN3c104HalfELb1EEvPKvS3_PT_iiiii,comdat
	.globl	_ZL12mul_mat_q8_0IN3c104HalfELb1EEvPKvS3_PT_iiiii ; -- Begin function _ZL12mul_mat_q8_0IN3c104HalfELb1EEvPKvS3_PT_iiiii
	.p2align	8
	.type	_ZL12mul_mat_q8_0IN3c104HalfELb1EEvPKvS3_PT_iiiii,@function
_ZL12mul_mat_q8_0IN3c104HalfELb1EEvPKvS3_PT_iiiii: ; @_ZL12mul_mat_q8_0IN3c104HalfELb1EEvPKvS3_PT_iiiii
; %bb.0:
	s_load_dwordx4 s[8:11], s[4:5], 0x18
	s_load_dword s14, s[4:5], 0x28
	s_lshl_b32 s15, s7, 6
	v_bfe_u32 v35, v0, 10, 10
	s_waitcnt lgkmcnt(0)
	s_cmp_gt_i32 s8, 31
	s_cbranch_scc1 .LBB146_2
; %bb.1:
	v_bfe_u32 v34, v0, 10, 10
	v_and_b32_e32 v1, 0x3ff, v0
	v_add_u32_e32 v37, s15, v34
	s_mov_b64 s[0:1], 0
	s_mov_b32 s2, 0
	s_branch .LBB146_3
.LBB146_2:
	s_mov_b64 s[0:1], -1
                                        ; implicit-def: $sgpr2
                                        ; implicit-def: $vgpr34
                                        ; implicit-def: $vgpr1
                                        ; implicit-def: $vgpr37
.LBB146_3:
	s_load_dwordx2 s[12:13], s[4:5], 0x10
	s_lshl_b32 s6, s6, 7
	s_andn2_b64 vcc, exec, s[0:1]
	v_mov_b32_e32 v3, s2
	v_mov_b32_e32 v2, s2
	;; [unrolled: 1-line block ×32, first 2 shown]
	s_cbranch_vccnz .LBB146_9
; %bb.4:
	s_load_dwordx4 s[0:3], s[4:5], 0x0
	s_ashr_i32 s4, s8, 31
	s_lshr_b32 s4, s4, 27
	s_ashr_i32 s5, s11, 31
	s_add_i32 s4, s8, s4
	s_lshr_b32 s5, s5, 27
	s_ashr_i32 s4, s4, 5
	s_add_i32 s5, s11, s5
	s_ashr_i32 s8, s5, 5
	s_mul_i32 s5, s4, s6
	s_mul_hi_i32 s7, s5, 34
	s_mul_i32 s5, s5, 34
	s_waitcnt lgkmcnt(0)
	s_add_u32 s5, s0, s5
	s_addc_u32 s7, s1, s7
	s_not_b32 s0, s6
	s_add_i32 s1, s0, s9
	v_and_b32_e32 v1, 0x3ff, v0
	v_lshlrev_b32_e32 v2, 2, v1
	v_min_i32_e32 v3, s1, v35
	s_movk_i32 s9, 0x84
	v_add_u32_e32 v6, 8, v35
	v_mul_lo_u32 v36, v3, s4
	v_mad_u64_u32 v[38:39], s[16:17], v3, s9, v[2:3]
	v_min_i32_e32 v3, s1, v6
	v_add_u32_e32 v7, 16, v35
	v_mul_lo_u32 v40, v3, s4
	v_mad_u64_u32 v[42:43], s[16:17], v3, s9, v[2:3]
	v_min_i32_e32 v3, s1, v7
	;; [unrolled: 4-line block ×7, first 2 shown]
	v_mul_lo_u32 v64, v3, s4
	v_mad_u64_u32 v[66:67], s[16:17], v3, s9, v[2:3]
	v_add_u32_e32 v3, 64, v35
	v_min_i32_e32 v3, s1, v3
	v_mul_lo_u32 v68, v3, s4
	v_mad_u64_u32 v[70:71], s[16:17], v3, s9, v[2:3]
	v_add_u32_e32 v3, 0x48, v35
	v_min_i32_e32 v3, s1, v3
	;; [unrolled: 4-line block ×8, first 2 shown]
	v_and_b32_e32 v34, 28, v2
	v_mad_u64_u32 v[98:99], s[16:17], v3, s9, v[2:3]
	v_lshrrev_b32_e32 v2, 2, v1
	v_lshl_add_u32 v4, v35, 3, v2
	v_min_i32_e32 v2, s1, v4
	v_mul_lo_u32 v96, v3, s4
	v_ashrrev_i32_e32 v3, 31, v2
	v_lshrrev_b32_e32 v3, 29, v3
	v_add_u32_e32 v3, v2, v3
	v_and_b32_e32 v100, 3, v1
	v_mul_lo_u32 v102, v2, s4
	v_ashrrev_i32_e32 v3, 3, v3
	v_lshlrev_b32_e32 v14, 4, v2
	v_add_u32_e32 v2, 64, v4
	v_lshlrev_b32_e32 v3, 2, v3
	v_lshlrev_b32_e32 v5, 2, v100
	s_movk_i32 s9, 0x6200
	v_min_i32_e32 v2, s1, v2
	v_add3_u32 v13, v3, v5, s9
	v_ashrrev_i32_e32 v3, 31, v2
	v_lshrrev_b32_e32 v3, 29, v3
	v_add_u32_e32 v3, v2, v3
	v_ashrrev_i32_e32 v3, 3, v3
	v_mov_b32_e32 v18, s3
	v_add_co_u32_e32 v106, vcc, s2, v34
	v_and_b32_e32 v4, 63, v4
	v_lshlrev_b32_e32 v3, 2, v3
	v_add_u32_e32 v37, s15, v35
	s_add_i32 s1, s10, -1
	v_addc_co_u32_e32 v107, vcc, 0, v18, vcc
	v_or_b32_e32 v18, s15, v4
	v_lshl_or_b32 v4, v4, 4, v5
	v_mul_lo_u32 v104, v2, s4
	v_add3_u32 v15, v3, v5, s9
	v_lshlrev_b32_e32 v16, 4, v2
	v_cvt_f64_i32_e32 v[2:3], s1
	v_add_u32_e32 v39, 0x6a40, v4
	v_cvt_f64_u32_e32 v[4:5], v37
	v_and_b32_e32 v17, 31, v1
	v_min_i32_e32 v18, s1, v18
	v_min_f64 v[4:5], v[4:5], v[2:3]
	v_mad_u64_u32 v[108:109], s[16:17], v18, s8, v[100:101]
	v_cvt_i32_f64_e32 v4, v[4:5]
	v_lshlrev_b32_e32 v17, 2, v17
	v_lshlrev_b32_e32 v18, 7, v35
	v_mul_lo_u32 v41, s8, v4
	v_or_b32_e32 v4, v18, v17
	v_add_u32_e32 v43, 0x4200, v4
	v_add_u32_e32 v4, 8, v37
	v_cvt_f64_u32_e32 v[4:5], v4
	v_min_f64 v[4:5], v[4:5], v[2:3]
	v_cvt_i32_f64_e32 v4, v[4:5]
	v_mul_lo_u32 v45, s8, v4
	v_lshl_or_b32 v4, v6, 7, v17
	v_add_u32_e32 v47, 0x4200, v4
	v_add_u32_e32 v4, 16, v37
	v_cvt_f64_u32_e32 v[4:5], v4
	v_min_f64 v[4:5], v[4:5], v[2:3]
	v_cvt_i32_f64_e32 v4, v[4:5]
	v_mul_lo_u32 v49, s8, v4
	v_lshl_or_b32 v4, v7, 7, v17
	;; [unrolled: 7-line block ×6, first 2 shown]
	v_add_u32_e32 v67, 0x4200, v4
	v_add_u32_e32 v4, 56, v37
	v_cvt_f64_u32_e32 v[4:5], v4
	v_min_f64 v[2:3], v[4:5], v[2:3]
	v_cvt_i32_f64_e32 v2, v[2:3]
	v_add_u32_e32 v4, 0x60, v1
	v_mul_lo_u32 v69, s8, v2
	v_lshl_or_b32 v2, v12, 7, v17
	v_add_u32_e32 v3, 64, v1
	v_lshrrev_b32_e32 v4, 1, v4
	v_add_u32_e32 v71, 0x4200, v2
	v_add_u32_e32 v2, 32, v1
	v_lshlrev_b32_e32 v5, 4, v1
	v_and_b32_e32 v4, 0xfc, v4
	s_movk_i32 s1, 0x6800
	v_lshrrev_b32_e32 v3, 1, v3
	v_add3_u32 v77, v5, v4, s1
	v_and_b32_e32 v3, 0xfc, v3
	s_movk_i32 s1, 0x6600
	v_lshrrev_b32_e32 v2, 1, v2
	v_lshrrev_b32_e32 v0, 3, v1
	v_add3_u32 v79, v5, v3, s1
	v_and_b32_e32 v2, 0xfc, v2
	s_movk_i32 s1, 0x6400
	s_mov_b32 s0, 0
	v_add3_u32 v81, v5, v2, s1
	v_lshlrev_b32_e32 v2, 2, v0
	v_add3_u32 v83, v5, v2, s9
	v_mov_b32_e32 v2, 0x6a40
	s_mov_b32 s1, s0
	v_mul_u32_u24_e32 v73, 0x84, v1
	v_add_u32_e32 v75, 0x4200, v18
	v_lshl_add_u32 v85, v35, 4, v2
	v_pk_mov_b32 v[32:33], s[0:1], s[0:1] op_sel:[0,1]
	v_add_u32_e32 v87, v13, v14
	v_add_u32_e32 v89, v15, v16
	v_pk_mov_b32 v[24:25], s[0:1], s[0:1] op_sel:[0,1]
	v_pk_mov_b32 v[16:17], s[0:1], s[0:1] op_sel:[0,1]
	;; [unrolled: 1-line block ×15, first 2 shown]
.LBB146_5:                              ; =>This Loop Header: Depth=1
                                        ;     Child Loop BB146_6 Depth 2
	s_mul_i32 s8, s0, 34
	s_mul_hi_u32 s1, s0, 34
	s_add_u32 s8, s5, s8
	s_addc_u32 s9, s7, s1
	v_mad_u64_u32 v[110:111], s[16:17], v0, 34, s[8:9]
	v_add_co_u32_e32 v91, vcc, v110, v34
	v_addc_co_u32_e32 v93, vcc, 0, v111, vcc
	v_add_co_u32_e32 v110, vcc, 2, v91
	v_addc_co_u32_e32 v111, vcc, 0, v93, vcc
	v_mad_i64_i32 v[112:113], s[16:17], v36, 34, v[110:111]
	v_mad_i64_i32 v[114:115], s[16:17], v40, 34, v[110:111]
	;; [unrolled: 1-line block ×8, first 2 shown]
	global_load_dword v91, v[112:113], off
	global_load_dword v93, v[114:115], off
	;; [unrolled: 1-line block ×8, first 2 shown]
	v_mad_i64_i32 v[112:113], s[16:17], v68, 34, v[110:111]
	v_mad_i64_i32 v[114:115], s[16:17], v72, 34, v[110:111]
	;; [unrolled: 1-line block ×8, first 2 shown]
	global_load_dword v109, v[112:113], off
	global_load_dword v128, v[114:115], off
	;; [unrolled: 1-line block ×3, first 2 shown]
                                        ; kill: killed $vgpr116_vgpr117
                                        ; kill: killed $vgpr114_vgpr115
                                        ; kill: killed $vgpr112_vgpr113
	global_load_dword v130, v[118:119], off
	global_load_dword v131, v[120:121], off
	;; [unrolled: 1-line block ×5, first 2 shown]
	v_mad_u64_u32 v[110:111], s[8:9], v100, 34, s[8:9]
	v_mad_i64_i32 v[112:113], s[8:9], v102, 34, v[110:111]
	v_mad_i64_i32 v[110:111], s[8:9], v104, 34, v[110:111]
	v_add_u32_e32 v124, s0, v0
	global_load_ushort v135, v[112:113], off
	global_load_ushort v136, v[110:111], off
	v_add_u32_e32 v110, v124, v41
	v_add_u32_e32 v112, v124, v45
	;; [unrolled: 1-line block ×5, first 2 shown]
	v_mad_i64_i32 v[110:111], s[8:9], v110, 36, v[106:107]
	v_mad_i64_i32 v[112:113], s[8:9], v112, 36, v[106:107]
	;; [unrolled: 1-line block ×5, first 2 shown]
	v_add_u32_e32 v120, v124, v61
	v_add_u32_e32 v122, v124, v65
	;; [unrolled: 1-line block ×4, first 2 shown]
	v_mad_i64_i32 v[120:121], s[8:9], v120, 36, v[106:107]
	v_mad_i64_i32 v[122:123], s[8:9], v122, 36, v[106:107]
	;; [unrolled: 1-line block ×3, first 2 shown]
	v_mad_u64_u32 v[126:127], s[8:9], v126, 36, s[2:3]
	global_load_dword v110, v[110:111], off offset:4
	s_nop 0
	global_load_dword v111, v[112:113], off offset:4
	s_nop 0
	global_load_dword v112, v[114:115], off offset:4
	global_load_dword v113, v[116:117], off offset:4
	s_nop 0
	global_load_dword v114, v[118:119], off offset:4
	global_load_dword v115, v[126:127], off
	global_load_dword v116, v[120:121], off offset:4
	global_load_dword v117, v[122:123], off offset:4
	s_nop 0
	global_load_dword v118, v[124:125], off offset:4
	s_mov_b32 s1, -8
	s_waitcnt vmcnt(26)
	ds_write_b32 v38, v91
	s_waitcnt vmcnt(25)
	ds_write_b32 v42, v93
	;; [unrolled: 2-line block ×14, first 2 shown]
	v_mov_b32_e32 v95, v81
	v_mov_b32_e32 v97, v79
	;; [unrolled: 1-line block ×5, first 2 shown]
	s_waitcnt vmcnt(10)
	v_cvt_f32_f16_e32 v91, v135
	s_waitcnt vmcnt(9)
	v_cvt_f32_f16_e32 v93, v136
	ds_write_b32 v94, v133
	ds_write_b32 v98, v134
	;; [unrolled: 1-line block ×4, first 2 shown]
	s_waitcnt vmcnt(8)
	ds_write_b32 v43, v110
	s_waitcnt vmcnt(7)
	ds_write_b32 v47, v111
	;; [unrolled: 2-line block ×5, first 2 shown]
	s_waitcnt vmcnt(3)
	v_cvt_f32_f16_e32 v91, v115
	s_waitcnt vmcnt(2)
	ds_write_b32 v63, v116
	s_waitcnt vmcnt(1)
	ds_write_b32 v67, v117
	;; [unrolled: 2-line block ×3, first 2 shown]
	ds_write_b32 v39, v91
	v_mov_b32_e32 v91, v85
	v_mov_b32_e32 v93, v83
	s_waitcnt lgkmcnt(0)
	s_barrier
.LBB146_6:                              ;   Parent Loop BB146_5 Depth=1
                                        ; =>  This Inner Loop Header: Depth=2
	v_add_u32_e32 v111, 0x1088, v103
	ds_read2_b32 v[150:151], v91 offset1:32
	ds_read_b128 v[152:155], v101
	ds_read_b128 v[156:159], v101 offset:16
	ds_read_b32 v114, v93
	ds_read2_b32 v[122:123], v103 offset1:1
	ds_read2_b32 v[130:131], v103 offset0:2 offset1:3
	ds_read2_b32 v[136:137], v103 offset0:4 offset1:5
	;; [unrolled: 1-line block ×3, first 2 shown]
	v_add_u32_e32 v109, 0x1080, v103
	ds_read_b32 v110, v95
	ds_read2_b32 v[116:117], v109 offset1:1
	ds_read2_b32 v[124:125], v111 offset1:1
	v_add_u32_e32 v111, 0x1090, v103
	ds_read2_b32 v[132:133], v111 offset1:1
	v_add_u32_e32 v111, 0x1098, v103
	v_add_u32_e32 v113, 0x2108, v103
	ds_read2_b32 v[142:143], v111 offset1:1
	v_add_u32_e32 v111, 0x2100, v103
	ds_read_b32 v112, v97
	ds_read2_b32 v[120:121], v111 offset1:1
	ds_read2_b32 v[128:129], v113 offset1:1
	v_add_u32_e32 v113, 0x2110, v103
	ds_read2_b32 v[138:139], v113 offset1:1
	v_add_u32_e32 v113, 0x2118, v103
	;; [unrolled: 2-line block ×3, first 2 shown]
	ds_read_b32 v118, v99
	ds_read2_b32 v[126:127], v113 offset1:1
	v_add_u32_e32 v115, 0x3188, v103
	ds_read2_b32 v[134:135], v115 offset1:1
	v_add_u32_e32 v115, 0x3190, v103
	v_mov_b32_e32 v105, 0
	v_mov_b32_e32 v109, 0
	;; [unrolled: 1-line block ×4, first 2 shown]
	ds_read2_b32 v[144:145], v115 offset1:1
	s_waitcnt lgkmcnt(14)
	v_dot4c_i32_i8_e32 v105, v122, v152
	s_waitcnt lgkmcnt(12)
	v_dot4c_i32_i8_e32 v109, v116, v152
	;; [unrolled: 2-line block ×4, first 2 shown]
	v_add_u32_e32 v115, 0x3198, v103
	v_dot4c_i32_i8_e32 v105, v123, v153
	v_dot4c_i32_i8_e32 v109, v117, v153
	;; [unrolled: 1-line block ×4, first 2 shown]
	ds_read2_b32 v[148:149], v115 offset1:1
	v_dot4c_i32_i8_e32 v105, v130, v154
	v_dot4c_i32_i8_e32 v109, v124, v154
	v_dot4c_i32_i8_e32 v111, v128, v154
	s_waitcnt lgkmcnt(2)
	v_dot4c_i32_i8_e32 v113, v134, v154
	v_dot4c_i32_i8_e32 v105, v131, v155
	v_dot4c_i32_i8_e32 v109, v125, v155
	v_dot4c_i32_i8_e32 v111, v129, v155
	v_dot4c_i32_i8_e32 v113, v135, v155
	v_dot4c_i32_i8_e32 v105, v136, v156
	v_dot4c_i32_i8_e32 v109, v132, v156
	v_dot4c_i32_i8_e32 v111, v138, v156
	s_waitcnt lgkmcnt(1)
	v_dot4c_i32_i8_e32 v113, v144, v156
	v_dot4c_i32_i8_e32 v105, v137, v157
	v_dot4c_i32_i8_e32 v109, v133, v157
	v_dot4c_i32_i8_e32 v111, v139, v157
	v_dot4c_i32_i8_e32 v113, v145, v157
	;; [unrolled: 9-line block ×3, first 2 shown]
	ds_read_b128 v[152:155], v101 offset:1024
	ds_read_b128 v[156:159], v101 offset:1040
	v_mov_b32_e32 v115, 0
	v_cvt_f32_i32_e32 v162, v105
	v_mov_b32_e32 v105, 0
	s_waitcnt lgkmcnt(1)
	v_dot4c_i32_i8_e32 v115, v122, v152
	v_dot4c_i32_i8_e32 v115, v123, v153
	v_dot4c_i32_i8_e32 v115, v130, v154
	v_dot4c_i32_i8_e32 v115, v131, v155
	s_waitcnt lgkmcnt(0)
	v_dot4c_i32_i8_e32 v115, v136, v156
	v_dot4c_i32_i8_e32 v105, v116, v152
	;; [unrolled: 1-line block ×10, first 2 shown]
	v_cvt_f32_i32_e32 v163, v115
	v_dot4c_i32_i8_e32 v105, v142, v158
	v_pk_mul_f32 v[160:161], v[114:115], v[150:151] op_sel_hi:[0,1]
	v_dot4c_i32_i8_e32 v105, v143, v159
	v_pk_fma_f32 v[32:33], v[160:161], v[162:163], v[32:33]
	v_cvt_f32_i32_e32 v162, v109
	v_pk_mul_f32 v[160:161], v[110:111], v[150:151] op_sel_hi:[0,1]
	v_cvt_f32_i32_e32 v163, v105
	v_mov_b32_e32 v105, 0
	v_dot4c_i32_i8_e32 v105, v120, v152
	v_dot4c_i32_i8_e32 v105, v121, v153
	;; [unrolled: 1-line block ×8, first 2 shown]
	v_pk_fma_f32 v[30:31], v[160:161], v[162:163], v[30:31]
	v_pk_mul_f32 v[160:161], v[112:113], v[150:151] op_sel_hi:[0,1]
	v_pk_mul_f32 v[150:151], v[118:119], v[150:151] op_sel_hi:[0,1]
	v_cvt_f32_i32_e32 v163, v105
	v_mov_b32_e32 v105, 0
	v_dot4c_i32_i8_e32 v105, v126, v152
	v_dot4c_i32_i8_e32 v105, v127, v153
	;; [unrolled: 1-line block ×8, first 2 shown]
	v_cvt_f32_i32_e32 v152, v113
	v_cvt_f32_i32_e32 v162, v111
	v_mov_b32_e32 v109, 0
	v_cvt_f32_i32_e32 v153, v105
	v_mov_b32_e32 v105, 0
	v_mov_b32_e32 v111, 0
	;; [unrolled: 1-line block ×3, first 2 shown]
	v_pk_fma_f32 v[26:27], v[150:151], v[152:153], v[26:27]
	ds_read2_b32 v[150:151], v91 offset0:64 offset1:96
	ds_read_b128 v[152:155], v101 offset:2048
	ds_read_b128 v[156:159], v101 offset:2064
	v_mov_b32_e32 v115, 0
	v_pk_fma_f32 v[28:29], v[160:161], v[162:163], v[28:29]
	s_add_i32 s1, s1, 8
	s_waitcnt lgkmcnt(1)
	v_dot4c_i32_i8_e32 v105, v122, v152
	v_dot4c_i32_i8_e32 v109, v116, v152
	;; [unrolled: 1-line block ×16, first 2 shown]
	s_waitcnt lgkmcnt(0)
	v_dot4c_i32_i8_e32 v105, v136, v156
	v_dot4c_i32_i8_e32 v109, v132, v156
	;; [unrolled: 1-line block ×16, first 2 shown]
	ds_read_b128 v[152:155], v101 offset:3072
	ds_read_b128 v[156:159], v101 offset:3088
	v_cvt_f32_i32_e32 v162, v105
	v_mov_b32_e32 v105, 0
	v_add_u32_e32 v103, 32, v103
	s_waitcnt lgkmcnt(1)
	v_dot4c_i32_i8_e32 v115, v122, v152
	v_dot4c_i32_i8_e32 v115, v123, v153
	;; [unrolled: 1-line block ×4, first 2 shown]
	s_waitcnt lgkmcnt(0)
	v_dot4c_i32_i8_e32 v115, v136, v156
	v_dot4c_i32_i8_e32 v105, v116, v152
	v_dot4c_i32_i8_e32 v115, v137, v157
	v_dot4c_i32_i8_e32 v105, v117, v153
	v_dot4c_i32_i8_e32 v115, v140, v158
	v_dot4c_i32_i8_e32 v105, v124, v154
	v_dot4c_i32_i8_e32 v115, v141, v159
	v_dot4c_i32_i8_e32 v105, v125, v155
	v_dot4c_i32_i8_e32 v105, v132, v156
	v_dot4c_i32_i8_e32 v105, v133, v157
	v_cvt_f32_i32_e32 v163, v115
	v_dot4c_i32_i8_e32 v105, v142, v158
	v_pk_mul_f32 v[160:161], v[114:115], v[150:151] op_sel_hi:[0,1]
	v_dot4c_i32_i8_e32 v105, v143, v159
	v_pk_fma_f32 v[24:25], v[160:161], v[162:163], v[24:25]
	v_cvt_f32_i32_e32 v162, v109
	v_pk_mul_f32 v[160:161], v[110:111], v[150:151] op_sel_hi:[0,1]
	v_cvt_f32_i32_e32 v163, v105
	v_mov_b32_e32 v105, 0
	v_dot4c_i32_i8_e32 v105, v120, v152
	v_dot4c_i32_i8_e32 v105, v121, v153
	;; [unrolled: 1-line block ×8, first 2 shown]
	v_pk_fma_f32 v[22:23], v[160:161], v[162:163], v[22:23]
	v_pk_mul_f32 v[160:161], v[112:113], v[150:151] op_sel_hi:[0,1]
	v_pk_mul_f32 v[150:151], v[118:119], v[150:151] op_sel_hi:[0,1]
	v_cvt_f32_i32_e32 v163, v105
	v_mov_b32_e32 v105, 0
	v_dot4c_i32_i8_e32 v105, v126, v152
	v_dot4c_i32_i8_e32 v105, v127, v153
	;; [unrolled: 1-line block ×8, first 2 shown]
	v_cvt_f32_i32_e32 v152, v113
	v_cvt_f32_i32_e32 v162, v111
	v_mov_b32_e32 v109, 0
	v_cvt_f32_i32_e32 v153, v105
	v_mov_b32_e32 v105, 0
	v_mov_b32_e32 v111, 0
	;; [unrolled: 1-line block ×3, first 2 shown]
	v_pk_fma_f32 v[18:19], v[150:151], v[152:153], v[18:19]
	ds_read2_b32 v[150:151], v91 offset0:128 offset1:160
	ds_read_b128 v[152:155], v101 offset:4096
	ds_read_b128 v[156:159], v101 offset:4112
	v_mov_b32_e32 v115, 0
	v_pk_fma_f32 v[20:21], v[160:161], v[162:163], v[20:21]
	v_add_u32_e32 v99, 4, v99
	s_waitcnt lgkmcnt(1)
	v_dot4c_i32_i8_e32 v105, v122, v152
	v_dot4c_i32_i8_e32 v109, v116, v152
	v_dot4c_i32_i8_e32 v111, v120, v152
	v_dot4c_i32_i8_e32 v113, v126, v152
	v_dot4c_i32_i8_e32 v105, v123, v153
	v_dot4c_i32_i8_e32 v109, v117, v153
	v_dot4c_i32_i8_e32 v111, v121, v153
	v_dot4c_i32_i8_e32 v113, v127, v153
	v_dot4c_i32_i8_e32 v105, v130, v154
	v_dot4c_i32_i8_e32 v109, v124, v154
	v_dot4c_i32_i8_e32 v111, v128, v154
	v_dot4c_i32_i8_e32 v113, v134, v154
	v_dot4c_i32_i8_e32 v105, v131, v155
	v_dot4c_i32_i8_e32 v109, v125, v155
	v_dot4c_i32_i8_e32 v111, v129, v155
	v_dot4c_i32_i8_e32 v113, v135, v155
	s_waitcnt lgkmcnt(0)
	v_dot4c_i32_i8_e32 v105, v136, v156
	v_dot4c_i32_i8_e32 v109, v132, v156
	;; [unrolled: 1-line block ×16, first 2 shown]
	ds_read_b128 v[152:155], v101 offset:5120
	ds_read_b128 v[156:159], v101 offset:5136
	v_cvt_f32_i32_e32 v162, v105
	v_mov_b32_e32 v105, 0
	v_add_u32_e32 v97, 4, v97
	s_waitcnt lgkmcnt(1)
	v_dot4c_i32_i8_e32 v115, v122, v152
	v_dot4c_i32_i8_e32 v115, v123, v153
	v_dot4c_i32_i8_e32 v115, v130, v154
	v_dot4c_i32_i8_e32 v115, v131, v155
	s_waitcnt lgkmcnt(0)
	v_dot4c_i32_i8_e32 v115, v136, v156
	v_dot4c_i32_i8_e32 v105, v116, v152
	;; [unrolled: 1-line block ×10, first 2 shown]
	v_cvt_f32_i32_e32 v163, v115
	v_dot4c_i32_i8_e32 v105, v142, v158
	v_pk_mul_f32 v[160:161], v[114:115], v[150:151] op_sel_hi:[0,1]
	v_dot4c_i32_i8_e32 v105, v143, v159
	v_pk_fma_f32 v[16:17], v[160:161], v[162:163], v[16:17]
	v_cvt_f32_i32_e32 v162, v109
	v_pk_mul_f32 v[160:161], v[110:111], v[150:151] op_sel_hi:[0,1]
	v_cvt_f32_i32_e32 v163, v105
	v_mov_b32_e32 v105, 0
	v_dot4c_i32_i8_e32 v105, v120, v152
	v_dot4c_i32_i8_e32 v105, v121, v153
	v_dot4c_i32_i8_e32 v105, v128, v154
	v_dot4c_i32_i8_e32 v105, v129, v155
	v_dot4c_i32_i8_e32 v105, v138, v156
	v_dot4c_i32_i8_e32 v105, v139, v157
	v_dot4c_i32_i8_e32 v105, v146, v158
	v_dot4c_i32_i8_e32 v105, v147, v159
	v_pk_fma_f32 v[14:15], v[160:161], v[162:163], v[14:15]
	v_pk_mul_f32 v[160:161], v[112:113], v[150:151] op_sel_hi:[0,1]
	v_cvt_f32_i32_e32 v162, v111
	v_cvt_f32_i32_e32 v163, v105
	v_mov_b32_e32 v105, 0
	v_dot4c_i32_i8_e32 v105, v126, v152
	v_dot4c_i32_i8_e32 v105, v127, v153
	;; [unrolled: 1-line block ×8, first 2 shown]
	v_cvt_f32_i32_e32 v152, v113
	v_pk_mul_f32 v[150:151], v[118:119], v[150:151] op_sel_hi:[0,1]
	v_pk_fma_f32 v[12:13], v[160:161], v[162:163], v[12:13]
	v_cvt_f32_i32_e32 v153, v105
	v_mov_b32_e32 v105, 0
	v_mov_b32_e32 v109, 0
	;; [unrolled: 1-line block ×3, first 2 shown]
	v_pk_fma_f32 v[10:11], v[150:151], v[152:153], v[10:11]
	ds_read2_b32 v[150:151], v91 offset0:192 offset1:224
	ds_read_b128 v[152:155], v101 offset:6144
	ds_read_b128 v[156:159], v101 offset:6160
	v_mov_b32_e32 v160, 0
	v_mov_b32_e32 v111, 0
	s_waitcnt lgkmcnt(2)
	v_pk_mul_f32 v[114:115], v[114:115], v[150:151] op_sel_hi:[0,1]
	s_waitcnt lgkmcnt(1)
	v_dot4c_i32_i8_e32 v105, v122, v152
	v_dot4c_i32_i8_e32 v109, v116, v152
	;; [unrolled: 1-line block ×16, first 2 shown]
	s_waitcnt lgkmcnt(0)
	v_dot4c_i32_i8_e32 v105, v136, v156
	v_dot4c_i32_i8_e32 v109, v132, v156
	;; [unrolled: 1-line block ×16, first 2 shown]
	ds_read_b128 v[152:155], v101 offset:7168
	ds_read_b128 v[156:159], v101 offset:7184
	v_add_u32_e32 v101, 32, v101
	v_add_u32_e32 v95, 4, v95
	v_add_u32_e32 v93, 4, v93
	s_waitcnt lgkmcnt(1)
	v_dot4c_i32_i8_e32 v111, v122, v152
	v_dot4c_i32_i8_e32 v111, v123, v153
	;; [unrolled: 1-line block ×4, first 2 shown]
	v_cvt_f32_i32_e32 v122, v105
	v_mov_b32_e32 v105, 0
	s_waitcnt lgkmcnt(0)
	v_dot4c_i32_i8_e32 v111, v136, v156
	v_dot4c_i32_i8_e32 v105, v116, v152
	;; [unrolled: 1-line block ×10, first 2 shown]
	v_cvt_f32_i32_e32 v123, v111
	v_dot4c_i32_i8_e32 v105, v142, v158
	v_dot4c_i32_i8_e32 v105, v143, v159
	v_pk_mul_f32 v[110:111], v[110:111], v[150:151] op_sel_hi:[0,1]
	v_pk_fma_f32 v[8:9], v[114:115], v[122:123], v[8:9]
	v_cvt_f32_i32_e32 v114, v109
	v_cvt_f32_i32_e32 v115, v105
	v_mov_b32_e32 v105, 0
	v_dot4c_i32_i8_e32 v105, v120, v152
	v_dot4c_i32_i8_e32 v105, v121, v153
	v_dot4c_i32_i8_e32 v105, v128, v154
	v_dot4c_i32_i8_e32 v105, v129, v155
	v_dot4c_i32_i8_e32 v105, v138, v156
	v_dot4c_i32_i8_e32 v105, v139, v157
	v_dot4c_i32_i8_e32 v105, v146, v158
	v_dot4c_i32_i8_e32 v105, v147, v159
	v_pk_fma_f32 v[6:7], v[110:111], v[114:115], v[6:7]
	v_pk_mul_f32 v[110:111], v[112:113], v[150:151] op_sel_hi:[0,1]
	v_cvt_f32_i32_e32 v112, v119
	v_cvt_f32_i32_e32 v113, v105
	v_mov_b32_e32 v105, 0
	v_dot4c_i32_i8_e32 v105, v126, v152
	v_dot4c_i32_i8_e32 v105, v127, v153
	;; [unrolled: 1-line block ×8, first 2 shown]
	v_pk_fma_f32 v[4:5], v[110:111], v[112:113], v[4:5]
	v_cvt_f32_i32_e32 v112, v160
	v_pk_mul_f32 v[110:111], v[118:119], v[150:151] op_sel_hi:[0,1]
	v_cvt_f32_i32_e32 v113, v105
	v_add_u32_e32 v91, 4, v91
	s_cmp_lt_u32 s1, 24
	v_pk_fma_f32 v[2:3], v[110:111], v[112:113], v[2:3]
	s_cbranch_scc1 .LBB146_6
; %bb.7:                                ;   in Loop: Header=BB146_5 Depth=1
	s_add_i32 s0, s0, 4
	s_cmp_ge_i32 s0, s4
	s_barrier
	s_cbranch_scc0 .LBB146_5
; %bb.8:
	v_mov_b32_e32 v34, v35
.LBB146_9:
	v_cmp_gt_u32_e32 vcc, s10, v37
	s_and_saveexec_b64 s[0:1], vcc
	s_cbranch_execz .LBB146_60
; %bb.10:
	v_add_u32_e32 v0, s6, v1
	v_mul_lo_u32 v35, v37, s14
	v_cmp_gt_u32_e32 vcc, s14, v0
	s_and_saveexec_b64 s[2:3], vcc
	s_cbranch_execz .LBB146_12
; %bb.11:
	v_add_u32_e32 v36, v0, v35
	v_mov_b32_e32 v37, 0
	v_cvt_f16_f32_e32 v32, v32
	v_lshlrev_b64 v[36:37], 1, v[36:37]
	s_waitcnt lgkmcnt(0)
	v_mov_b32_e32 v1, s13
	v_add_co_u32_e64 v36, s[0:1], s12, v36
	v_addc_co_u32_e64 v37, s[0:1], v1, v37, s[0:1]
	global_store_short v[36:37], v32, off
.LBB146_12:
	s_or_b64 exec, exec, s[2:3]
	v_add_u32_e32 v1, 32, v0
	v_cmp_gt_u32_e64 s[0:1], s14, v1
	s_and_saveexec_b64 s[4:5], s[0:1]
	s_cbranch_execz .LBB146_14
; %bb.13:
	v_add_u32_e32 v36, v1, v35
	v_mov_b32_e32 v37, 0
	v_cvt_f16_f32_e32 v30, v30
	v_lshlrev_b64 v[36:37], 1, v[36:37]
	s_waitcnt lgkmcnt(0)
	v_mov_b32_e32 v32, s13
	v_add_co_u32_e64 v36, s[2:3], s12, v36
	v_addc_co_u32_e64 v37, s[2:3], v32, v37, s[2:3]
	global_store_short v[36:37], v30, off
.LBB146_14:
	s_or_b64 exec, exec, s[4:5]
	v_add_u32_e32 v30, 64, v0
	v_cmp_gt_u32_e64 s[2:3], s14, v30
	s_and_saveexec_b64 s[6:7], s[2:3]
	;; [unrolled: 16-line block ×3, first 2 shown]
	s_cbranch_execz .LBB146_18
; %bb.17:
	v_add_u32_e32 v36, v28, v35
	v_mov_b32_e32 v37, 0
	v_cvt_f16_f32_e32 v26, v26
	v_lshlrev_b64 v[36:37], 1, v[36:37]
	s_waitcnt lgkmcnt(0)
	v_mov_b32_e32 v32, s13
	v_add_co_u32_e64 v36, s[6:7], s12, v36
	v_addc_co_u32_e64 v37, s[6:7], v32, v37, s[6:7]
	global_store_short v[36:37], v26, off
.LBB146_18:
	s_or_b64 exec, exec, s[8:9]
	v_add3_u32 v26, v34, s15, 8
	v_cmp_gt_u32_e64 s[6:7], s10, v26
	s_and_b64 exec, exec, s[6:7]
	s_cbranch_execz .LBB146_60
; %bb.19:
	v_mul_lo_u32 v26, v26, s14
	s_and_saveexec_b64 s[8:9], vcc
	s_cbranch_execnz .LBB146_61
; %bb.20:
	s_or_b64 exec, exec, s[8:9]
	s_and_saveexec_b64 s[8:9], s[0:1]
	s_cbranch_execnz .LBB146_62
.LBB146_21:
	s_or_b64 exec, exec, s[8:9]
	s_and_saveexec_b64 s[8:9], s[2:3]
	s_cbranch_execnz .LBB146_63
.LBB146_22:
	s_or_b64 exec, exec, s[8:9]
	s_and_saveexec_b64 s[8:9], s[4:5]
	s_cbranch_execz .LBB146_24
.LBB146_23:
	v_add_u32_e32 v32, v26, v28
	v_mov_b32_e32 v33, 0
	v_cvt_f16_f32_e32 v31, v27
	v_lshlrev_b64 v[32:33], 1, v[32:33]
	s_waitcnt lgkmcnt(0)
	v_mov_b32_e32 v29, s13
	v_add_co_u32_e64 v26, s[6:7], s12, v32
	v_addc_co_u32_e64 v27, s[6:7], v29, v33, s[6:7]
	global_store_short v[26:27], v31, off
.LBB146_24:
	s_or_b64 exec, exec, s[8:9]
	v_add3_u32 v26, v34, s15, 16
	v_cmp_gt_u32_e64 s[6:7], s10, v26
	s_and_b64 exec, exec, s[6:7]
	s_cbranch_execz .LBB146_60
; %bb.25:
	v_mul_lo_u32 v26, v26, s14
	s_and_saveexec_b64 s[8:9], vcc
	s_cbranch_execnz .LBB146_64
; %bb.26:
	s_or_b64 exec, exec, s[8:9]
	s_and_saveexec_b64 s[8:9], s[0:1]
	s_cbranch_execnz .LBB146_65
.LBB146_27:
	s_or_b64 exec, exec, s[8:9]
	s_and_saveexec_b64 s[8:9], s[2:3]
	s_cbranch_execnz .LBB146_66
.LBB146_28:
	s_or_b64 exec, exec, s[8:9]
	s_and_saveexec_b64 s[8:9], s[4:5]
	s_cbranch_execz .LBB146_30
.LBB146_29:
	v_add_u32_e32 v26, v26, v28
	v_mov_b32_e32 v27, 0
	v_cvt_f16_f32_e32 v18, v18
	v_lshlrev_b64 v[26:27], 1, v[26:27]
	s_waitcnt lgkmcnt(0)
	v_mov_b32_e32 v20, s13
	v_add_co_u32_e64 v26, s[6:7], s12, v26
	v_addc_co_u32_e64 v27, s[6:7], v20, v27, s[6:7]
	global_store_short v[26:27], v18, off
.LBB146_30:
	s_or_b64 exec, exec, s[8:9]
	v_add3_u32 v18, v34, s15, 24
	v_cmp_gt_u32_e64 s[6:7], s10, v18
	s_and_b64 exec, exec, s[6:7]
	s_cbranch_execz .LBB146_60
; %bb.31:
	v_mul_lo_u32 v18, v18, s14
	s_and_saveexec_b64 s[8:9], vcc
	s_cbranch_execnz .LBB146_67
; %bb.32:
	s_or_b64 exec, exec, s[8:9]
	s_and_saveexec_b64 s[8:9], s[0:1]
	s_cbranch_execnz .LBB146_68
.LBB146_33:
	s_or_b64 exec, exec, s[8:9]
	s_and_saveexec_b64 s[8:9], s[2:3]
	s_cbranch_execnz .LBB146_69
.LBB146_34:
	s_or_b64 exec, exec, s[8:9]
	s_and_saveexec_b64 s[8:9], s[4:5]
	s_cbranch_execz .LBB146_36
.LBB146_35:
	v_add_u32_e32 v20, v18, v28
	v_mov_b32_e32 v21, 0
	v_cvt_f16_f32_e32 v23, v19
	v_lshlrev_b64 v[20:21], 1, v[20:21]
	s_waitcnt lgkmcnt(0)
	v_mov_b32_e32 v22, s13
	v_add_co_u32_e64 v18, s[6:7], s12, v20
	v_addc_co_u32_e64 v19, s[6:7], v22, v21, s[6:7]
	global_store_short v[18:19], v23, off
.LBB146_36:
	s_or_b64 exec, exec, s[8:9]
	v_add3_u32 v18, v34, s15, 32
	v_cmp_gt_u32_e64 s[6:7], s10, v18
	s_and_b64 exec, exec, s[6:7]
	s_cbranch_execz .LBB146_60
; %bb.37:
	v_mul_lo_u32 v18, v18, s14
	s_and_saveexec_b64 s[8:9], vcc
	s_cbranch_execnz .LBB146_70
; %bb.38:
	s_or_b64 exec, exec, s[8:9]
	s_and_saveexec_b64 s[8:9], s[0:1]
	s_cbranch_execnz .LBB146_71
.LBB146_39:
	s_or_b64 exec, exec, s[8:9]
	s_and_saveexec_b64 s[8:9], s[2:3]
	s_cbranch_execnz .LBB146_72
.LBB146_40:
	s_or_b64 exec, exec, s[8:9]
	s_and_saveexec_b64 s[8:9], s[4:5]
	s_cbranch_execz .LBB146_42
.LBB146_41:
	v_add_u32_e32 v18, v18, v28
	v_mov_b32_e32 v19, 0
	v_cvt_f16_f32_e32 v10, v10
	v_lshlrev_b64 v[18:19], 1, v[18:19]
	s_waitcnt lgkmcnt(0)
	v_mov_b32_e32 v12, s13
	v_add_co_u32_e64 v18, s[6:7], s12, v18
	v_addc_co_u32_e64 v19, s[6:7], v12, v19, s[6:7]
	global_store_short v[18:19], v10, off
.LBB146_42:
	s_or_b64 exec, exec, s[8:9]
	v_add3_u32 v10, v34, s15, 40
	v_cmp_gt_u32_e64 s[6:7], s10, v10
	s_and_b64 exec, exec, s[6:7]
	s_cbranch_execz .LBB146_60
; %bb.43:
	v_mul_lo_u32 v10, v10, s14
	s_and_saveexec_b64 s[8:9], vcc
	s_cbranch_execnz .LBB146_73
; %bb.44:
	s_or_b64 exec, exec, s[8:9]
	s_and_saveexec_b64 s[8:9], s[0:1]
	s_cbranch_execnz .LBB146_74
.LBB146_45:
	s_or_b64 exec, exec, s[8:9]
	s_and_saveexec_b64 s[8:9], s[2:3]
	s_cbranch_execnz .LBB146_75
.LBB146_46:
	s_or_b64 exec, exec, s[8:9]
	s_and_saveexec_b64 s[8:9], s[4:5]
	s_cbranch_execz .LBB146_48
.LBB146_47:
	v_add_u32_e32 v12, v10, v28
	v_mov_b32_e32 v13, 0
	v_cvt_f16_f32_e32 v15, v11
	v_lshlrev_b64 v[12:13], 1, v[12:13]
	s_waitcnt lgkmcnt(0)
	v_mov_b32_e32 v14, s13
	v_add_co_u32_e64 v10, s[6:7], s12, v12
	v_addc_co_u32_e64 v11, s[6:7], v14, v13, s[6:7]
	global_store_short v[10:11], v15, off
.LBB146_48:
	s_or_b64 exec, exec, s[8:9]
	v_add3_u32 v10, v34, s15, 48
	v_cmp_gt_u32_e64 s[6:7], s10, v10
	s_and_b64 exec, exec, s[6:7]
	s_cbranch_execz .LBB146_60
; %bb.49:
	v_mul_lo_u32 v10, v10, s14
	s_and_saveexec_b64 s[8:9], vcc
	s_cbranch_execnz .LBB146_76
; %bb.50:
	s_or_b64 exec, exec, s[8:9]
	s_and_saveexec_b64 s[8:9], s[0:1]
	s_cbranch_execnz .LBB146_77
.LBB146_51:
	s_or_b64 exec, exec, s[8:9]
	s_and_saveexec_b64 s[8:9], s[2:3]
	s_cbranch_execnz .LBB146_78
.LBB146_52:
	s_or_b64 exec, exec, s[8:9]
	s_and_saveexec_b64 s[8:9], s[4:5]
	s_cbranch_execz .LBB146_54
.LBB146_53:
	v_add_u32_e32 v10, v10, v28
	v_mov_b32_e32 v11, 0
	v_cvt_f16_f32_e32 v2, v2
	v_lshlrev_b64 v[10:11], 1, v[10:11]
	s_waitcnt lgkmcnt(0)
	v_mov_b32_e32 v4, s13
	v_add_co_u32_e64 v10, s[6:7], s12, v10
	v_addc_co_u32_e64 v11, s[6:7], v4, v11, s[6:7]
	global_store_short v[10:11], v2, off
.LBB146_54:
	s_or_b64 exec, exec, s[8:9]
	v_add3_u32 v2, v34, s15, 56
	v_cmp_gt_u32_e64 s[6:7], s10, v2
	s_and_b64 exec, exec, s[6:7]
	s_cbranch_execz .LBB146_60
; %bb.55:
	v_mul_lo_u32 v2, v2, s14
	s_and_saveexec_b64 s[6:7], vcc
	s_cbranch_execnz .LBB146_79
; %bb.56:
	s_or_b64 exec, exec, s[6:7]
	s_and_saveexec_b64 s[6:7], s[0:1]
	s_cbranch_execnz .LBB146_80
.LBB146_57:
	s_or_b64 exec, exec, s[6:7]
	s_and_saveexec_b64 s[0:1], s[2:3]
	s_cbranch_execnz .LBB146_81
.LBB146_58:
	s_or_b64 exec, exec, s[0:1]
	s_and_b64 exec, exec, s[4:5]
	s_cbranch_execz .LBB146_60
.LBB146_59:
	v_add_u32_e32 v0, v2, v28
	v_mov_b32_e32 v1, 0
	v_cvt_f16_f32_e32 v3, v3
	v_lshlrev_b64 v[0:1], 1, v[0:1]
	s_waitcnt lgkmcnt(0)
	v_mov_b32_e32 v2, s13
	v_add_co_u32_e32 v0, vcc, s12, v0
	v_addc_co_u32_e32 v1, vcc, v2, v1, vcc
	global_store_short v[0:1], v3, off
.LBB146_60:
	s_endpgm
.LBB146_61:
	v_add_u32_e32 v36, v26, v0
	v_mov_b32_e32 v37, 0
	v_cvt_f16_f32_e32 v38, v33
	v_lshlrev_b64 v[36:37], 1, v[36:37]
	s_waitcnt lgkmcnt(0)
	v_mov_b32_e32 v35, s13
	v_add_co_u32_e64 v32, s[6:7], s12, v36
	v_addc_co_u32_e64 v33, s[6:7], v35, v37, s[6:7]
	global_store_short v[32:33], v38, off
	s_or_b64 exec, exec, s[8:9]
	s_and_saveexec_b64 s[8:9], s[0:1]
	s_cbranch_execz .LBB146_21
.LBB146_62:
	v_add_u32_e32 v32, v26, v1
	v_mov_b32_e32 v33, 0
	v_cvt_f16_f32_e32 v31, v31
	v_lshlrev_b64 v[32:33], 1, v[32:33]
	s_waitcnt lgkmcnt(0)
	v_mov_b32_e32 v35, s13
	v_add_co_u32_e64 v32, s[6:7], s12, v32
	v_addc_co_u32_e64 v33, s[6:7], v35, v33, s[6:7]
	global_store_short v[32:33], v31, off
	s_or_b64 exec, exec, s[8:9]
	s_and_saveexec_b64 s[8:9], s[2:3]
	s_cbranch_execz .LBB146_22
.LBB146_63:
	v_add_u32_e32 v32, v26, v30
	v_mov_b32_e32 v33, 0
	v_cvt_f16_f32_e32 v29, v29
	v_lshlrev_b64 v[32:33], 1, v[32:33]
	s_waitcnt lgkmcnt(0)
	v_mov_b32_e32 v31, s13
	v_add_co_u32_e64 v32, s[6:7], s12, v32
	v_addc_co_u32_e64 v33, s[6:7], v31, v33, s[6:7]
	global_store_short v[32:33], v29, off
	s_or_b64 exec, exec, s[8:9]
	s_and_saveexec_b64 s[8:9], s[4:5]
	s_cbranch_execnz .LBB146_23
	s_branch .LBB146_24
.LBB146_64:
	v_add_u32_e32 v32, v26, v0
	v_mov_b32_e32 v33, 0
	v_cvt_f16_f32_e32 v24, v24
	v_lshlrev_b64 v[32:33], 1, v[32:33]
	s_waitcnt lgkmcnt(0)
	v_mov_b32_e32 v27, s13
	v_add_co_u32_e64 v32, s[6:7], s12, v32
	v_addc_co_u32_e64 v33, s[6:7], v27, v33, s[6:7]
	global_store_short v[32:33], v24, off
	s_or_b64 exec, exec, s[8:9]
	s_and_saveexec_b64 s[8:9], s[0:1]
	s_cbranch_execz .LBB146_27
.LBB146_65:
	v_add_u32_e32 v32, v26, v1
	v_mov_b32_e32 v33, 0
	v_cvt_f16_f32_e32 v22, v22
	v_lshlrev_b64 v[32:33], 1, v[32:33]
	s_waitcnt lgkmcnt(0)
	v_mov_b32_e32 v24, s13
	v_add_co_u32_e64 v32, s[6:7], s12, v32
	v_addc_co_u32_e64 v33, s[6:7], v24, v33, s[6:7]
	global_store_short v[32:33], v22, off
	s_or_b64 exec, exec, s[8:9]
	s_and_saveexec_b64 s[8:9], s[2:3]
	s_cbranch_execz .LBB146_28
.LBB146_66:
	v_add_u32_e32 v32, v26, v30
	v_mov_b32_e32 v33, 0
	v_cvt_f16_f32_e32 v20, v20
	v_lshlrev_b64 v[32:33], 1, v[32:33]
	s_waitcnt lgkmcnt(0)
	v_mov_b32_e32 v22, s13
	v_add_co_u32_e64 v32, s[6:7], s12, v32
	v_addc_co_u32_e64 v33, s[6:7], v22, v33, s[6:7]
	global_store_short v[32:33], v20, off
	s_or_b64 exec, exec, s[8:9]
	s_and_saveexec_b64 s[8:9], s[4:5]
	s_cbranch_execnz .LBB146_29
	s_branch .LBB146_30
.LBB146_67:
	v_add_u32_e32 v26, v18, v0
	v_mov_b32_e32 v27, 0
	v_cvt_f16_f32_e32 v22, v25
	v_lshlrev_b64 v[26:27], 1, v[26:27]
	s_waitcnt lgkmcnt(0)
	v_mov_b32_e32 v20, s13
	v_add_co_u32_e64 v24, s[6:7], s12, v26
	v_addc_co_u32_e64 v25, s[6:7], v20, v27, s[6:7]
	global_store_short v[24:25], v22, off
	s_or_b64 exec, exec, s[8:9]
	s_and_saveexec_b64 s[8:9], s[0:1]
	s_cbranch_execz .LBB146_33
.LBB146_68:
	v_add_u32_e32 v24, v18, v1
	v_mov_b32_e32 v25, 0
	v_cvt_f16_f32_e32 v26, v23
	v_lshlrev_b64 v[24:25], 1, v[24:25]
	s_waitcnt lgkmcnt(0)
	v_mov_b32_e32 v20, s13
	v_add_co_u32_e64 v22, s[6:7], s12, v24
	v_addc_co_u32_e64 v23, s[6:7], v20, v25, s[6:7]
	global_store_short v[22:23], v26, off
	s_or_b64 exec, exec, s[8:9]
	s_and_saveexec_b64 s[8:9], s[2:3]
	s_cbranch_execz .LBB146_34
.LBB146_69:
	v_add_u32_e32 v22, v18, v30
	v_mov_b32_e32 v23, 0
	v_cvt_f16_f32_e32 v25, v21
	v_lshlrev_b64 v[22:23], 1, v[22:23]
	s_waitcnt lgkmcnt(0)
	v_mov_b32_e32 v24, s13
	v_add_co_u32_e64 v20, s[6:7], s12, v22
	v_addc_co_u32_e64 v21, s[6:7], v24, v23, s[6:7]
	global_store_short v[20:21], v25, off
	s_or_b64 exec, exec, s[8:9]
	s_and_saveexec_b64 s[8:9], s[4:5]
	s_cbranch_execnz .LBB146_35
	s_branch .LBB146_36
.LBB146_70:
	v_add_u32_e32 v20, v18, v0
	v_mov_b32_e32 v21, 0
	v_cvt_f16_f32_e32 v16, v16
	v_lshlrev_b64 v[20:21], 1, v[20:21]
	s_waitcnt lgkmcnt(0)
	v_mov_b32_e32 v19, s13
	v_add_co_u32_e64 v20, s[6:7], s12, v20
	v_addc_co_u32_e64 v21, s[6:7], v19, v21, s[6:7]
	global_store_short v[20:21], v16, off
	s_or_b64 exec, exec, s[8:9]
	s_and_saveexec_b64 s[8:9], s[0:1]
	s_cbranch_execz .LBB146_39
.LBB146_71:
	v_add_u32_e32 v20, v18, v1
	v_mov_b32_e32 v21, 0
	v_cvt_f16_f32_e32 v14, v14
	v_lshlrev_b64 v[20:21], 1, v[20:21]
	s_waitcnt lgkmcnt(0)
	v_mov_b32_e32 v16, s13
	v_add_co_u32_e64 v20, s[6:7], s12, v20
	v_addc_co_u32_e64 v21, s[6:7], v16, v21, s[6:7]
	global_store_short v[20:21], v14, off
	s_or_b64 exec, exec, s[8:9]
	s_and_saveexec_b64 s[8:9], s[2:3]
	s_cbranch_execz .LBB146_40
.LBB146_72:
	v_add_u32_e32 v20, v18, v30
	v_mov_b32_e32 v21, 0
	v_cvt_f16_f32_e32 v12, v12
	v_lshlrev_b64 v[20:21], 1, v[20:21]
	s_waitcnt lgkmcnt(0)
	v_mov_b32_e32 v14, s13
	v_add_co_u32_e64 v20, s[6:7], s12, v20
	v_addc_co_u32_e64 v21, s[6:7], v14, v21, s[6:7]
	global_store_short v[20:21], v12, off
	s_or_b64 exec, exec, s[8:9]
	s_and_saveexec_b64 s[8:9], s[4:5]
	s_cbranch_execnz .LBB146_41
	s_branch .LBB146_42
.LBB146_73:
	v_add_u32_e32 v18, v10, v0
	v_mov_b32_e32 v19, 0
	v_cvt_f16_f32_e32 v14, v17
	v_lshlrev_b64 v[18:19], 1, v[18:19]
	s_waitcnt lgkmcnt(0)
	v_mov_b32_e32 v12, s13
	v_add_co_u32_e64 v16, s[6:7], s12, v18
	v_addc_co_u32_e64 v17, s[6:7], v12, v19, s[6:7]
	global_store_short v[16:17], v14, off
	s_or_b64 exec, exec, s[8:9]
	s_and_saveexec_b64 s[8:9], s[0:1]
	s_cbranch_execz .LBB146_45
.LBB146_74:
	v_add_u32_e32 v16, v10, v1
	v_mov_b32_e32 v17, 0
	v_cvt_f16_f32_e32 v18, v15
	v_lshlrev_b64 v[16:17], 1, v[16:17]
	s_waitcnt lgkmcnt(0)
	v_mov_b32_e32 v12, s13
	v_add_co_u32_e64 v14, s[6:7], s12, v16
	v_addc_co_u32_e64 v15, s[6:7], v12, v17, s[6:7]
	global_store_short v[14:15], v18, off
	s_or_b64 exec, exec, s[8:9]
	s_and_saveexec_b64 s[8:9], s[2:3]
	s_cbranch_execz .LBB146_46
.LBB146_75:
	v_add_u32_e32 v14, v10, v30
	v_mov_b32_e32 v15, 0
	v_cvt_f16_f32_e32 v17, v13
	v_lshlrev_b64 v[14:15], 1, v[14:15]
	s_waitcnt lgkmcnt(0)
	v_mov_b32_e32 v16, s13
	v_add_co_u32_e64 v12, s[6:7], s12, v14
	v_addc_co_u32_e64 v13, s[6:7], v16, v15, s[6:7]
	global_store_short v[12:13], v17, off
	s_or_b64 exec, exec, s[8:9]
	s_and_saveexec_b64 s[8:9], s[4:5]
	s_cbranch_execnz .LBB146_47
	s_branch .LBB146_48
.LBB146_76:
	v_add_u32_e32 v12, v10, v0
	v_mov_b32_e32 v13, 0
	v_cvt_f16_f32_e32 v8, v8
	v_lshlrev_b64 v[12:13], 1, v[12:13]
	s_waitcnt lgkmcnt(0)
	v_mov_b32_e32 v11, s13
	v_add_co_u32_e64 v12, s[6:7], s12, v12
	v_addc_co_u32_e64 v13, s[6:7], v11, v13, s[6:7]
	global_store_short v[12:13], v8, off
	s_or_b64 exec, exec, s[8:9]
	s_and_saveexec_b64 s[8:9], s[0:1]
	s_cbranch_execz .LBB146_51
.LBB146_77:
	v_add_u32_e32 v12, v10, v1
	v_mov_b32_e32 v13, 0
	v_cvt_f16_f32_e32 v6, v6
	v_lshlrev_b64 v[12:13], 1, v[12:13]
	s_waitcnt lgkmcnt(0)
	v_mov_b32_e32 v8, s13
	v_add_co_u32_e64 v12, s[6:7], s12, v12
	v_addc_co_u32_e64 v13, s[6:7], v8, v13, s[6:7]
	global_store_short v[12:13], v6, off
	s_or_b64 exec, exec, s[8:9]
	s_and_saveexec_b64 s[8:9], s[2:3]
	s_cbranch_execz .LBB146_52
.LBB146_78:
	v_add_u32_e32 v12, v10, v30
	v_mov_b32_e32 v13, 0
	v_cvt_f16_f32_e32 v4, v4
	v_lshlrev_b64 v[12:13], 1, v[12:13]
	s_waitcnt lgkmcnt(0)
	v_mov_b32_e32 v6, s13
	v_add_co_u32_e64 v12, s[6:7], s12, v12
	v_addc_co_u32_e64 v13, s[6:7], v6, v13, s[6:7]
	global_store_short v[12:13], v4, off
	s_or_b64 exec, exec, s[8:9]
	s_and_saveexec_b64 s[8:9], s[4:5]
	s_cbranch_execnz .LBB146_53
	s_branch .LBB146_54
.LBB146_79:
	v_add_u32_e32 v10, v2, v0
	v_mov_b32_e32 v11, 0
	v_cvt_f16_f32_e32 v4, v9
	v_lshlrev_b64 v[10:11], 1, v[10:11]
	s_waitcnt lgkmcnt(0)
	v_mov_b32_e32 v0, s13
	v_add_co_u32_e32 v8, vcc, s12, v10
	v_addc_co_u32_e32 v9, vcc, v0, v11, vcc
	global_store_short v[8:9], v4, off
	s_or_b64 exec, exec, s[6:7]
	s_and_saveexec_b64 s[6:7], s[0:1]
	s_cbranch_execz .LBB146_57
.LBB146_80:
	v_add_u32_e32 v0, v2, v1
	v_mov_b32_e32 v1, 0
	v_cvt_f16_f32_e32 v6, v7
	v_lshlrev_b64 v[0:1], 1, v[0:1]
	s_waitcnt lgkmcnt(0)
	v_mov_b32_e32 v4, s13
	v_add_co_u32_e32 v0, vcc, s12, v0
	v_addc_co_u32_e32 v1, vcc, v4, v1, vcc
	global_store_short v[0:1], v6, off
	s_or_b64 exec, exec, s[6:7]
	s_and_saveexec_b64 s[0:1], s[2:3]
	s_cbranch_execz .LBB146_58
.LBB146_81:
	v_add_u32_e32 v0, v2, v30
	v_mov_b32_e32 v1, 0
	v_cvt_f16_f32_e32 v5, v5
	v_lshlrev_b64 v[0:1], 1, v[0:1]
	s_waitcnt lgkmcnt(0)
	v_mov_b32_e32 v4, s13
	v_add_co_u32_e32 v0, vcc, s12, v0
	v_addc_co_u32_e32 v1, vcc, v4, v1, vcc
	global_store_short v[0:1], v5, off
	s_or_b64 exec, exec, s[0:1]
	s_and_b64 exec, exec, s[4:5]
	s_cbranch_execnz .LBB146_59
	s_branch .LBB146_60
	.section	.rodata,"a",@progbits
	.p2align	6, 0x0
	.amdhsa_kernel _ZL12mul_mat_q8_0IN3c104HalfELb1EEvPKvS3_PT_iiiii
		.amdhsa_group_segment_fixed_size 28224
		.amdhsa_private_segment_fixed_size 0
		.amdhsa_kernarg_size 44
		.amdhsa_user_sgpr_count 6
		.amdhsa_user_sgpr_private_segment_buffer 1
		.amdhsa_user_sgpr_dispatch_ptr 0
		.amdhsa_user_sgpr_queue_ptr 0
		.amdhsa_user_sgpr_kernarg_segment_ptr 1
		.amdhsa_user_sgpr_dispatch_id 0
		.amdhsa_user_sgpr_flat_scratch_init 0
		.amdhsa_user_sgpr_kernarg_preload_length 0
		.amdhsa_user_sgpr_kernarg_preload_offset 0
		.amdhsa_user_sgpr_private_segment_size 0
		.amdhsa_uses_dynamic_stack 0
		.amdhsa_system_sgpr_private_segment_wavefront_offset 0
		.amdhsa_system_sgpr_workgroup_id_x 1
		.amdhsa_system_sgpr_workgroup_id_y 1
		.amdhsa_system_sgpr_workgroup_id_z 0
		.amdhsa_system_sgpr_workgroup_info 0
		.amdhsa_system_vgpr_workitem_id 1
		.amdhsa_next_free_vgpr 164
		.amdhsa_next_free_sgpr 18
		.amdhsa_accum_offset 164
		.amdhsa_reserve_vcc 1
		.amdhsa_reserve_flat_scratch 0
		.amdhsa_float_round_mode_32 0
		.amdhsa_float_round_mode_16_64 0
		.amdhsa_float_denorm_mode_32 3
		.amdhsa_float_denorm_mode_16_64 3
		.amdhsa_dx10_clamp 1
		.amdhsa_ieee_mode 1
		.amdhsa_fp16_overflow 0
		.amdhsa_tg_split 0
		.amdhsa_exception_fp_ieee_invalid_op 0
		.amdhsa_exception_fp_denorm_src 0
		.amdhsa_exception_fp_ieee_div_zero 0
		.amdhsa_exception_fp_ieee_overflow 0
		.amdhsa_exception_fp_ieee_underflow 0
		.amdhsa_exception_fp_ieee_inexact 0
		.amdhsa_exception_int_div_zero 0
	.end_amdhsa_kernel
	.section	.text._ZL12mul_mat_q8_0IN3c104HalfELb1EEvPKvS3_PT_iiiii,"axG",@progbits,_ZL12mul_mat_q8_0IN3c104HalfELb1EEvPKvS3_PT_iiiii,comdat
.Lfunc_end146:
	.size	_ZL12mul_mat_q8_0IN3c104HalfELb1EEvPKvS3_PT_iiiii, .Lfunc_end146-_ZL12mul_mat_q8_0IN3c104HalfELb1EEvPKvS3_PT_iiiii
                                        ; -- End function
	.section	.AMDGPU.csdata,"",@progbits
; Kernel info:
; codeLenInByte = 7132
; NumSgprs: 22
; NumVgprs: 164
; NumAgprs: 0
; TotalNumVgprs: 164
; ScratchSize: 0
; MemoryBound: 0
; FloatMode: 240
; IeeeMode: 1
; LDSByteSize: 28224 bytes/workgroup (compile time only)
; SGPRBlocks: 2
; VGPRBlocks: 20
; NumSGPRsForWavesPerEU: 22
; NumVGPRsForWavesPerEU: 164
; AccumOffset: 164
; Occupancy: 2
; WaveLimiterHint : 0
; COMPUTE_PGM_RSRC2:SCRATCH_EN: 0
; COMPUTE_PGM_RSRC2:USER_SGPR: 6
; COMPUTE_PGM_RSRC2:TRAP_HANDLER: 0
; COMPUTE_PGM_RSRC2:TGID_X_EN: 1
; COMPUTE_PGM_RSRC2:TGID_Y_EN: 1
; COMPUTE_PGM_RSRC2:TGID_Z_EN: 0
; COMPUTE_PGM_RSRC2:TIDIG_COMP_CNT: 1
; COMPUTE_PGM_RSRC3_GFX90A:ACCUM_OFFSET: 40
; COMPUTE_PGM_RSRC3_GFX90A:TG_SPLIT: 0
	.section	.text._ZL12mul_mat_q2_KIN3c104HalfELb0EEvPKvS3_PT_iiiii,"axG",@progbits,_ZL12mul_mat_q2_KIN3c104HalfELb0EEvPKvS3_PT_iiiii,comdat
	.globl	_ZL12mul_mat_q2_KIN3c104HalfELb0EEvPKvS3_PT_iiiii ; -- Begin function _ZL12mul_mat_q2_KIN3c104HalfELb0EEvPKvS3_PT_iiiii
	.p2align	8
	.type	_ZL12mul_mat_q2_KIN3c104HalfELb0EEvPKvS3_PT_iiiii,@function
_ZL12mul_mat_q2_KIN3c104HalfELb0EEvPKvS3_PT_iiiii: ; @_ZL12mul_mat_q2_KIN3c104HalfELb0EEvPKvS3_PT_iiiii
; %bb.0:
	s_load_dword s14, s[4:5], 0x18
	s_load_dwordx4 s[8:11], s[4:5], 0x20
	s_waitcnt lgkmcnt(0)
	s_lshl_b32 s11, s7, 6
	v_bfe_u32 v43, v0, 10, 10
	s_cmpk_gt_i32 s14, 0xff
	s_cbranch_scc1 .LBB147_2
; %bb.1:
	v_bfe_u32 v1, v0, 10, 10
	s_mov_b32 s0, 0
	v_and_b32_e32 v41, 0x3ff, v0
	v_add_u32_e32 v45, s11, v1
	s_mov_b32 s1, s0
	s_mov_b64 s[2:3], 0
	s_branch .LBB147_3
.LBB147_2:
	s_mov_b64 s[2:3], -1
                                        ; implicit-def: $sgpr0_sgpr1
                                        ; implicit-def: $vgpr1
                                        ; implicit-def: $vgpr41
                                        ; implicit-def: $vgpr45
.LBB147_3:
	s_load_dwordx2 s[12:13], s[4:5], 0x10
	s_lshl_b32 s6, s6, 7
	s_andn2_b64 vcc, exec, s[2:3]
	v_pk_mov_b32 v[16:17], s[0:1], s[0:1] op_sel:[0,1]
	v_pk_mov_b32 v[24:25], s[0:1], s[0:1] op_sel:[0,1]
	;; [unrolled: 1-line block ×16, first 2 shown]
	s_cbranch_vccnz .LBB147_17
; %bb.4:
	s_load_dwordx4 s[0:3], s[4:5], 0x0
	s_ashr_i32 s4, s14, 31
	s_lshr_b32 s4, s4, 24
	s_add_i32 s14, s14, s4
	s_ashr_i32 s5, s9, 31
	s_ashr_i32 s4, s14, 8
	s_lshr_b32 s5, s5, 27
	s_add_i32 s5, s9, s5
	s_mul_i32 s7, s4, s6
	s_ashr_i32 s16, s5, 5
	s_mul_hi_i32 s9, s7, 0x54
	s_mulk_i32 s7, 0x54
	s_waitcnt lgkmcnt(0)
	s_add_u32 s7, s0, s7
	s_addc_u32 s9, s1, s9
	s_lshl_b32 s14, s4, 3
	v_and_b32_e32 v41, 0x3ff, v0
	v_mov_b32_e32 v0, s14
	v_mad_i32_i24 v46, s4, v43, v0
	v_add_u32_e32 v48, s14, v46
	v_add_u32_e32 v50, s14, v48
	;; [unrolled: 1-line block ×9, first 2 shown]
	v_lshlrev_b32_e32 v85, 4, v43
	v_lshrrev_b32_e32 v0, 1, v41
	v_add_u32_e32 v68, s14, v66
	v_and_b32_e32 v82, 1, v41
	v_add_u32_e32 v0, v0, v85
	v_add_u32_e32 v70, s14, v68
	v_and_b32_e32 v1, 0x7f, v0
	v_lshlrev_b32_e32 v3, 2, v82
	v_lshrrev_b32_e32 v0, 2, v0
	v_add_u32_e32 v74, s14, v70
	v_mul_i32_i24_e32 v84, s4, v1
	v_lshl_or_b32 v1, v1, 3, v3
	v_and_b32_e32 v0, 28, v0
	s_movk_i32 s17, 0x7280
	v_lshrrev_b32_e32 v91, 3, v41
	v_add_u32_e32 v78, s14, v74
	v_add3_u32 v89, v1, v0, s17
	v_lshl_add_u32 v0, v43, 2, v91
	v_and_b32_e32 v1, 7, v41
	v_add_u32_e32 v80, s14, v78
	v_cmp_lt_u32_e32 vcc, 3, v1
	v_and_b32_e32 v3, 0x7fc, v0
	v_lshlrev_b32_e32 v1, 2, v1
	s_movk_i32 s14, 0x6200
	s_lshl_b32 s15, s4, 5
	v_lshlrev_b32_e32 v2, 2, v41
	s_movk_i32 s1, 0x84
	v_add3_u32 v4, v3, v1, s14
	v_add_u32_e32 v3, 32, v0
	v_mov_b32_e32 v6, s15
	v_and_b32_e32 v42, 60, v2
	v_mad_u32_u24 v47, v43, s1, v2
	v_and_b32_e32 v90, 12, v2
	v_mul_i32_i24_e32 v92, s4, v0
	v_lshlrev_b32_e32 v5, 5, v0
	v_mad_i32_i24 v94, s4, v0, v6
	v_and_b32_e32 v6, 0xffc, v3
	v_lshlrev_b32_e32 v7, 5, v3
	v_add_u32_e32 v3, 64, v0
	v_add_u32_e32 v0, 0x60, v0
	v_and_b32_e32 v2, 28, v2
	v_cndmask_b32_e64 v88, 0, 1, vcc
	v_and_b32_e32 v8, 0xffc, v3
	v_lshlrev_b32_e32 v9, 5, v3
	v_and_b32_e32 v3, 0xffc, v0
	v_add_co_u32_e32 v100, vcc, s2, v2
	v_lshrrev_b32_e32 v2, 2, v41
	v_add3_u32 v10, v3, v1, s14
	v_mov_b32_e32 v3, s3
	v_lshl_add_u32 v2, v43, 3, v2
	v_addc_co_u32_e32 v101, vcc, 0, v3, vcc
	v_and_b32_e32 v3, 63, v2
	v_add3_u32 v6, v6, v1, s14
	v_add3_u32 v8, v8, v1, s14
	s_add_i32 s14, s8, -1
	v_or_b32_e32 v13, s11, v3
	v_add_u32_e32 v96, s15, v94
	v_and_b32_e32 v2, 3, v41
	v_min_i32_e32 v13, s14, v13
	v_add_u32_e32 v98, s15, v96
	v_lshlrev_b32_e32 v11, 5, v0
	v_cvt_f64_i32_e32 v[0:1], s14
	v_mad_u64_u32 v[102:103], s[14:15], v13, s16, v[2:3]
	v_lshlrev_b32_e32 v2, 2, v2
	v_add_u32_e32 v45, s11, v43
	v_lshl_or_b32 v2, v3, 4, v2
	v_add_u32_e32 v93, 0x76a0, v2
	v_cvt_f64_u32_e32 v[2:3], v45
	v_min_f64 v[2:3], v[2:3], v[0:1]
	v_cvt_i32_f64_e32 v2, v[2:3]
	v_mul_lo_u32 v95, s16, v2
	v_add_u32_e32 v2, 8, v45
	v_cvt_f64_u32_e32 v[2:3], v2
	v_min_f64 v[2:3], v[2:3], v[0:1]
	v_cvt_i32_f64_e32 v2, v[2:3]
	v_mul_lo_u32 v103, s16, v2
	;; [unrolled: 5-line block ×7, first 2 shown]
	v_add_u32_e32 v2, 56, v45
	v_cvt_f64_u32_e32 v[2:3], v2
	v_min_f64 v[0:1], v[2:3], v[0:1]
	v_lshrrev_b32_e32 v40, 4, v41
	v_cvt_i32_f64_e32 v0, v[0:1]
	v_mul_lo_u32 v131, s16, v0
	v_lshlrev_b32_e32 v0, 3, v41
	v_lshlrev_b32_e32 v15, 2, v40
	v_add_u32_e32 v1, 32, v41
	v_add3_u32 v134, v15, v0, s17
	v_mov_b32_e32 v0, 0x1080
	v_mad_u32_u24 v135, v41, s1, v0
	v_lshrrev_b32_e32 v0, 2, v1
	v_lshlrev_b32_e32 v2, 3, v1
	v_and_b32_e32 v0, 0x7c, v0
	v_and_b32_e32 v12, 31, v41
	v_lshlrev_b32_e32 v97, 7, v43
	v_add_u32_e32 v3, 64, v41
	v_add3_u32 v136, v2, v0, s17
	v_mov_b32_e32 v0, 0x2100
	v_lshl_or_b32 v12, v12, 2, v97
	v_mad_u32_u24 v137, v41, s1, v0
	v_lshrrev_b32_e32 v0, 2, v3
	v_add_u32_e32 v99, 0x4200, v12
	v_add_u32_e32 v105, 0x4600, v12
	;; [unrolled: 1-line block ×8, first 2 shown]
	v_lshlrev_b32_e32 v12, 3, v3
	v_and_b32_e32 v0, 0x7c, v0
	s_mov_b32 s0, 0
	v_add_u32_e32 v13, 0x60, v41
	v_add3_u32 v138, v12, v0, s17
	v_mov_b32_e32 v0, 0x3180
	v_mad_u32_u24 v139, v41, s1, v0
	v_lshrrev_b32_e32 v0, 2, v13
	s_mov_b32 s1, s0
	v_lshlrev_b32_e32 v14, 3, v13
	v_and_b32_e32 v0, 0x7c, v0
	v_and_b32_e32 v144, 0x1fc, v13
	v_lshlrev_b32_e32 v146, 5, v41
	v_and_b32_e32 v147, 0x1fc, v3
	v_and_b32_e32 v149, 0x1fc, v1
	;; [unrolled: 1-line block ×3, first 2 shown]
	v_pk_mov_b32 v[76:77], s[0:1], s[0:1] op_sel:[0,1]
	s_movk_i32 s5, 0x54
	v_mul_i32_i24_e32 v44, s4, v43
	v_add_u32_e32 v49, 0x420, v47
	v_add_u32_e32 v51, 0x840, v47
	;; [unrolled: 1-line block ×15, first 2 shown]
	v_mul_u32_u24_e32 v133, 0x84, v41
	v_add3_u32 v140, v14, v0, s17
	v_lshrrev_b32_e32 v141, 3, v1
	v_lshrrev_b32_e32 v142, 3, v3
	v_lshrrev_b32_e32 v143, 3, v13
	v_or_b32_e32 v145, 0x4200, v144
	v_or_b32_e32 v148, 0x4200, v147
	;; [unrolled: 1-line block ×4, first 2 shown]
	v_add_u32_e32 v153, 0x6e08, v144
	v_add_u32_e32 v154, 0x6a08, v147
	;; [unrolled: 1-line block ×14, first 2 shown]
	s_mov_b32 s1, 0x1010101
	v_mov_b32_e32 v167, 4
	v_mov_b32_e32 v168, 15
	v_pk_mov_b32 v[38:39], v[76:77], v[76:77] op_sel:[0,1]
	v_pk_mov_b32 v[30:31], v[76:77], v[76:77] op_sel:[0,1]
	;; [unrolled: 1-line block ×15, first 2 shown]
	s_branch .LBB147_6
.LBB147_5:                              ;   in Loop: Header=BB147_6 Depth=1
	s_add_i32 s0, s0, 2
	s_cmp_ge_i32 s0, s4
	s_cbranch_scc1 .LBB147_16
.LBB147_6:                              ; =>This Loop Header: Depth=1
                                        ;     Child Loop BB147_7 Depth 2
                                        ;     Child Loop BB147_9 Depth 2
	;; [unrolled: 1-line block ×4, first 2 shown]
	s_mul_i32 s14, s0, 0x54
	s_mul_hi_u32 s15, s0, 0x54
	s_add_u32 s14, s7, s14
	s_addc_u32 s15, s9, s15
	v_pk_mov_b32 v[0:1], s[14:15], s[14:15] op_sel:[0,1]
	v_mad_u64_u32 v[2:3], s[14:15], v40, s5, v[0:1]
	v_add_co_u32_e32 v2, vcc, v2, v42
	v_addc_co_u32_e32 v3, vcc, 0, v3, vcc
	v_add_co_u32_e32 v2, vcc, 16, v2
	v_addc_co_u32_e32 v3, vcc, 0, v3, vcc
	v_mad_u64_u32 v[4:5], s[14:15], v44, s5, v[2:3]
	v_mad_u64_u32 v[6:7], s[14:15], v46, s5, v[2:3]
	;; [unrolled: 1-line block ×8, first 2 shown]
	global_load_dword v104, v[4:5], off
	global_load_dword v106, v[6:7], off
	;; [unrolled: 1-line block ×8, first 2 shown]
	v_mad_u64_u32 v[4:5], s[14:15], v62, s5, v[2:3]
	v_mad_u64_u32 v[6:7], s[14:15], v64, s5, v[2:3]
	;; [unrolled: 1-line block ×8, first 2 shown]
	global_load_dword v120, v[4:5], off
	global_load_dword v121, v[6:7], off
	;; [unrolled: 1-line block ×8, first 2 shown]
	v_mad_u64_u32 v[2:3], s[14:15], v84, s5, v[0:1]
	v_mad_u64_u32 v[0:1], s[14:15], v88, s5, v[0:1]
	v_add_co_u32_e32 v0, vcc, v0, v90
	v_addc_co_u32_e32 v1, vcc, 0, v1, vcc
	v_mad_u64_u32 v[2:3], s[14:15], v82, s5, v[2:3]
	v_mad_u64_u32 v[4:5], s[14:15], v92, s5, v[0:1]
	;; [unrolled: 1-line block ×5, first 2 shown]
	s_lshl_b32 s14, s0, 3
	v_add_u32_e32 v112, s14, v91
	global_load_dword v173, v[2:3], off offset:80
	global_load_dword v174, v[4:5], off
	global_load_dword v175, v[6:7], off
	s_nop 0
	global_load_dword v8, v[8:9], off
	s_nop 0
	global_load_dword v176, v[0:1], off
	v_add_u32_e32 v0, v112, v95
	v_add_u32_e32 v2, v112, v103
	;; [unrolled: 1-line block ×6, first 2 shown]
	v_mad_i64_i32 v[0:1], s[16:17], v0, 36, v[100:101]
	v_mad_i64_i32 v[2:3], s[16:17], v2, 36, v[100:101]
	;; [unrolled: 1-line block ×5, first 2 shown]
	v_add_u32_e32 v12, v112, v127
	v_add_u32_e32 v14, v112, v129
	;; [unrolled: 1-line block ×3, first 2 shown]
	v_mad_i64_i32 v[12:13], s[16:17], v12, 36, v[100:101]
	v_mad_i64_i32 v[14:15], s[16:17], v14, 36, v[100:101]
	;; [unrolled: 1-line block ×3, first 2 shown]
	v_mad_u64_u32 v[114:115], s[16:17], v9, 36, s[2:3]
	global_load_dword v0, v[0:1], off offset:4
	s_nop 0
	global_load_dword v1, v[2:3], off offset:4
	s_nop 0
	global_load_dword v2, v[4:5], off offset:4
	global_load_dword v3, v[6:7], off offset:4
	s_nop 0
	global_load_dword v4, v[10:11], off offset:4
	global_load_dword v5, v[114:115], off
	global_load_dword v6, v[12:13], off offset:4
	global_load_dword v7, v[14:15], off offset:4
	s_nop 0
	global_load_dword v10, v[112:113], off offset:4
	s_waitcnt vmcnt(29)
	ds_write_b32 v47, v104
	s_waitcnt vmcnt(28)
	ds_write_b32 v49, v106
	;; [unrolled: 2-line block ×26, first 2 shown]
	s_waitcnt vmcnt(3)
	v_cvt_f32_f16_e32 v0, v5
	s_mov_b32 s17, -2
	v_mov_b32_e32 v11, v97
	v_mov_b32_e32 v13, v85
	s_mov_b32 s15, 0
	s_waitcnt vmcnt(2)
	ds_write_b32 v128, v6
	s_waitcnt vmcnt(1)
	ds_write_b32 v130, v7
	s_waitcnt vmcnt(0)
	ds_write_b32 v132, v10
	ds_write_b32 v93, v0
	s_waitcnt lgkmcnt(0)
	s_barrier
.LBB147_7:                              ;   Parent Loop BB147_6 Depth=1
                                        ; =>  This Inner Loop Header: Depth=2
	s_and_b32 s16, s15, -16
	v_add_u32_e32 v104, s16, v146
	s_add_i32 s16, s17, 2
	s_and_b32 s18, s16, 0x3ffffff8
	s_lshl_b32 s18, s18, 2
	v_add_u32_e32 v0, 0x7400, v13
	v_add_u32_e32 v8, s18, v133
	ds_read2_b32 v[112:113], v0 offset0:168 offset1:200
	ds_read_b128 v[4:7], v11 offset:16896
	ds_read_b128 v[0:3], v11 offset:16912
	ds_read2_b32 v[14:15], v8 offset1:1
	ds_read2_b32 v[114:115], v8 offset0:4 offset1:5
	s_lshr_b32 s19, s16, 2
	s_and_b32 s19, s19, 0x3ffffffc
	v_mov_b32_e32 v116, 0
	s_waitcnt lgkmcnt(1)
	v_ashrrev_i32_e32 v10, s16, v14
	v_and_b32_e32 v173, 0x3030303, v10
	v_ashrrev_i32_e32 v10, s16, v15
	ds_read2_b32 v[14:15], v8 offset0:2 offset1:3
	v_and_b32_e32 v170, 0x3030303, v10
	v_mov_b32_e32 v216, 0
	v_mov_b32_e32 v217, 0
	v_mov_b32_e32 v214, 0
	s_waitcnt lgkmcnt(0)
	v_ashrrev_i32_e32 v10, s16, v14
	v_and_b32_e32 v171, 0x3030303, v10
	v_ashrrev_i32_e32 v10, s16, v15
	v_and_b32_e32 v172, 0x3030303, v10
	;; [unrolled: 2-line block ×3, first 2 shown]
	v_ashrrev_i32_e32 v10, s16, v115
	ds_read2_b32 v[114:115], v8 offset0:6 offset1:7
	v_and_b32_e32 v122, 0x3030303, v10
	v_add_u32_e32 v10, s19, v134
	v_mov_b32_e32 v218, 0
	v_mov_b32_e32 v219, 0
	s_waitcnt lgkmcnt(0)
	v_ashrrev_i32_e32 v8, s16, v114
	v_and_b32_e32 v123, 0x3030303, v8
	v_ashrrev_i32_e32 v8, s16, v115
	v_and_b32_e32 v169, 0x3030303, v8
	v_add3_u32 v8, v152, s17, v104
	ds_read_b32 v10, v10
	ds_read_u16 v12, v8 offset:8194
	s_add_i32 s15, s15, 2
	s_cmp_lt_u32 s16, 6
	s_waitcnt lgkmcnt(0)
	v_bfe_u32 v8, v12, 4, 4
	v_mul_lo_u32 v174, v8, s1
	v_mov_b32_e32 v8, 0
	v_and_b32_e32 v189, 15, v12
	v_lshrrev_b32_sdwa v14, v167, v12 dst_sel:DWORD dst_unused:UNUSED_PAD src0_sel:DWORD src1_sel:BYTE_1
	v_and_b32_sdwa v190, v12, v168 dst_sel:DWORD dst_unused:UNUSED_PAD src0_sel:BYTE_1 src1_sel:DWORD
	v_add_u32_e32 v12, s18, v135
	v_dot4c_i32_i8_e32 v8, v173, v4
	v_mul_lo_u32 v187, v14, s1
	v_mov_b32_e32 v14, 0
	ds_read2_b32 v[118:119], v12 offset1:1
	v_dot4c_i32_i8_e32 v8, v170, v5
	v_dot4c_i32_i8_e32 v14, v15, v0
	;; [unrolled: 1-line block ×8, first 2 shown]
	v_mul_lo_u32 v8, v189, v8
	v_dot4c_i32_i8_e32 v116, v174, v5
	v_mad_u64_u32 v[114:115], s[20:21], v190, v14, v[8:9]
	s_waitcnt lgkmcnt(0)
	v_ashrrev_i32_e32 v14, s16, v118
	v_and_b32_e32 v186, 0x3030303, v14
	v_ashrrev_i32_e32 v14, s16, v119
	ds_read2_b32 v[118:119], v12 offset0:2 offset1:3
	v_and_b32_e32 v183, 0x3030303, v14
	v_cvt_f32_i32_e32 v115, v114
	v_dot4c_i32_i8_e32 v116, v174, v6
	v_dot4c_i32_i8_e32 v116, v174, v7
	s_waitcnt lgkmcnt(0)
	v_ashrrev_i32_e32 v14, s16, v118
	v_and_b32_e32 v184, 0x3030303, v14
	v_ashrrev_i32_e32 v14, s16, v119
	ds_read2_b32 v[118:119], v12 offset0:4 offset1:5
	v_and_b32_e32 v185, 0x3030303, v14
	v_dot4c_i32_i8_e32 v116, v187, v0
	v_dot4c_i32_i8_e32 v116, v187, v1
	;; [unrolled: 1-line block ×3, first 2 shown]
	s_waitcnt lgkmcnt(0)
	v_ashrrev_i32_e32 v14, s16, v118
	v_and_b32_e32 v175, 0x3030303, v14
	v_ashrrev_i32_e32 v14, s16, v119
	ds_read2_b32 v[118:119], v12 offset0:6 offset1:7
	v_and_b32_e32 v176, 0x3030303, v14
	v_add_u32_e32 v14, s19, v136
	v_dot4c_i32_i8_e32 v116, v187, v3
	v_cvt_f32_f16_e32 v8, v10
	s_waitcnt lgkmcnt(0)
	v_ashrrev_i32_e32 v12, s16, v118
	v_and_b32_e32 v177, 0x3030303, v12
	v_ashrrev_i32_e32 v12, s16, v119
	v_and_b32_e32 v178, 0x3030303, v12
	v_add3_u32 v12, v150, s17, v104
	ds_read_b32 v14, v14
	ds_read_u16 v106, v12 offset:9218
	v_mov_b32_e32 v118, 0
	v_cvt_f32_f16_sdwa v10, v10 dst_sel:DWORD dst_unused:UNUSED_PAD src0_sel:WORD_1
	s_waitcnt lgkmcnt(0)
	v_bfe_u32 v12, v106, 4, 4
	v_mul_lo_u32 v188, v12, s1
	v_mov_b32_e32 v12, 0
	v_lshrrev_b32_sdwa v108, v167, v106 dst_sel:DWORD dst_unused:UNUSED_PAD src0_sel:DWORD src1_sel:BYTE_1
	v_dot4c_i32_i8_e32 v12, v186, v4
	v_mul_lo_u32 v199, v108, s1
	v_mov_b32_e32 v108, 0
	v_dot4c_i32_i8_e32 v12, v183, v5
	v_dot4c_i32_i8_e32 v108, v175, v0
	;; [unrolled: 1-line block ×5, first 2 shown]
	v_and_b32_e32 v202, 15, v106
	v_dot4c_i32_i8_e32 v108, v177, v2
	v_dot4c_i32_i8_e32 v108, v178, v3
	v_mul_lo_u32 v12, v202, v12
	v_and_b32_sdwa v203, v106, v168 dst_sel:DWORD dst_unused:UNUSED_PAD src0_sel:BYTE_1 src1_sel:DWORD
	v_add_u32_e32 v106, s18, v137
	v_mad_u64_u32 v[120:121], s[20:21], v203, v108, v[12:13]
	v_cvt_f32_i32_e32 v117, v120
	ds_read2_b32 v[120:121], v106 offset1:1
	v_dot4c_i32_i8_e32 v118, v188, v4
	v_dot4c_i32_i8_e32 v118, v188, v5
	;; [unrolled: 1-line block ×4, first 2 shown]
	s_waitcnt lgkmcnt(0)
	v_ashrrev_i32_e32 v108, s16, v120
	v_and_b32_e32 v198, 0x3030303, v108
	v_ashrrev_i32_e32 v108, s16, v121
	ds_read2_b32 v[120:121], v106 offset0:2 offset1:3
	v_and_b32_e32 v195, 0x3030303, v108
	v_dot4c_i32_i8_e32 v118, v199, v0
	v_dot4c_i32_i8_e32 v118, v199, v1
	v_dot4c_i32_i8_e32 v118, v199, v2
	s_waitcnt lgkmcnt(0)
	v_ashrrev_i32_e32 v108, s16, v120
	v_and_b32_e32 v196, 0x3030303, v108
	v_ashrrev_i32_e32 v108, s16, v121
	ds_read2_b32 v[120:121], v106 offset0:4 offset1:5
	v_and_b32_e32 v197, 0x3030303, v108
	v_dot4c_i32_i8_e32 v118, v199, v3
	v_cvt_f32_f16_e32 v12, v14
	v_cvt_f32_f16_sdwa v14, v14 dst_sel:DWORD dst_unused:UNUSED_PAD src0_sel:WORD_1
	s_waitcnt lgkmcnt(0)
	v_ashrrev_i32_e32 v108, s16, v120
	v_and_b32_e32 v191, 0x3030303, v108
	v_ashrrev_i32_e32 v108, s16, v121
	ds_read2_b32 v[120:121], v106 offset0:6 offset1:7
	v_and_b32_e32 v192, 0x3030303, v108
	v_add_u32_e32 v108, s19, v138
	s_waitcnt lgkmcnt(0)
	v_ashrrev_i32_e32 v106, s16, v120
	v_and_b32_e32 v193, 0x3030303, v106
	v_ashrrev_i32_e32 v106, s16, v121
	v_and_b32_e32 v194, 0x3030303, v106
	v_add3_u32 v106, v148, s17, v104
	ds_read_b32 v110, v108
	ds_read_u16 v108, v106 offset:10242
	v_add3_u32 v104, v145, s17, v104
	s_mov_b32 s17, s16
	s_waitcnt lgkmcnt(0)
	v_bfe_u32 v106, v108, 4, 4
	v_mul_lo_u32 v201, v106, s1
	v_mov_b32_e32 v106, 0
	v_lshrrev_b32_sdwa v114, v167, v108 dst_sel:DWORD dst_unused:UNUSED_PAD src0_sel:DWORD src1_sel:BYTE_1
	v_dot4c_i32_i8_e32 v106, v198, v4
	v_mul_lo_u32 v209, v114, s1
	v_mov_b32_e32 v114, 0
	v_dot4c_i32_i8_e32 v106, v195, v5
	v_dot4c_i32_i8_e32 v114, v191, v0
	;; [unrolled: 1-line block ×5, first 2 shown]
	v_and_b32_e32 v211, 15, v108
	v_dot4c_i32_i8_e32 v114, v193, v2
	v_dot4c_i32_i8_e32 v114, v194, v3
	v_mul_lo_u32 v106, v211, v106
	v_and_b32_sdwa v212, v108, v168 dst_sel:DWORD dst_unused:UNUSED_PAD src0_sel:BYTE_1 src1_sel:DWORD
	v_dot4c_i32_i8_e32 v216, v201, v4
	v_mad_u64_u32 v[120:121], s[20:21], v212, v114, v[106:107]
	v_add_u32_e32 v106, s18, v139
	v_cvt_f32_i32_e32 v119, v120
	ds_read2_b32 v[120:121], v106 offset1:1
	v_dot4c_i32_i8_e32 v216, v201, v5
	v_dot4c_i32_i8_e32 v216, v201, v6
	;; [unrolled: 1-line block ×4, first 2 shown]
	s_waitcnt lgkmcnt(0)
	v_ashrrev_i32_e32 v114, s16, v120
	v_and_b32_e32 v208, 0x3030303, v114
	v_ashrrev_i32_e32 v114, s16, v121
	ds_read2_b32 v[120:121], v106 offset0:2 offset1:3
	v_and_b32_e32 v205, 0x3030303, v114
	v_dot4c_i32_i8_e32 v216, v209, v1
	v_dot4c_i32_i8_e32 v216, v209, v2
	;; [unrolled: 1-line block ×3, first 2 shown]
	s_waitcnt lgkmcnt(0)
	v_ashrrev_i32_e32 v114, s16, v120
	v_and_b32_e32 v206, 0x3030303, v114
	v_ashrrev_i32_e32 v114, s16, v121
	ds_read2_b32 v[120:121], v106 offset0:4 offset1:5
	v_and_b32_e32 v207, 0x3030303, v114
	v_cvt_f32_f16_e32 v108, v110
	v_cvt_f32_f16_sdwa v110, v110 dst_sel:DWORD dst_unused:UNUSED_PAD src0_sel:WORD_1
	s_waitcnt lgkmcnt(0)
	v_ashrrev_i32_e32 v114, s16, v120
	v_and_b32_e32 v179, 0x3030303, v114
	v_ashrrev_i32_e32 v114, s16, v121
	ds_read2_b32 v[120:121], v106 offset0:6 offset1:7
	v_and_b32_e32 v180, 0x3030303, v114
	s_waitcnt lgkmcnt(0)
	v_ashrrev_i32_e32 v106, s16, v120
	v_and_b32_e32 v181, 0x3030303, v106
	v_ashrrev_i32_e32 v106, s16, v121
	v_and_b32_e32 v182, 0x3030303, v106
	v_add_u32_e32 v106, s19, v140
	ds_read_b32 v106, v106
	ds_read_u16 v104, v104 offset:11266
	v_mov_b32_e32 v120, 0
	s_waitcnt lgkmcnt(0)
	v_bfe_u32 v114, v104, 4, 4
	v_mul_lo_u32 v210, v114, s1
	v_mov_b32_e32 v114, 0
	v_dot4c_i32_i8_e32 v114, v208, v4
	v_dot4c_i32_i8_e32 v217, v210, v4
	;; [unrolled: 1-line block ×4, first 2 shown]
	v_lshrrev_b32_sdwa v5, v167, v104 dst_sel:DWORD dst_unused:UNUSED_PAD src0_sel:DWORD src1_sel:BYTE_1
	v_mul_lo_u32 v200, v5, s1
	v_mov_b32_e32 v5, 0
	v_dot4c_i32_i8_e32 v217, v210, v6
	v_dot4c_i32_i8_e32 v5, v179, v0
	;; [unrolled: 1-line block ×6, first 2 shown]
	v_and_b32_e32 v213, 15, v104
	v_dot4c_i32_i8_e32 v217, v200, v0
	v_dot4c_i32_i8_e32 v5, v181, v2
	v_mul_lo_u32 v4, v213, v114
	v_dot4c_i32_i8_e32 v217, v200, v1
	v_dot4c_i32_i8_e32 v5, v182, v3
	v_and_b32_sdwa v204, v104, v168 dst_sel:DWORD dst_unused:UNUSED_PAD src0_sel:BYTE_1 src1_sel:DWORD
	v_dot4c_i32_i8_e32 v217, v200, v2
	v_dot4c_i32_i8_e32 v217, v200, v3
	v_mad_u64_u32 v[0:1], s[18:19], v204, v5, v[4:5]
	v_cvt_f32_i32_e32 v121, v0
	ds_read_b128 v[4:7], v11 offset:17920
	ds_read_b128 v[0:3], v11 offset:17936
	v_mov_b32_e32 v114, 0
	v_cvt_f32_f16_e32 v104, v106
	v_cvt_f32_f16_sdwa v106, v106 dst_sel:DWORD dst_unused:UNUSED_PAD src0_sel:WORD_1
	s_waitcnt lgkmcnt(1)
	v_dot4c_i32_i8_e32 v120, v174, v4
	v_dot4c_i32_i8_e32 v120, v174, v5
	;; [unrolled: 1-line block ×6, first 2 shown]
	s_waitcnt lgkmcnt(0)
	v_dot4c_i32_i8_e32 v214, v15, v0
	v_dot4c_i32_i8_e32 v114, v171, v6
	;; [unrolled: 1-line block ×8, first 2 shown]
	v_mul_lo_u32 v114, v114, v189
	v_dot4c_i32_i8_e32 v214, v169, v3
	v_dot4c_i32_i8_e32 v120, v187, v3
	s_nop 1
	v_mad_u64_u32 v[214:215], s[18:19], v214, v190, v[114:115]
	v_cvt_f32_i32_e32 v114, v214
	v_cvt_f32_i32_e32 v215, v116
	;; [unrolled: 1-line block ×3, first 2 shown]
	v_mov_b32_e32 v120, 0
	v_dot4c_i32_i8_e32 v120, v188, v4
	v_dot4c_i32_i8_e32 v120, v188, v5
	v_pk_mul_f32 v[214:215], v[10:11], v[214:215] op_sel_hi:[0,1]
	v_pk_fma_f32 v[214:215], v[8:9], v[114:115], v[214:215] op_sel_hi:[0,1,1] neg_lo:[0,0,1] neg_hi:[0,0,1]
	v_mov_b32_e32 v115, v112
	v_mov_b32_e32 v112, 0
	;; [unrolled: 1-line block ×3, first 2 shown]
	v_dot4c_i32_i8_e32 v112, v186, v4
	v_dot4c_i32_i8_e32 v120, v188, v6
	v_mov_b32_e32 v113, 0
	v_dot4c_i32_i8_e32 v112, v183, v5
	v_dot4c_i32_i8_e32 v120, v188, v7
	;; [unrolled: 1-line block ×10, first 2 shown]
	v_mul_lo_u32 v112, v112, v202
	v_dot4c_i32_i8_e32 v113, v178, v3
	v_dot4c_i32_i8_e32 v120, v199, v3
	v_pk_fma_f32 v[76:77], v[114:115], v[214:215], v[76:77]
	s_nop 0
	v_mad_u64_u32 v[112:113], s[18:19], v113, v203, v[112:113]
	v_cvt_f32_i32_e32 v116, v112
	v_cvt_f32_i32_e32 v113, v118
	;; [unrolled: 1-line block ×3, first 2 shown]
	v_pk_mul_f32 v[112:113], v[14:15], v[112:113] op_sel_hi:[0,1]
	v_pk_fma_f32 v[112:113], v[12:13], v[116:117], v[112:113] op_sel_hi:[0,1,1] neg_lo:[0,0,1] neg_hi:[0,0,1]
	v_mov_b32_e32 v116, 0
	v_dot4c_i32_i8_e32 v116, v201, v4
	v_pk_fma_f32 v[86:87], v[114:115], v[112:113], v[86:87]
	v_mov_b32_e32 v112, 0
	v_dot4c_i32_i8_e32 v116, v201, v5
	v_dot4c_i32_i8_e32 v112, v198, v4
	;; [unrolled: 1-line block ×3, first 2 shown]
	v_mov_b32_e32 v113, 0
	v_dot4c_i32_i8_e32 v112, v195, v5
	v_dot4c_i32_i8_e32 v116, v201, v7
	;; [unrolled: 1-line block ×10, first 2 shown]
	v_mul_lo_u32 v112, v112, v211
	v_dot4c_i32_i8_e32 v113, v194, v3
	v_dot4c_i32_i8_e32 v116, v209, v3
	v_mov_b32_e32 v117, 0
	s_nop 0
	v_mad_u64_u32 v[112:113], s[18:19], v113, v212, v[112:113]
	v_cvt_f32_i32_e32 v118, v112
	v_cvt_f32_i32_e32 v113, v216
	;; [unrolled: 1-line block ×3, first 2 shown]
	v_mov_b32_e32 v216, 0
	v_pk_mul_f32 v[112:113], v[110:111], v[112:113] op_sel_hi:[0,1]
	v_pk_fma_f32 v[112:113], v[108:109], v[118:119], v[112:113] op_sel_hi:[0,1,1] neg_lo:[0,0,1] neg_hi:[0,0,1]
	v_pk_fma_f32 v[72:73], v[114:115], v[112:113], v[72:73]
	v_mov_b32_e32 v113, 0
	v_mov_b32_e32 v112, 0
	v_dot4c_i32_i8_e32 v113, v210, v4
	v_dot4c_i32_i8_e32 v112, v208, v4
	;; [unrolled: 1-line block ×5, first 2 shown]
	v_mov_b32_e32 v5, 0
	v_dot4c_i32_i8_e32 v113, v210, v7
	v_dot4c_i32_i8_e32 v5, v179, v0
	;; [unrolled: 1-line block ×9, first 2 shown]
	v_mul_lo_u32 v4, v112, v213
	v_dot4c_i32_i8_e32 v5, v182, v3
	v_dot4c_i32_i8_e32 v113, v200, v3
	v_mov_b32_e32 v119, 0
	s_nop 0
	v_mad_u64_u32 v[0:1], s[18:19], v5, v204, v[4:5]
	v_cvt_f32_i32_e32 v120, v0
	v_cvt_f32_i32_e32 v1, v217
	;; [unrolled: 1-line block ×3, first 2 shown]
	v_mov_b32_e32 v217, 0
	v_pk_mul_f32 v[0:1], v[106:107], v[0:1] op_sel_hi:[0,1]
	v_pk_fma_f32 v[0:1], v[104:105], v[120:121], v[0:1] op_sel_hi:[0,1,1] neg_lo:[0,0,1] neg_hi:[0,0,1]
	v_pk_fma_f32 v[54:55], v[114:115], v[0:1], v[54:55]
	v_add_u32_e32 v0, 0x7600, v13
	ds_read2_b32 v[112:113], v0 offset0:104 offset1:136
	ds_read_b128 v[4:7], v11 offset:18944
	ds_read_b128 v[0:3], v11 offset:18960
	v_mov_b32_e32 v114, 0
	v_mov_b32_e32 v115, 0
	s_waitcnt lgkmcnt(1)
	v_dot4c_i32_i8_e32 v114, v173, v4
	v_dot4c_i32_i8_e32 v114, v170, v5
	s_waitcnt lgkmcnt(0)
	v_dot4c_i32_i8_e32 v115, v15, v0
	v_dot4c_i32_i8_e32 v114, v171, v6
	;; [unrolled: 1-line block ×7, first 2 shown]
	v_mul_lo_u32 v114, v114, v189
	v_dot4c_i32_i8_e32 v216, v188, v4
	v_mad_u64_u32 v[114:115], s[18:19], v115, v190, v[114:115]
	v_cvt_f32_i32_e32 v120, v114
	v_mov_b32_e32 v114, 0
	v_dot4c_i32_i8_e32 v114, v186, v4
	v_mov_b32_e32 v115, 0
	v_dot4c_i32_i8_e32 v114, v183, v5
	v_dot4c_i32_i8_e32 v115, v175, v0
	;; [unrolled: 1-line block ×8, first 2 shown]
	v_mul_lo_u32 v114, v114, v202
	v_dot4c_i32_i8_e32 v218, v210, v4
	v_mad_u64_u32 v[114:115], s[18:19], v115, v203, v[114:115]
	v_cvt_f32_i32_e32 v118, v114
	v_mov_b32_e32 v114, 0
	v_dot4c_i32_i8_e32 v114, v198, v4
	v_mov_b32_e32 v115, 0
	v_dot4c_i32_i8_e32 v114, v195, v5
	v_dot4c_i32_i8_e32 v115, v191, v0
	;; [unrolled: 1-line block ×8, first 2 shown]
	v_mul_lo_u32 v114, v114, v211
	v_dot4c_i32_i8_e32 v216, v188, v5
	v_mad_u64_u32 v[114:115], s[18:19], v115, v212, v[114:115]
	v_cvt_f32_i32_e32 v116, v114
	v_mov_b32_e32 v114, 0
	v_dot4c_i32_i8_e32 v114, v208, v4
	v_dot4c_i32_i8_e32 v217, v201, v5
	;; [unrolled: 1-line block ×4, first 2 shown]
	v_mov_b32_e32 v5, 0
	v_dot4c_i32_i8_e32 v117, v174, v6
	v_dot4c_i32_i8_e32 v216, v188, v6
	;; [unrolled: 1-line block ×20, first 2 shown]
	v_mul_lo_u32 v4, v114, v213
	v_dot4c_i32_i8_e32 v218, v200, v1
	v_dot4c_i32_i8_e32 v5, v182, v3
	;; [unrolled: 1-line block ×6, first 2 shown]
	v_mad_u64_u32 v[0:1], s[18:19], v5, v204, v[4:5]
	v_dot4c_i32_i8_e32 v117, v187, v3
	v_dot4c_i32_i8_e32 v216, v199, v3
	;; [unrolled: 1-line block ×4, first 2 shown]
	v_cvt_f32_i32_e32 v114, v0
	ds_read_b128 v[4:7], v11 offset:19968
	ds_read_b128 v[0:3], v11 offset:19984
	v_mov_b32_e32 v115, 0
	s_waitcnt lgkmcnt(1)
	v_dot4c_i32_i8_e32 v115, v173, v4
	v_dot4c_i32_i8_e32 v115, v170, v5
	v_dot4c_i32_i8_e32 v119, v174, v4
	v_dot4c_i32_i8_e32 v115, v171, v6
	v_dot4c_i32_i8_e32 v119, v174, v5
	v_dot4c_i32_i8_e32 v115, v172, v7
	v_dot4c_i32_i8_e32 v119, v174, v6
	v_dot4c_i32_i8_e32 v119, v174, v7
	s_waitcnt lgkmcnt(0)
	v_dot4c_i32_i8_e32 v119, v187, v0
	v_mul_lo_u32 v214, v115, v189
	v_mov_b32_e32 v115, 0
	v_dot4c_i32_i8_e32 v115, v15, v0
	v_dot4c_i32_i8_e32 v115, v122, v1
	;; [unrolled: 1-line block ×7, first 2 shown]
	s_nop 1
	v_mad_u64_u32 v[214:215], s[18:19], v115, v190, v[214:215]
	v_cvt_f32_i32_e32 v121, v214
	v_cvt_f32_i32_e32 v215, v119
	;; [unrolled: 1-line block ×3, first 2 shown]
	v_mov_b32_e32 v115, 0
	v_dot4c_i32_i8_e32 v115, v186, v4
	v_mov_b32_e32 v117, 0
	v_dot4c_i32_i8_e32 v115, v183, v5
	v_pk_mul_f32 v[214:215], v[10:11], v[214:215] op_sel_hi:[0,1]
	v_dot4c_i32_i8_e32 v117, v188, v4
	v_dot4c_i32_i8_e32 v115, v184, v6
	v_pk_fma_f32 v[120:121], v[8:9], v[120:121], v[214:215] op_sel_hi:[0,1,1] neg_lo:[0,0,1] neg_hi:[0,0,1]
	v_dot4c_i32_i8_e32 v117, v188, v5
	v_dot4c_i32_i8_e32 v115, v185, v7
	v_pk_fma_f32 v[38:39], v[112:113], v[120:121], v[38:39]
	v_dot4c_i32_i8_e32 v117, v188, v6
	v_dot4c_i32_i8_e32 v117, v188, v7
	v_mul_lo_u32 v120, v115, v202
	v_mov_b32_e32 v115, 0
	v_dot4c_i32_i8_e32 v115, v175, v0
	v_dot4c_i32_i8_e32 v117, v199, v0
	;; [unrolled: 1-line block ×8, first 2 shown]
	v_add_u32_e32 v214, 0x7800, v13
	v_mov_b32_e32 v215, 0
	v_mad_u64_u32 v[120:121], s[18:19], v115, v203, v[120:121]
	v_cvt_f32_i32_e32 v119, v120
	v_cvt_f32_i32_e32 v121, v117
	;; [unrolled: 1-line block ×3, first 2 shown]
	v_mov_b32_e32 v115, 0
	v_dot4c_i32_i8_e32 v115, v198, v4
	v_dot4c_i32_i8_e32 v115, v195, v5
	v_pk_mul_f32 v[120:121], v[14:15], v[120:121] op_sel_hi:[0,1]
	v_pk_fma_f32 v[118:119], v[12:13], v[118:119], v[120:121] op_sel_hi:[0,1,1] neg_lo:[0,0,1] neg_hi:[0,0,1]
	v_mov_b32_e32 v120, 0
	v_dot4c_i32_i8_e32 v120, v201, v4
	v_dot4c_i32_i8_e32 v115, v196, v6
	;; [unrolled: 1-line block ×4, first 2 shown]
	v_pk_fma_f32 v[36:37], v[112:113], v[118:119], v[36:37]
	v_dot4c_i32_i8_e32 v120, v201, v6
	v_dot4c_i32_i8_e32 v120, v201, v7
	v_mul_lo_u32 v118, v115, v211
	v_mov_b32_e32 v115, 0
	v_dot4c_i32_i8_e32 v115, v191, v0
	v_dot4c_i32_i8_e32 v120, v209, v0
	;; [unrolled: 1-line block ×8, first 2 shown]
	s_nop 1
	v_mad_u64_u32 v[118:119], s[18:19], v115, v212, v[118:119]
	v_cvt_f32_i32_e32 v117, v118
	v_cvt_f32_i32_e32 v119, v120
	;; [unrolled: 1-line block ×3, first 2 shown]
	v_mov_b32_e32 v115, 0
	v_dot4c_i32_i8_e32 v115, v208, v4
	v_dot4c_i32_i8_e32 v115, v205, v5
	v_pk_mul_f32 v[118:119], v[110:111], v[118:119] op_sel_hi:[0,1]
	v_pk_fma_f32 v[116:117], v[108:109], v[116:117], v[118:119] op_sel_hi:[0,1,1] neg_lo:[0,0,1] neg_hi:[0,0,1]
	v_pk_fma_f32 v[34:35], v[112:113], v[116:117], v[34:35]
	v_mov_b32_e32 v116, 0
	v_dot4c_i32_i8_e32 v116, v210, v4
	v_dot4c_i32_i8_e32 v116, v210, v5
	;; [unrolled: 1-line block ×3, first 2 shown]
	v_mov_b32_e32 v5, 0
	v_dot4c_i32_i8_e32 v116, v210, v7
	v_dot4c_i32_i8_e32 v5, v179, v0
	;; [unrolled: 1-line block ×9, first 2 shown]
	v_mul_lo_u32 v4, v115, v213
	v_dot4c_i32_i8_e32 v5, v182, v3
	v_dot4c_i32_i8_e32 v116, v200, v3
	v_mov_b32_e32 v117, 0
	v_mov_b32_e32 v119, 0
	v_mad_u64_u32 v[0:1], s[18:19], v5, v204, v[4:5]
	v_cvt_f32_i32_e32 v115, v0
	v_cvt_f32_i32_e32 v1, v116
	;; [unrolled: 1-line block ×3, first 2 shown]
	v_mov_b32_e32 v218, 0
	v_pk_mul_f32 v[0:1], v[106:107], v[0:1] op_sel_hi:[0,1]
	v_pk_fma_f32 v[0:1], v[104:105], v[114:115], v[0:1] op_sel_hi:[0,1,1] neg_lo:[0,0,1] neg_hi:[0,0,1]
	v_pk_fma_f32 v[32:33], v[112:113], v[0:1], v[32:33]
	ds_read2_b32 v[112:113], v214 offset0:40 offset1:72
	ds_read_b128 v[4:7], v11 offset:20992
	ds_read_b128 v[0:3], v11 offset:21008
	v_mov_b32_e32 v114, 0
	v_mov_b32_e32 v115, 0
	s_waitcnt lgkmcnt(1)
	v_dot4c_i32_i8_e32 v114, v173, v4
	v_dot4c_i32_i8_e32 v114, v170, v5
	s_waitcnt lgkmcnt(0)
	v_dot4c_i32_i8_e32 v115, v15, v0
	v_dot4c_i32_i8_e32 v114, v171, v6
	;; [unrolled: 1-line block ×7, first 2 shown]
	v_mul_lo_u32 v114, v114, v189
	v_dot4c_i32_i8_e32 v215, v188, v4
	v_mad_u64_u32 v[114:115], s[18:19], v115, v190, v[114:115]
	v_cvt_f32_i32_e32 v120, v114
	v_mov_b32_e32 v114, 0
	v_dot4c_i32_i8_e32 v114, v186, v4
	v_mov_b32_e32 v115, 0
	v_dot4c_i32_i8_e32 v114, v183, v5
	v_dot4c_i32_i8_e32 v115, v175, v0
	;; [unrolled: 1-line block ×8, first 2 shown]
	v_mul_lo_u32 v114, v114, v202
	v_dot4c_i32_i8_e32 v219, v210, v4
	v_mad_u64_u32 v[114:115], s[18:19], v115, v203, v[114:115]
	v_cvt_f32_i32_e32 v118, v114
	v_mov_b32_e32 v114, 0
	v_dot4c_i32_i8_e32 v114, v198, v4
	v_mov_b32_e32 v115, 0
	v_dot4c_i32_i8_e32 v114, v195, v5
	v_dot4c_i32_i8_e32 v115, v191, v0
	;; [unrolled: 1-line block ×8, first 2 shown]
	v_mul_lo_u32 v114, v114, v211
	v_dot4c_i32_i8_e32 v215, v188, v5
	v_mad_u64_u32 v[114:115], s[18:19], v115, v212, v[114:115]
	v_cvt_f32_i32_e32 v116, v114
	v_mov_b32_e32 v114, 0
	v_dot4c_i32_i8_e32 v114, v208, v4
	v_dot4c_i32_i8_e32 v218, v201, v5
	;; [unrolled: 1-line block ×4, first 2 shown]
	v_mov_b32_e32 v5, 0
	v_dot4c_i32_i8_e32 v117, v174, v6
	v_dot4c_i32_i8_e32 v215, v188, v6
	;; [unrolled: 1-line block ×20, first 2 shown]
	v_mul_lo_u32 v4, v114, v213
	v_dot4c_i32_i8_e32 v219, v200, v1
	v_dot4c_i32_i8_e32 v5, v182, v3
	;; [unrolled: 1-line block ×6, first 2 shown]
	v_mad_u64_u32 v[0:1], s[18:19], v5, v204, v[4:5]
	v_dot4c_i32_i8_e32 v117, v187, v3
	v_dot4c_i32_i8_e32 v215, v199, v3
	;; [unrolled: 1-line block ×4, first 2 shown]
	v_cvt_f32_i32_e32 v114, v0
	ds_read_b128 v[4:7], v11 offset:22016
	ds_read_b128 v[0:3], v11 offset:22032
	v_mov_b32_e32 v115, 0
	s_waitcnt lgkmcnt(1)
	v_dot4c_i32_i8_e32 v115, v173, v4
	v_dot4c_i32_i8_e32 v115, v170, v5
	;; [unrolled: 1-line block ×8, first 2 shown]
	s_waitcnt lgkmcnt(0)
	v_dot4c_i32_i8_e32 v119, v187, v0
	v_mul_lo_u32 v216, v115, v189
	v_mov_b32_e32 v115, 0
	v_dot4c_i32_i8_e32 v115, v15, v0
	v_dot4c_i32_i8_e32 v115, v122, v1
	;; [unrolled: 1-line block ×7, first 2 shown]
	s_nop 1
	v_mad_u64_u32 v[216:217], s[18:19], v115, v190, v[216:217]
	v_cvt_f32_i32_e32 v121, v216
	v_cvt_f32_i32_e32 v217, v119
	;; [unrolled: 1-line block ×3, first 2 shown]
	v_mov_b32_e32 v115, 0
	v_dot4c_i32_i8_e32 v115, v186, v4
	v_mov_b32_e32 v117, 0
	v_dot4c_i32_i8_e32 v115, v183, v5
	v_pk_mul_f32 v[216:217], v[10:11], v[216:217] op_sel_hi:[0,1]
	v_dot4c_i32_i8_e32 v117, v188, v4
	v_dot4c_i32_i8_e32 v115, v184, v6
	v_pk_fma_f32 v[120:121], v[8:9], v[120:121], v[216:217] op_sel_hi:[0,1,1] neg_lo:[0,0,1] neg_hi:[0,0,1]
	v_dot4c_i32_i8_e32 v117, v188, v5
	v_dot4c_i32_i8_e32 v115, v185, v7
	v_pk_fma_f32 v[30:31], v[112:113], v[120:121], v[30:31]
	v_dot4c_i32_i8_e32 v117, v188, v6
	v_dot4c_i32_i8_e32 v117, v188, v7
	v_mul_lo_u32 v120, v115, v202
	v_mov_b32_e32 v115, 0
	v_dot4c_i32_i8_e32 v115, v175, v0
	v_dot4c_i32_i8_e32 v117, v199, v0
	;; [unrolled: 1-line block ×8, first 2 shown]
	v_mov_b32_e32 v216, 0
	s_nop 0
	v_mad_u64_u32 v[120:121], s[18:19], v115, v203, v[120:121]
	v_cvt_f32_i32_e32 v119, v120
	v_cvt_f32_i32_e32 v121, v117
	;; [unrolled: 1-line block ×3, first 2 shown]
	v_mov_b32_e32 v115, 0
	v_dot4c_i32_i8_e32 v115, v198, v4
	v_dot4c_i32_i8_e32 v115, v195, v5
	v_pk_mul_f32 v[120:121], v[14:15], v[120:121] op_sel_hi:[0,1]
	v_pk_fma_f32 v[118:119], v[12:13], v[118:119], v[120:121] op_sel_hi:[0,1,1] neg_lo:[0,0,1] neg_hi:[0,0,1]
	v_mov_b32_e32 v120, 0
	v_dot4c_i32_i8_e32 v120, v201, v4
	v_dot4c_i32_i8_e32 v115, v196, v6
	;; [unrolled: 1-line block ×4, first 2 shown]
	v_pk_fma_f32 v[28:29], v[112:113], v[118:119], v[28:29]
	v_dot4c_i32_i8_e32 v120, v201, v6
	v_dot4c_i32_i8_e32 v120, v201, v7
	v_mul_lo_u32 v118, v115, v211
	v_mov_b32_e32 v115, 0
	v_dot4c_i32_i8_e32 v115, v191, v0
	v_dot4c_i32_i8_e32 v120, v209, v0
	;; [unrolled: 1-line block ×8, first 2 shown]
	v_mov_b32_e32 v215, 0
	s_nop 0
	v_mad_u64_u32 v[118:119], s[18:19], v115, v212, v[118:119]
	v_cvt_f32_i32_e32 v117, v118
	v_cvt_f32_i32_e32 v119, v120
	;; [unrolled: 1-line block ×3, first 2 shown]
	v_mov_b32_e32 v115, 0
	v_dot4c_i32_i8_e32 v115, v208, v4
	v_dot4c_i32_i8_e32 v115, v205, v5
	v_pk_mul_f32 v[118:119], v[110:111], v[118:119] op_sel_hi:[0,1]
	v_pk_fma_f32 v[116:117], v[108:109], v[116:117], v[118:119] op_sel_hi:[0,1,1] neg_lo:[0,0,1] neg_hi:[0,0,1]
	v_pk_fma_f32 v[26:27], v[112:113], v[116:117], v[26:27]
	v_mov_b32_e32 v116, 0
	v_dot4c_i32_i8_e32 v116, v210, v4
	v_dot4c_i32_i8_e32 v116, v210, v5
	;; [unrolled: 1-line block ×3, first 2 shown]
	v_mov_b32_e32 v5, 0
	v_dot4c_i32_i8_e32 v116, v210, v7
	v_dot4c_i32_i8_e32 v5, v179, v0
	;; [unrolled: 1-line block ×9, first 2 shown]
	v_mul_lo_u32 v4, v115, v213
	v_dot4c_i32_i8_e32 v5, v182, v3
	v_dot4c_i32_i8_e32 v116, v200, v3
	v_mov_b32_e32 v117, 0
	v_mov_b32_e32 v119, 0
	v_mad_u64_u32 v[0:1], s[18:19], v5, v204, v[4:5]
	v_cvt_f32_i32_e32 v115, v0
	v_cvt_f32_i32_e32 v1, v116
	;; [unrolled: 1-line block ×3, first 2 shown]
	v_pk_mul_f32 v[0:1], v[106:107], v[0:1] op_sel_hi:[0,1]
	v_pk_fma_f32 v[0:1], v[104:105], v[114:115], v[0:1] op_sel_hi:[0,1,1] neg_lo:[0,0,1] neg_hi:[0,0,1]
	v_pk_fma_f32 v[24:25], v[112:113], v[0:1], v[24:25]
	ds_read2_b32 v[112:113], v214 offset0:104 offset1:136
	ds_read_b128 v[4:7], v11 offset:23040
	ds_read_b128 v[0:3], v11 offset:23056
	v_mov_b32_e32 v114, 0
	v_mov_b32_e32 v115, 0
	;; [unrolled: 1-line block ×3, first 2 shown]
	s_waitcnt lgkmcnt(1)
	v_dot4c_i32_i8_e32 v114, v173, v4
	v_dot4c_i32_i8_e32 v114, v170, v5
	s_waitcnt lgkmcnt(0)
	v_dot4c_i32_i8_e32 v115, v15, v0
	v_dot4c_i32_i8_e32 v114, v171, v6
	;; [unrolled: 1-line block ×7, first 2 shown]
	v_mul_lo_u32 v114, v114, v189
	v_dot4c_i32_i8_e32 v215, v188, v4
	v_mad_u64_u32 v[114:115], s[18:19], v115, v190, v[114:115]
	v_cvt_f32_i32_e32 v120, v114
	v_mov_b32_e32 v114, 0
	v_dot4c_i32_i8_e32 v114, v186, v4
	v_mov_b32_e32 v115, 0
	v_dot4c_i32_i8_e32 v114, v183, v5
	v_dot4c_i32_i8_e32 v115, v175, v0
	;; [unrolled: 1-line block ×8, first 2 shown]
	v_mul_lo_u32 v114, v114, v202
	v_dot4c_i32_i8_e32 v214, v210, v4
	v_mad_u64_u32 v[114:115], s[18:19], v115, v203, v[114:115]
	v_cvt_f32_i32_e32 v118, v114
	v_mov_b32_e32 v114, 0
	v_dot4c_i32_i8_e32 v114, v198, v4
	v_mov_b32_e32 v115, 0
	v_dot4c_i32_i8_e32 v114, v195, v5
	v_dot4c_i32_i8_e32 v115, v191, v0
	;; [unrolled: 1-line block ×8, first 2 shown]
	v_mul_lo_u32 v114, v114, v211
	v_dot4c_i32_i8_e32 v215, v188, v5
	v_mad_u64_u32 v[114:115], s[18:19], v115, v212, v[114:115]
	v_cvt_f32_i32_e32 v116, v114
	v_mov_b32_e32 v114, 0
	v_dot4c_i32_i8_e32 v114, v208, v4
	v_dot4c_i32_i8_e32 v216, v201, v5
	v_dot4c_i32_i8_e32 v114, v205, v5
	v_dot4c_i32_i8_e32 v214, v210, v5
	v_mov_b32_e32 v5, 0
	v_dot4c_i32_i8_e32 v117, v174, v6
	v_dot4c_i32_i8_e32 v215, v188, v6
	;; [unrolled: 1-line block ×20, first 2 shown]
	v_mul_lo_u32 v4, v114, v213
	v_dot4c_i32_i8_e32 v214, v200, v1
	v_dot4c_i32_i8_e32 v5, v182, v3
	;; [unrolled: 1-line block ×6, first 2 shown]
	v_mad_u64_u32 v[0:1], s[18:19], v5, v204, v[4:5]
	v_dot4c_i32_i8_e32 v117, v187, v3
	v_dot4c_i32_i8_e32 v215, v199, v3
	;; [unrolled: 1-line block ×4, first 2 shown]
	v_cvt_f32_i32_e32 v114, v0
	ds_read_b128 v[4:7], v11 offset:24064
	ds_read_b128 v[0:3], v11 offset:24080
	v_mov_b32_e32 v115, 0
	s_waitcnt lgkmcnt(1)
	v_dot4c_i32_i8_e32 v115, v173, v4
	v_dot4c_i32_i8_e32 v115, v170, v5
	;; [unrolled: 1-line block ×8, first 2 shown]
	s_waitcnt lgkmcnt(0)
	v_dot4c_i32_i8_e32 v119, v187, v0
	v_mul_lo_u32 v170, v115, v189
	v_mov_b32_e32 v115, 0
	v_dot4c_i32_i8_e32 v115, v15, v0
	v_dot4c_i32_i8_e32 v115, v122, v1
	;; [unrolled: 1-line block ×7, first 2 shown]
	v_mov_b32_e32 v15, 0
	v_dot4c_i32_i8_e32 v15, v175, v0
	v_mad_u64_u32 v[122:123], s[18:19], v115, v190, v[170:171]
	v_cvt_f32_i32_e32 v121, v122
	v_cvt_f32_i32_e32 v123, v119
	v_cvt_f32_i32_e32 v122, v117
	v_dot4c_i32_i8_e32 v15, v176, v1
	v_dot4c_i32_i8_e32 v15, v177, v2
	;; [unrolled: 1-line block ×3, first 2 shown]
	v_pk_mul_f32 v[122:123], v[10:11], v[122:123] op_sel_hi:[0,1]
	v_mov_b32_e32 v10, 0
	v_dot4c_i32_i8_e32 v10, v188, v4
	v_pk_fma_f32 v[120:121], v[8:9], v[120:121], v[122:123] op_sel_hi:[0,1,1] neg_lo:[0,0,1] neg_hi:[0,0,1]
	v_mov_b32_e32 v8, 0
	v_dot4c_i32_i8_e32 v10, v188, v5
	v_dot4c_i32_i8_e32 v8, v186, v4
	;; [unrolled: 1-line block ×10, first 2 shown]
	v_pk_fma_f32 v[22:23], v[112:113], v[120:121], v[22:23]
	v_mul_lo_u32 v8, v8, v202
	v_dot4c_i32_i8_e32 v10, v199, v3
	v_mad_u64_u32 v[120:121], s[18:19], v15, v203, v[8:9]
	v_cvt_f32_i32_e32 v119, v120
	s_nop 0
	v_cvt_f32_i32_e32 v121, v10
	v_cvt_f32_i32_e32 v120, v215
	v_mov_b32_e32 v10, 0
	v_dot4c_i32_i8_e32 v10, v201, v4
	v_mov_b32_e32 v8, 0
	v_pk_mul_f32 v[14:15], v[14:15], v[120:121] op_sel_hi:[0,1]
	v_dot4c_i32_i8_e32 v10, v201, v5
	v_pk_fma_f32 v[14:15], v[12:13], v[118:119], v[14:15] op_sel_hi:[0,1,1] neg_lo:[0,0,1] neg_hi:[0,0,1]
	v_dot4c_i32_i8_e32 v8, v198, v4
	v_dot4c_i32_i8_e32 v10, v201, v6
	v_mov_b32_e32 v12, 0
	v_dot4c_i32_i8_e32 v8, v195, v5
	v_dot4c_i32_i8_e32 v10, v201, v7
	;; [unrolled: 1-line block ×10, first 2 shown]
	v_mul_lo_u32 v8, v8, v211
	v_dot4c_i32_i8_e32 v12, v194, v3
	v_pk_fma_f32 v[20:21], v[112:113], v[14:15], v[20:21]
	v_dot4c_i32_i8_e32 v10, v209, v3
	v_add_u32_e32 v13, 4, v13
	v_mad_u64_u32 v[14:15], s[18:19], v12, v212, v[8:9]
	s_nop 0
	v_cvt_f32_i32_e32 v15, v10
	v_mov_b32_e32 v10, 0
	v_mov_b32_e32 v8, 0
	v_dot4c_i32_i8_e32 v10, v210, v4
	v_dot4c_i32_i8_e32 v8, v208, v4
	;; [unrolled: 1-line block ×5, first 2 shown]
	v_mov_b32_e32 v5, 0
	v_dot4c_i32_i8_e32 v10, v210, v7
	v_dot4c_i32_i8_e32 v5, v179, v0
	;; [unrolled: 1-line block ×9, first 2 shown]
	v_mul_lo_u32 v4, v8, v213
	v_dot4c_i32_i8_e32 v5, v182, v3
	v_dot4c_i32_i8_e32 v10, v200, v3
	v_cvt_f32_i32_e32 v117, v14
	v_cvt_f32_i32_e32 v14, v216
	v_mad_u64_u32 v[0:1], s[18:19], v5, v204, v[4:5]
	v_cvt_f32_i32_e32 v115, v0
	v_cvt_f32_i32_e32 v1, v10
	;; [unrolled: 1-line block ×3, first 2 shown]
	v_pk_mul_f32 v[14:15], v[110:111], v[14:15] op_sel_hi:[0,1]
	v_pk_fma_f32 v[14:15], v[108:109], v[116:117], v[14:15] op_sel_hi:[0,1,1] neg_lo:[0,0,1] neg_hi:[0,0,1]
	v_pk_fma_f32 v[18:19], v[112:113], v[14:15], v[18:19]
	v_pk_mul_f32 v[0:1], v[106:107], v[0:1] op_sel_hi:[0,1]
	v_pk_fma_f32 v[0:1], v[104:105], v[114:115], v[0:1] op_sel_hi:[0,1,1] neg_lo:[0,0,1] neg_hi:[0,0,1]
	v_pk_fma_f32 v[16:17], v[112:113], v[0:1], v[16:17]
	v_add_u32_e32 v11, 32, v11
	s_cbranch_scc1 .LBB147_7
; %bb.8:                                ;   in Loop: Header=BB147_6 Depth=1
	v_add_u32_e32 v8, s14, v141
	v_add_u32_e32 v0, v8, v95
	;; [unrolled: 1-line block ×9, first 2 shown]
	v_mad_i64_i32 v[112:113], s[16:17], v8, 36, v[100:101]
	v_add_u32_e32 v8, 4, v9
	v_mad_i64_i32 v[0:1], s[16:17], v0, 36, v[100:101]
	v_mad_i64_i32 v[2:3], s[16:17], v2, 36, v[100:101]
	;; [unrolled: 1-line block ×4, first 2 shown]
	v_mad_u64_u32 v[114:115], s[16:17], v8, 36, s[2:3]
	s_barrier
	v_mad_i64_i32 v[10:11], s[16:17], v10, 36, v[100:101]
	v_mad_i64_i32 v[12:13], s[16:17], v12, 36, v[100:101]
	;; [unrolled: 1-line block ×3, first 2 shown]
	global_load_dword v8, v[114:115], off
	s_nop 0
	global_load_dword v0, v[0:1], off offset:4
	s_nop 0
	global_load_dword v1, v[2:3], off offset:4
	s_nop 0
	global_load_dword v2, v[4:5], off offset:4
	global_load_dword v3, v[6:7], off offset:4
	s_nop 0
	global_load_dword v4, v[10:11], off offset:4
	global_load_dword v5, v[12:13], off offset:4
	;; [unrolled: 1-line block ×4, first 2 shown]
	s_mov_b32 s15, 8
	s_mov_b32 s16, 0
	v_mov_b32_e32 v11, v158
	v_mov_b32_e32 v13, v157
	s_waitcnt vmcnt(8)
	v_cvt_f32_f16_e32 v8, v8
	s_waitcnt vmcnt(7)
	ds_write_b32 v99, v0
	s_waitcnt vmcnt(6)
	ds_write_b32 v105, v1
	;; [unrolled: 2-line block ×8, first 2 shown]
	ds_write_b32 v93, v8
	s_waitcnt lgkmcnt(0)
	s_barrier
.LBB147_9:                              ;   Parent Loop BB147_6 Depth=1
                                        ; =>  This Inner Loop Header: Depth=2
	s_add_i32 s17, s16, 8
	s_and_b32 s19, s17, 0x3ffffff8
	s_lshl_b32 s19, s19, 2
	v_add_u32_e32 v8, s19, v133
	ds_read2_b32 v[112:113], v13 offset1:32
	ds_read_b128 v[4:7], v11
	ds_read_b128 v[0:3], v11 offset:16
	ds_read2_b32 v[14:15], v8 offset1:1
	s_lshr_b32 s20, s17, 2
	s_and_b32 s18, s15, -16
	v_add_u32_e32 v104, s16, v146
	s_and_b32 s20, s20, 0x3ffffffc
	s_waitcnt lgkmcnt(0)
	v_ashrrev_i32_e32 v10, s16, v14
	v_and_b32_e32 v185, 0x3030303, v10
	v_ashrrev_i32_e32 v10, s16, v15
	ds_read2_b32 v[14:15], v8 offset0:2 offset1:3
	v_and_b32_e32 v182, 0x3030303, v10
	v_mov_b32_e32 v211, 0
	v_mov_b32_e32 v213, 0
	;; [unrolled: 1-line block ×3, first 2 shown]
	s_waitcnt lgkmcnt(0)
	v_ashrrev_i32_e32 v10, s16, v14
	v_and_b32_e32 v183, 0x3030303, v10
	v_ashrrev_i32_e32 v10, s16, v15
	ds_read2_b32 v[14:15], v8 offset0:4 offset1:5
	v_and_b32_e32 v184, 0x3030303, v10
	v_mov_b32_e32 v219, 0
	v_mov_b32_e32 v115, 0
	;; [unrolled: 1-line block ×3, first 2 shown]
	s_waitcnt lgkmcnt(0)
	v_ashrrev_i32_e32 v10, s16, v14
	v_and_b32_e32 v175, 0x3030303, v10
	v_ashrrev_i32_e32 v10, s16, v15
	ds_read2_b32 v[14:15], v8 offset0:6 offset1:7
	v_and_b32_e32 v176, 0x3030303, v10
	v_add_u32_e32 v10, s20, v134
	v_mov_b32_e32 v214, 0
	v_mov_b32_e32 v218, 0
	s_waitcnt lgkmcnt(0)
	v_ashrrev_i32_e32 v8, s16, v14
	v_and_b32_e32 v177, 0x3030303, v8
	v_ashrrev_i32_e32 v8, s16, v15
	v_and_b32_e32 v178, 0x3030303, v8
	v_add3_u32 v8, v156, s18, v104
	ds_read_b32 v10, v10
	ds_read_u16 v8, v8
	v_dot4c_i32_i8_e32 v115, v185, v4
	v_dot4c_i32_i8_e32 v115, v182, v5
	;; [unrolled: 1-line block ×3, first 2 shown]
	s_waitcnt lgkmcnt(1)
	v_cvt_f32_f16_sdwa v14, v10 dst_sel:DWORD dst_unused:UNUSED_PAD src0_sel:WORD_1
	s_waitcnt lgkmcnt(0)
	v_bfe_u32 v12, v8, 4, 4
	v_mul_lo_u32 v203, v12, s1
	v_and_b32_e32 v194, 15, v8
	v_lshrrev_b32_sdwa v12, v167, v8 dst_sel:DWORD dst_unused:UNUSED_PAD src0_sel:DWORD src1_sel:BYTE_1
	v_and_b32_sdwa v204, v8, v168 dst_sel:DWORD dst_unused:UNUSED_PAD src0_sel:BYTE_1 src1_sel:DWORD
	v_add_u32_e32 v8, s19, v135
	v_mul_lo_u32 v202, v12, s1
	v_mov_b32_e32 v12, 0
	ds_read2_b32 v[116:117], v8 offset1:1
	v_dot4c_i32_i8_e32 v12, v175, v0
	v_dot4c_i32_i8_e32 v12, v176, v1
	;; [unrolled: 1-line block ×7, first 2 shown]
	v_mul_lo_u32 v114, v204, v12
	v_cvt_f32_f16_e32 v12, v10
	s_waitcnt lgkmcnt(0)
	v_ashrrev_i32_e32 v10, s16, v116
	v_and_b32_e32 v199, 0x3030303, v10
	v_ashrrev_i32_e32 v10, s16, v117
	ds_read2_b32 v[116:117], v8 offset0:2 offset1:3
	v_and_b32_e32 v196, 0x3030303, v10
	v_dot4c_i32_i8_e32 v212, v199, v4
	v_dot4c_i32_i8_e32 v211, v203, v7
	v_dot4c_i32_i8_e32 v211, v202, v0
	s_waitcnt lgkmcnt(0)
	v_ashrrev_i32_e32 v10, s16, v116
	v_and_b32_e32 v197, 0x3030303, v10
	v_ashrrev_i32_e32 v10, s16, v117
	ds_read2_b32 v[116:117], v8 offset0:4 offset1:5
	v_and_b32_e32 v198, 0x3030303, v10
	v_dot4c_i32_i8_e32 v211, v202, v1
	v_dot4c_i32_i8_e32 v212, v196, v5
	;; [unrolled: 1-line block ×3, first 2 shown]
	s_waitcnt lgkmcnt(0)
	v_ashrrev_i32_e32 v10, s16, v116
	v_and_b32_e32 v189, 0x3030303, v10
	v_ashrrev_i32_e32 v10, s16, v117
	ds_read2_b32 v[116:117], v8 offset0:6 offset1:7
	v_and_b32_e32 v190, 0x3030303, v10
	v_add_u32_e32 v10, s20, v136
	v_dot4c_i32_i8_e32 v212, v197, v6
	v_dot4c_i32_i8_e32 v115, v184, v7
	s_waitcnt lgkmcnt(0)
	v_ashrrev_i32_e32 v8, s16, v116
	v_and_b32_e32 v191, 0x3030303, v8
	v_ashrrev_i32_e32 v8, s16, v117
	v_and_b32_e32 v192, 0x3030303, v8
	v_add3_u32 v8, v155, s18, v104
	ds_read_b32 v10, v10
	ds_read_u16 v8, v8
	v_dot4c_i32_i8_e32 v211, v202, v3
	v_dot4c_i32_i8_e32 v212, v198, v7
	v_mov_b32_e32 v220, 0
	s_waitcnt lgkmcnt(1)
	v_cvt_f32_f16_e32 v108, v10
	s_waitcnt lgkmcnt(0)
	v_bfe_u32 v15, v8, 4, 4
	v_mul_lo_u32 v201, v15, s1
	v_and_b32_e32 v207, 15, v8
	v_lshrrev_b32_sdwa v15, v167, v8 dst_sel:DWORD dst_unused:UNUSED_PAD src0_sel:DWORD src1_sel:BYTE_1
	v_and_b32_sdwa v210, v8, v168 dst_sel:DWORD dst_unused:UNUSED_PAD src0_sel:BYTE_1 src1_sel:DWORD
	v_add_u32_e32 v8, s19, v137
	ds_read2_b32 v[118:119], v8 offset1:1
	ds_read2_b32 v[120:121], v8 offset0:6 offset1:7
	v_cvt_f32_f16_sdwa v110, v10 dst_sel:DWORD dst_unused:UNUSED_PAD src0_sel:WORD_1
	v_mul_lo_u32 v209, v15, s1
	v_mov_b32_e32 v15, 0
	s_waitcnt lgkmcnt(1)
	v_ashrrev_i32_e32 v10, s16, v118
	v_and_b32_e32 v208, 0x3030303, v10
	v_ashrrev_i32_e32 v10, s16, v119
	ds_read2_b32 v[118:119], v8 offset0:2 offset1:3
	v_and_b32_e32 v122, 0x3030303, v10
	v_dot4c_i32_i8_e32 v15, v189, v0
	v_dot4c_i32_i8_e32 v15, v190, v1
	;; [unrolled: 1-line block ×3, first 2 shown]
	s_waitcnt lgkmcnt(0)
	v_ashrrev_i32_e32 v10, s16, v118
	v_and_b32_e32 v123, 0x3030303, v10
	v_ashrrev_i32_e32 v10, s16, v119
	ds_read2_b32 v[118:119], v8 offset0:4 offset1:5
	v_dot4c_i32_i8_e32 v15, v192, v3
	v_and_b32_e32 v169, 0x3030303, v10
	v_ashrrev_i32_e32 v8, s16, v120
	v_dot4c_i32_i8_e32 v213, v201, v4
	s_waitcnt lgkmcnt(0)
	v_ashrrev_i32_e32 v10, s16, v118
	v_mul_lo_u32 v116, v210, v15
	v_and_b32_e32 v15, 0x3030303, v10
	v_ashrrev_i32_e32 v10, s16, v119
	v_and_b32_e32 v119, 0x3030303, v8
	v_ashrrev_i32_e32 v8, s16, v121
	v_and_b32_e32 v117, 0x3030303, v10
	v_and_b32_e32 v121, 0x3030303, v8
	v_add3_u32 v8, v154, s18, v104
	v_add_u32_e32 v10, s20, v138
	ds_read_b32 v10, v10
	ds_read_u16 v8, v8
	v_add3_u32 v104, v153, s18, v104
	v_dot4c_i32_i8_e32 v213, v201, v5
	v_dot4c_i32_i8_e32 v214, v208, v4
	;; [unrolled: 1-line block ×3, first 2 shown]
	s_waitcnt lgkmcnt(0)
	v_bfe_u32 v106, v8, 4, 4
	v_mul_lo_u32 v174, v106, s1
	v_lshrrev_b32_sdwa v106, v167, v8 dst_sel:DWORD dst_unused:UNUSED_PAD src0_sel:DWORD src1_sel:BYTE_1
	v_mul_lo_u32 v193, v106, s1
	v_mov_b32_e32 v106, 0
	v_dot4c_i32_i8_e32 v106, v15, v0
	v_dot4c_i32_i8_e32 v106, v117, v1
	;; [unrolled: 1-line block ×4, first 2 shown]
	v_and_b32_sdwa v195, v8, v168 dst_sel:DWORD dst_unused:UNUSED_PAD src0_sel:BYTE_1 src1_sel:DWORD
	v_dot4c_i32_i8_e32 v215, v174, v4
	v_dot4c_i32_i8_e32 v215, v174, v5
	v_mul_lo_u32 v118, v195, v106
	v_add_u32_e32 v106, s19, v139
	ds_read2_b32 v[170:171], v106 offset1:1
	ds_read2_b32 v[172:173], v106 offset0:6 offset1:7
	v_dot4c_i32_i8_e32 v215, v174, v6
	v_dot4c_i32_i8_e32 v213, v201, v7
	;; [unrolled: 1-line block ×3, first 2 shown]
	s_waitcnt lgkmcnt(1)
	v_ashrrev_i32_e32 v120, s16, v170
	v_and_b32_e32 v187, 0x3030303, v120
	v_ashrrev_i32_e32 v120, s16, v171
	ds_read2_b32 v[170:171], v106 offset0:2 offset1:3
	v_and_b32_e32 v179, 0x3030303, v120
	v_dot4c_i32_i8_e32 v218, v187, v4
	v_dot4c_i32_i8_e32 v213, v209, v0
	;; [unrolled: 1-line block ×3, first 2 shown]
	s_waitcnt lgkmcnt(0)
	v_ashrrev_i32_e32 v120, s16, v170
	v_and_b32_e32 v180, 0x3030303, v120
	v_ashrrev_i32_e32 v120, s16, v171
	ds_read2_b32 v[170:171], v106 offset0:4 offset1:5
	v_ashrrev_i32_e32 v106, s16, v172
	v_and_b32_e32 v172, 0x3030303, v106
	v_ashrrev_i32_e32 v106, s16, v173
	v_and_b32_e32 v173, 0x3030303, v106
	v_add_u32_e32 v106, s20, v140
	ds_read_b32 v106, v106
	ds_read_u16 v104, v104
	v_and_b32_e32 v181, 0x3030303, v120
	s_waitcnt lgkmcnt(2)
	v_ashrrev_i32_e32 v120, s16, v170
	v_and_b32_e32 v170, 0x3030303, v120
	v_ashrrev_i32_e32 v120, s16, v171
	v_and_b32_e32 v171, 0x3030303, v120
	s_waitcnt lgkmcnt(0)
	v_bfe_u32 v120, v104, 4, 4
	v_mul_lo_u32 v188, v120, s1
	v_dot4c_i32_i8_e32 v219, v188, v4
	v_dot4c_i32_i8_e32 v219, v188, v5
	v_lshrrev_b32_sdwa v4, v167, v104 dst_sel:DWORD dst_unused:UNUSED_PAD src0_sel:DWORD src1_sel:BYTE_1
	v_dot4c_i32_i8_e32 v219, v188, v6
	v_mul_lo_u32 v205, v4, s1
	v_mov_b32_e32 v4, 0
	v_dot4c_i32_i8_e32 v219, v188, v7
	v_dot4c_i32_i8_e32 v4, v170, v0
	;; [unrolled: 1-line block ×16, first 2 shown]
	v_and_b32_sdwa v206, v104, v168 dst_sel:DWORD dst_unused:UNUSED_PAD src0_sel:BYTE_1 src1_sel:DWORD
	v_dot4c_i32_i8_e32 v213, v209, v3
	v_dot4c_i32_i8_e32 v214, v169, v7
	v_dot4c_i32_i8_e32 v215, v193, v3
	v_dot4c_i32_i8_e32 v218, v181, v7
	v_dot4c_i32_i8_e32 v219, v205, v3
	v_mul_lo_u32 v120, v206, v4
	ds_read_b128 v[4:7], v11 offset:1024
	ds_read_b128 v[0:3], v11 offset:1040
	v_mov_b32_e32 v216, 0
	v_mov_b32_e32 v217, 0
	v_mad_u64_u32 v[114:115], s[18:19], v194, v115, v[114:115]
	s_waitcnt lgkmcnt(1)
	v_dot4c_i32_i8_e32 v220, v203, v4
	v_dot4c_i32_i8_e32 v220, v203, v5
	;; [unrolled: 1-line block ×6, first 2 shown]
	s_waitcnt lgkmcnt(0)
	v_dot4c_i32_i8_e32 v217, v175, v0
	v_dot4c_i32_i8_e32 v216, v183, v6
	;; [unrolled: 1-line block ×8, first 2 shown]
	v_mul_lo_u32 v216, v216, v194
	v_dot4c_i32_i8_e32 v217, v178, v3
	v_dot4c_i32_i8_e32 v220, v202, v3
	v_cvt_f32_i32_e32 v115, v114
	v_cvt_f32_i32_e32 v213, v213
	v_mad_u64_u32 v[216:217], s[18:19], v217, v204, v[216:217]
	v_cvt_f32_i32_e32 v114, v216
	v_cvt_f32_i32_e32 v217, v211
	;; [unrolled: 1-line block ×3, first 2 shown]
	v_mov_b32_e32 v211, 0
	v_dot4c_i32_i8_e32 v211, v201, v4
	v_dot4c_i32_i8_e32 v211, v201, v5
	v_pk_mul_f32 v[216:217], v[14:15], v[216:217] op_sel_hi:[0,1]
	v_pk_fma_f32 v[216:217], v[12:13], v[114:115], v[216:217] op_sel_hi:[0,1,1] neg_lo:[0,0,1] neg_hi:[0,0,1]
	v_mov_b32_e32 v115, v112
	v_mov_b32_e32 v112, 0
	v_dot4c_i32_i8_e32 v211, v201, v6
	v_mov_b32_e32 v114, v113
	v_dot4c_i32_i8_e32 v112, v199, v4
	v_dot4c_i32_i8_e32 v211, v201, v7
	v_mov_b32_e32 v113, 0
	v_dot4c_i32_i8_e32 v112, v196, v5
	v_dot4c_i32_i8_e32 v113, v189, v0
	;; [unrolled: 1-line block ×10, first 2 shown]
	v_mul_lo_u32 v112, v112, v207
	v_dot4c_i32_i8_e32 v211, v209, v3
	v_pk_fma_f32 v[76:77], v[114:115], v[216:217], v[76:77]
	v_mad_u64_u32 v[112:113], s[18:19], v113, v210, v[112:113]
	v_mad_u64_u32 v[216:217], s[18:19], v207, v212, v[116:117]
	v_cvt_f32_i32_e32 v212, v211
	v_cvt_f32_i32_e32 v113, v216
	;; [unrolled: 1-line block ×3, first 2 shown]
	v_mov_b32_e32 v116, 0
	v_pk_mul_f32 v[212:213], v[110:111], v[212:213] op_sel_hi:[0,1]
	v_dot4c_i32_i8_e32 v116, v174, v4
	v_pk_fma_f32 v[112:113], v[108:109], v[112:113], v[212:213] op_sel_hi:[0,1,1] neg_lo:[0,0,1] neg_hi:[0,0,1]
	v_pk_fma_f32 v[86:87], v[114:115], v[112:113], v[86:87]
	v_mov_b32_e32 v112, 0
	v_dot4c_i32_i8_e32 v116, v174, v5
	v_dot4c_i32_i8_e32 v112, v208, v4
	v_dot4c_i32_i8_e32 v116, v174, v6
	v_mov_b32_e32 v113, 0
	v_dot4c_i32_i8_e32 v112, v122, v5
	v_dot4c_i32_i8_e32 v116, v174, v7
	;; [unrolled: 1-line block ×6, first 2 shown]
	v_and_b32_e32 v186, 15, v8
	v_dot4c_i32_i8_e32 v112, v169, v7
	v_dot4c_i32_i8_e32 v116, v193, v1
	;; [unrolled: 1-line block ×4, first 2 shown]
	v_mul_lo_u32 v112, v112, v186
	v_dot4c_i32_i8_e32 v113, v121, v3
	v_dot4c_i32_i8_e32 v116, v193, v3
	v_mad_u64_u32 v[212:213], s[18:19], v186, v214, v[118:119]
	s_nop 0
	v_mad_u64_u32 v[112:113], s[18:19], v113, v195, v[112:113]
	v_cvt_f32_f16_e32 v8, v10
	v_cvt_f32_f16_sdwa v10, v10 dst_sel:DWORD dst_unused:UNUSED_PAD src0_sel:WORD_1
	v_cvt_f32_i32_e32 v113, v212
	v_cvt_f32_i32_e32 v213, v215
	v_cvt_f32_i32_e32 v212, v116
	v_cvt_f32_i32_e32 v112, v112
	v_and_b32_e32 v200, 15, v104
	v_cvt_f32_f16_e32 v104, v106
	v_pk_mul_f32 v[212:213], v[10:11], v[212:213] op_sel_hi:[0,1]
	v_pk_fma_f32 v[112:113], v[8:9], v[112:113], v[212:213] op_sel_hi:[0,1,1] neg_lo:[0,0,1] neg_hi:[0,0,1]
	v_pk_fma_f32 v[72:73], v[114:115], v[112:113], v[72:73]
	v_mov_b32_e32 v113, 0
	v_mov_b32_e32 v112, 0
	v_dot4c_i32_i8_e32 v113, v188, v4
	v_dot4c_i32_i8_e32 v112, v187, v4
	;; [unrolled: 1-line block ×5, first 2 shown]
	v_mov_b32_e32 v5, 0
	v_dot4c_i32_i8_e32 v113, v188, v7
	v_dot4c_i32_i8_e32 v5, v170, v0
	;; [unrolled: 1-line block ×9, first 2 shown]
	v_mul_lo_u32 v4, v112, v200
	v_dot4c_i32_i8_e32 v5, v173, v3
	v_dot4c_i32_i8_e32 v113, v205, v3
	v_mad_u64_u32 v[2:3], s[18:19], v200, v218, v[120:121]
	s_nop 0
	v_mad_u64_u32 v[0:1], s[18:19], v5, v206, v[4:5]
	v_cvt_f32_f16_sdwa v106, v106 dst_sel:DWORD dst_unused:UNUSED_PAD src0_sel:WORD_1
	v_cvt_f32_i32_e32 v1, v2
	v_cvt_f32_i32_e32 v3, v219
	;; [unrolled: 1-line block ×4, first 2 shown]
	v_mov_b32_e32 v211, 0
	v_mov_b32_e32 v217, 0
	v_pk_mul_f32 v[2:3], v[106:107], v[2:3] op_sel_hi:[0,1]
	v_pk_fma_f32 v[0:1], v[104:105], v[0:1], v[2:3] op_sel_hi:[0,1,1] neg_lo:[0,0,1] neg_hi:[0,0,1]
	v_pk_fma_f32 v[54:55], v[114:115], v[0:1], v[54:55]
	ds_read2_b32 v[112:113], v13 offset0:64 offset1:96
	ds_read_b128 v[0:3], v11 offset:2048
	ds_read_b128 v[4:7], v11 offset:2064
	v_mov_b32_e32 v114, 0
	v_mov_b32_e32 v219, 0
	;; [unrolled: 1-line block ×3, first 2 shown]
	s_waitcnt lgkmcnt(1)
	v_dot4c_i32_i8_e32 v211, v203, v0
	s_waitcnt lgkmcnt(0)
	v_dot4c_i32_i8_e32 v114, v175, v4
	v_dot4c_i32_i8_e32 v114, v176, v5
	;; [unrolled: 1-line block ×7, first 2 shown]
	v_mul_lo_u32 v120, v114, v204
	v_mov_b32_e32 v114, 0
	v_dot4c_i32_i8_e32 v114, v189, v4
	v_dot4c_i32_i8_e32 v114, v190, v5
	;; [unrolled: 1-line block ×3, first 2 shown]
	v_mov_b32_e32 v115, 0
	v_dot4c_i32_i8_e32 v211, v203, v1
	v_mov_b32_e32 v216, 0
	v_dot4c_i32_i8_e32 v217, v201, v1
	v_dot4c_i32_i8_e32 v114, v192, v7
	v_mov_b32_e32 v218, 0
	v_dot4c_i32_i8_e32 v219, v174, v1
	v_mov_b32_e32 v220, 0
	v_dot4c_i32_i8_e32 v221, v188, v1
	v_dot4c_i32_i8_e32 v115, v185, v0
	;; [unrolled: 1-line block ×5, first 2 shown]
	v_mul_lo_u32 v118, v114, v210
	v_dot4c_i32_i8_e32 v218, v208, v0
	v_dot4c_i32_i8_e32 v219, v174, v2
	v_mov_b32_e32 v114, 0
	v_dot4c_i32_i8_e32 v220, v187, v0
	v_dot4c_i32_i8_e32 v221, v188, v2
	v_mov_b32_e32 v0, 0
	v_dot4c_i32_i8_e32 v211, v203, v3
	v_dot4c_i32_i8_e32 v217, v201, v3
	;; [unrolled: 1-line block ×38, first 2 shown]
	v_mul_lo_u32 v116, v114, v195
	v_dot4c_i32_i8_e32 v220, v181, v3
	v_dot4c_i32_i8_e32 v221, v205, v7
	v_mul_lo_u32 v114, v0, v206
	ds_read_b128 v[4:7], v11 offset:3072
	ds_read_b128 v[0:3], v11 offset:3088
	v_mov_b32_e32 v222, 0
	v_mov_b32_e32 v212, 0
	;; [unrolled: 1-line block ×3, first 2 shown]
	s_waitcnt lgkmcnt(1)
	v_dot4c_i32_i8_e32 v222, v203, v4
	v_dot4c_i32_i8_e32 v212, v185, v4
	;; [unrolled: 1-line block ×5, first 2 shown]
	s_waitcnt lgkmcnt(0)
	v_dot4c_i32_i8_e32 v213, v175, v0
	v_dot4c_i32_i8_e32 v212, v183, v6
	;; [unrolled: 1-line block ×4, first 2 shown]
	v_mad_u64_u32 v[214:215], s[18:19], v115, v194, v[120:121]
	v_mov_b32_e32 v115, 0
	v_dot4c_i32_i8_e32 v212, v184, v7
	v_dot4c_i32_i8_e32 v222, v202, v0
	;; [unrolled: 1-line block ×4, first 2 shown]
	v_mul_lo_u32 v212, v212, v194
	v_dot4c_i32_i8_e32 v222, v202, v1
	v_dot4c_i32_i8_e32 v213, v178, v3
	;; [unrolled: 1-line block ×5, first 2 shown]
	v_mad_u64_u32 v[212:213], s[18:19], v213, v204, v[212:213]
	v_dot4c_i32_i8_e32 v222, v202, v3
	v_cvt_f32_i32_e32 v213, v212
	v_cvt_f32_i32_e32 v212, v214
	;; [unrolled: 1-line block ×3, first 2 shown]
	v_mov_b32_e32 v211, 0
	v_dot4c_i32_i8_e32 v115, v198, v7
	v_cvt_f32_i32_e32 v215, v222
	v_dot4c_i32_i8_e32 v211, v201, v4
	v_dot4c_i32_i8_e32 v211, v201, v5
	v_mul_lo_u32 v120, v115, v207
	v_mov_b32_e32 v115, 0
	v_dot4c_i32_i8_e32 v115, v189, v0
	v_dot4c_i32_i8_e32 v211, v201, v6
	;; [unrolled: 1-line block ×5, first 2 shown]
	v_pk_mul_f32 v[214:215], v[14:15], v[214:215] op_sel_hi:[0,1]
	v_dot4c_i32_i8_e32 v211, v209, v0
	v_dot4c_i32_i8_e32 v115, v192, v3
	v_pk_fma_f32 v[212:213], v[12:13], v[212:213], v[214:215] op_sel_hi:[0,1,1] neg_lo:[0,0,1] neg_hi:[0,0,1]
	v_dot4c_i32_i8_e32 v211, v209, v1
	v_dot4c_i32_i8_e32 v211, v209, v2
	v_mad_u64_u32 v[214:215], s[18:19], v115, v210, v[120:121]
	v_mov_b32_e32 v115, 0
	v_dot4c_i32_i8_e32 v115, v208, v4
	v_pk_fma_f32 v[38:39], v[112:113], v[212:213], v[38:39]
	v_dot4c_i32_i8_e32 v211, v209, v3
	v_mad_u64_u32 v[212:213], s[18:19], v216, v207, v[118:119]
	v_dot4c_i32_i8_e32 v115, v122, v5
	v_cvt_f32_i32_e32 v213, v214
	v_cvt_f32_i32_e32 v215, v211
	;; [unrolled: 1-line block ×3, first 2 shown]
	v_dot4c_i32_i8_e32 v115, v123, v6
	v_cvt_f32_i32_e32 v212, v212
	v_dot4c_i32_i8_e32 v115, v169, v7
	v_pk_mul_f32 v[214:215], v[110:111], v[214:215] op_sel_hi:[0,1]
	v_mov_b32_e32 v120, 0
	v_pk_fma_f32 v[212:213], v[108:109], v[212:213], v[214:215] op_sel_hi:[0,1,1] neg_lo:[0,0,1] neg_hi:[0,0,1]
	v_mul_lo_u32 v118, v115, v186
	v_mov_b32_e32 v115, 0
	v_dot4c_i32_i8_e32 v115, v15, v0
	v_dot4c_i32_i8_e32 v115, v117, v1
	;; [unrolled: 1-line block ×3, first 2 shown]
	v_pk_fma_f32 v[36:37], v[112:113], v[212:213], v[36:37]
	v_dot4c_i32_i8_e32 v115, v121, v3
	v_mad_u64_u32 v[212:213], s[18:19], v218, v186, v[116:117]
	v_mov_b32_e32 v116, 0
	v_dot4c_i32_i8_e32 v120, v174, v4
	v_mad_u64_u32 v[214:215], s[18:19], v115, v195, v[118:119]
	v_mov_b32_e32 v115, 0
	v_dot4c_i32_i8_e32 v116, v188, v4
	v_dot4c_i32_i8_e32 v120, v174, v5
	;; [unrolled: 1-line block ×7, first 2 shown]
	v_mov_b32_e32 v5, 0
	v_dot4c_i32_i8_e32 v120, v174, v7
	v_dot4c_i32_i8_e32 v116, v188, v7
	;; [unrolled: 1-line block ×12, first 2 shown]
	v_mul_lo_u32 v4, v115, v200
	v_dot4c_i32_i8_e32 v116, v205, v2
	v_dot4c_i32_i8_e32 v5, v173, v3
	;; [unrolled: 1-line block ×4, first 2 shown]
	v_mad_u64_u32 v[0:1], s[18:19], v220, v200, v[114:115]
	v_mad_u64_u32 v[2:3], s[18:19], v5, v206, v[4:5]
	v_cvt_f32_i32_e32 v213, v214
	v_cvt_f32_i32_e32 v215, v120
	;; [unrolled: 1-line block ×8, first 2 shown]
	v_pk_mul_f32 v[214:215], v[10:11], v[214:215] op_sel_hi:[0,1]
	v_pk_mul_f32 v[2:3], v[106:107], v[2:3] op_sel_hi:[0,1]
	v_pk_fma_f32 v[212:213], v[8:9], v[212:213], v[214:215] op_sel_hi:[0,1,1] neg_lo:[0,0,1] neg_hi:[0,0,1]
	v_pk_fma_f32 v[0:1], v[104:105], v[0:1], v[2:3] op_sel_hi:[0,1,1] neg_lo:[0,0,1] neg_hi:[0,0,1]
	v_pk_fma_f32 v[34:35], v[112:113], v[212:213], v[34:35]
	v_pk_fma_f32 v[32:33], v[112:113], v[0:1], v[32:33]
	ds_read2_b32 v[112:113], v13 offset0:128 offset1:160
	ds_read_b128 v[0:3], v11 offset:4096
	ds_read_b128 v[4:7], v11 offset:4112
	v_mov_b32_e32 v114, 0
	v_mov_b32_e32 v211, 0
	;; [unrolled: 1-line block ×4, first 2 shown]
	s_waitcnt lgkmcnt(0)
	v_dot4c_i32_i8_e32 v114, v175, v4
	v_dot4c_i32_i8_e32 v114, v176, v5
	;; [unrolled: 1-line block ×4, first 2 shown]
	v_mov_b32_e32 v221, 0
	v_dot4c_i32_i8_e32 v211, v203, v0
	v_dot4c_i32_i8_e32 v217, v201, v0
	v_mul_lo_u32 v120, v114, v204
	v_mov_b32_e32 v114, 0
	v_dot4c_i32_i8_e32 v114, v189, v4
	v_dot4c_i32_i8_e32 v114, v190, v5
	;; [unrolled: 1-line block ×5, first 2 shown]
	v_mov_b32_e32 v115, 0
	v_dot4c_i32_i8_e32 v211, v203, v1
	v_mov_b32_e32 v216, 0
	v_dot4c_i32_i8_e32 v217, v201, v1
	v_dot4c_i32_i8_e32 v114, v192, v7
	v_mov_b32_e32 v218, 0
	v_dot4c_i32_i8_e32 v219, v174, v1
	v_mov_b32_e32 v220, 0
	v_dot4c_i32_i8_e32 v221, v188, v1
	v_dot4c_i32_i8_e32 v115, v185, v0
	;; [unrolled: 1-line block ×5, first 2 shown]
	v_mul_lo_u32 v118, v114, v210
	v_dot4c_i32_i8_e32 v218, v208, v0
	v_dot4c_i32_i8_e32 v219, v174, v2
	v_mov_b32_e32 v114, 0
	v_dot4c_i32_i8_e32 v220, v187, v0
	v_dot4c_i32_i8_e32 v221, v188, v2
	v_mov_b32_e32 v0, 0
	v_dot4c_i32_i8_e32 v211, v203, v3
	v_dot4c_i32_i8_e32 v217, v201, v3
	;; [unrolled: 1-line block ×38, first 2 shown]
	v_mul_lo_u32 v116, v114, v195
	v_dot4c_i32_i8_e32 v220, v181, v3
	v_dot4c_i32_i8_e32 v221, v205, v7
	v_mul_lo_u32 v114, v0, v206
	ds_read_b128 v[4:7], v11 offset:5120
	ds_read_b128 v[0:3], v11 offset:5136
	v_mov_b32_e32 v222, 0
	v_mov_b32_e32 v212, 0
	;; [unrolled: 1-line block ×3, first 2 shown]
	s_waitcnt lgkmcnt(1)
	v_dot4c_i32_i8_e32 v222, v203, v4
	v_dot4c_i32_i8_e32 v212, v185, v4
	;; [unrolled: 1-line block ×5, first 2 shown]
	s_waitcnt lgkmcnt(0)
	v_dot4c_i32_i8_e32 v213, v175, v0
	v_dot4c_i32_i8_e32 v212, v183, v6
	;; [unrolled: 1-line block ×4, first 2 shown]
	v_mad_u64_u32 v[214:215], s[18:19], v115, v194, v[120:121]
	v_mov_b32_e32 v115, 0
	v_dot4c_i32_i8_e32 v212, v184, v7
	v_dot4c_i32_i8_e32 v222, v202, v0
	;; [unrolled: 1-line block ×4, first 2 shown]
	v_mul_lo_u32 v212, v212, v194
	v_dot4c_i32_i8_e32 v222, v202, v1
	v_dot4c_i32_i8_e32 v213, v178, v3
	;; [unrolled: 1-line block ×5, first 2 shown]
	v_mad_u64_u32 v[212:213], s[18:19], v213, v204, v[212:213]
	v_dot4c_i32_i8_e32 v222, v202, v3
	v_cvt_f32_i32_e32 v213, v212
	v_cvt_f32_i32_e32 v212, v214
	;; [unrolled: 1-line block ×3, first 2 shown]
	v_mov_b32_e32 v211, 0
	v_dot4c_i32_i8_e32 v115, v198, v7
	v_cvt_f32_i32_e32 v215, v222
	v_dot4c_i32_i8_e32 v211, v201, v4
	v_dot4c_i32_i8_e32 v211, v201, v5
	v_mul_lo_u32 v120, v115, v207
	v_mov_b32_e32 v115, 0
	v_dot4c_i32_i8_e32 v115, v189, v0
	v_dot4c_i32_i8_e32 v211, v201, v6
	;; [unrolled: 1-line block ×5, first 2 shown]
	v_pk_mul_f32 v[214:215], v[14:15], v[214:215] op_sel_hi:[0,1]
	v_dot4c_i32_i8_e32 v211, v209, v0
	v_dot4c_i32_i8_e32 v115, v192, v3
	v_pk_fma_f32 v[212:213], v[12:13], v[212:213], v[214:215] op_sel_hi:[0,1,1] neg_lo:[0,0,1] neg_hi:[0,0,1]
	v_dot4c_i32_i8_e32 v211, v209, v1
	v_dot4c_i32_i8_e32 v211, v209, v2
	v_mad_u64_u32 v[214:215], s[18:19], v115, v210, v[120:121]
	v_mov_b32_e32 v115, 0
	v_dot4c_i32_i8_e32 v115, v208, v4
	v_pk_fma_f32 v[30:31], v[112:113], v[212:213], v[30:31]
	v_dot4c_i32_i8_e32 v211, v209, v3
	v_mad_u64_u32 v[212:213], s[18:19], v216, v207, v[118:119]
	v_dot4c_i32_i8_e32 v115, v122, v5
	v_cvt_f32_i32_e32 v213, v214
	v_cvt_f32_i32_e32 v215, v211
	;; [unrolled: 1-line block ×3, first 2 shown]
	v_dot4c_i32_i8_e32 v115, v123, v6
	v_cvt_f32_i32_e32 v212, v212
	v_dot4c_i32_i8_e32 v115, v169, v7
	v_pk_mul_f32 v[214:215], v[110:111], v[214:215] op_sel_hi:[0,1]
	v_mov_b32_e32 v120, 0
	v_pk_fma_f32 v[212:213], v[108:109], v[212:213], v[214:215] op_sel_hi:[0,1,1] neg_lo:[0,0,1] neg_hi:[0,0,1]
	v_mul_lo_u32 v118, v115, v186
	v_mov_b32_e32 v115, 0
	v_dot4c_i32_i8_e32 v115, v15, v0
	v_dot4c_i32_i8_e32 v115, v117, v1
	;; [unrolled: 1-line block ×3, first 2 shown]
	v_pk_fma_f32 v[28:29], v[112:113], v[212:213], v[28:29]
	v_dot4c_i32_i8_e32 v115, v121, v3
	v_mad_u64_u32 v[212:213], s[18:19], v218, v186, v[116:117]
	v_mov_b32_e32 v116, 0
	v_dot4c_i32_i8_e32 v120, v174, v4
	v_mad_u64_u32 v[214:215], s[18:19], v115, v195, v[118:119]
	v_mov_b32_e32 v115, 0
	v_dot4c_i32_i8_e32 v116, v188, v4
	v_dot4c_i32_i8_e32 v120, v174, v5
	v_dot4c_i32_i8_e32 v115, v187, v4
	v_dot4c_i32_i8_e32 v116, v188, v5
	v_dot4c_i32_i8_e32 v120, v174, v6
	v_dot4c_i32_i8_e32 v115, v179, v5
	v_dot4c_i32_i8_e32 v116, v188, v6
	v_mov_b32_e32 v5, 0
	v_dot4c_i32_i8_e32 v120, v174, v7
	v_dot4c_i32_i8_e32 v116, v188, v7
	;; [unrolled: 1-line block ×12, first 2 shown]
	v_mul_lo_u32 v4, v115, v200
	v_dot4c_i32_i8_e32 v116, v205, v2
	v_dot4c_i32_i8_e32 v5, v173, v3
	;; [unrolled: 1-line block ×4, first 2 shown]
	v_mad_u64_u32 v[0:1], s[18:19], v220, v200, v[114:115]
	v_mad_u64_u32 v[2:3], s[18:19], v5, v206, v[4:5]
	v_cvt_f32_i32_e32 v213, v214
	v_cvt_f32_i32_e32 v215, v120
	;; [unrolled: 1-line block ×8, first 2 shown]
	v_pk_mul_f32 v[214:215], v[10:11], v[214:215] op_sel_hi:[0,1]
	v_pk_mul_f32 v[2:3], v[106:107], v[2:3] op_sel_hi:[0,1]
	v_pk_fma_f32 v[212:213], v[8:9], v[212:213], v[214:215] op_sel_hi:[0,1,1] neg_lo:[0,0,1] neg_hi:[0,0,1]
	v_pk_fma_f32 v[0:1], v[104:105], v[0:1], v[2:3] op_sel_hi:[0,1,1] neg_lo:[0,0,1] neg_hi:[0,0,1]
	v_pk_fma_f32 v[26:27], v[112:113], v[212:213], v[26:27]
	v_pk_fma_f32 v[24:25], v[112:113], v[0:1], v[24:25]
	ds_read2_b32 v[112:113], v13 offset0:192 offset1:224
	ds_read_b128 v[0:3], v11 offset:6144
	ds_read_b128 v[4:7], v11 offset:6160
	v_mov_b32_e32 v114, 0
	v_mov_b32_e32 v215, 0
	;; [unrolled: 1-line block ×4, first 2 shown]
	s_waitcnt lgkmcnt(0)
	v_dot4c_i32_i8_e32 v114, v175, v4
	v_dot4c_i32_i8_e32 v114, v176, v5
	;; [unrolled: 1-line block ×4, first 2 shown]
	v_mov_b32_e32 v115, 0
	v_dot4c_i32_i8_e32 v215, v203, v0
	v_dot4c_i32_i8_e32 v217, v201, v0
	v_mul_lo_u32 v120, v114, v204
	v_mov_b32_e32 v114, 0
	v_dot4c_i32_i8_e32 v114, v189, v4
	v_dot4c_i32_i8_e32 v114, v190, v5
	;; [unrolled: 1-line block ×5, first 2 shown]
	v_mov_b32_e32 v214, 0
	v_dot4c_i32_i8_e32 v215, v203, v1
	v_mov_b32_e32 v216, 0
	v_dot4c_i32_i8_e32 v217, v201, v1
	v_dot4c_i32_i8_e32 v114, v192, v7
	v_mov_b32_e32 v213, 0
	v_dot4c_i32_i8_e32 v212, v174, v1
	v_mov_b32_e32 v211, 0
	v_dot4c_i32_i8_e32 v115, v188, v1
	v_dot4c_i32_i8_e32 v214, v185, v0
	;; [unrolled: 1-line block ×5, first 2 shown]
	v_mul_lo_u32 v118, v114, v210
	v_dot4c_i32_i8_e32 v213, v208, v0
	v_dot4c_i32_i8_e32 v212, v174, v2
	v_mov_b32_e32 v114, 0
	v_dot4c_i32_i8_e32 v211, v187, v0
	v_dot4c_i32_i8_e32 v115, v188, v2
	v_mov_b32_e32 v0, 0
	v_dot4c_i32_i8_e32 v215, v203, v3
	v_dot4c_i32_i8_e32 v217, v201, v3
	v_dot4c_i32_i8_e32 v212, v174, v3
	v_dot4c_i32_i8_e32 v114, v15, v4
	v_dot4c_i32_i8_e32 v115, v188, v3
	v_dot4c_i32_i8_e32 v0, v170, v4
	v_dot4c_i32_i8_e32 v215, v202, v4
	v_dot4c_i32_i8_e32 v217, v209, v4
	v_dot4c_i32_i8_e32 v212, v193, v4
	v_dot4c_i32_i8_e32 v114, v117, v5
	v_dot4c_i32_i8_e32 v115, v205, v4
	v_dot4c_i32_i8_e32 v0, v171, v5
	v_dot4c_i32_i8_e32 v214, v182, v1
	v_dot4c_i32_i8_e32 v215, v202, v5
	v_dot4c_i32_i8_e32 v216, v196, v1
	v_dot4c_i32_i8_e32 v217, v209, v5
	v_dot4c_i32_i8_e32 v213, v122, v1
	v_dot4c_i32_i8_e32 v212, v193, v5
	v_dot4c_i32_i8_e32 v114, v119, v6
	v_dot4c_i32_i8_e32 v211, v179, v1
	v_dot4c_i32_i8_e32 v115, v205, v5
	v_dot4c_i32_i8_e32 v0, v172, v6
	v_dot4c_i32_i8_e32 v214, v183, v2
	v_dot4c_i32_i8_e32 v215, v202, v6
	v_dot4c_i32_i8_e32 v216, v197, v2
	v_dot4c_i32_i8_e32 v217, v209, v6
	v_dot4c_i32_i8_e32 v213, v123, v2
	v_dot4c_i32_i8_e32 v212, v193, v6
	v_dot4c_i32_i8_e32 v114, v121, v7
	v_dot4c_i32_i8_e32 v211, v180, v2
	v_dot4c_i32_i8_e32 v115, v205, v6
	v_dot4c_i32_i8_e32 v0, v173, v7
	v_dot4c_i32_i8_e32 v214, v184, v3
	v_dot4c_i32_i8_e32 v215, v202, v7
	v_dot4c_i32_i8_e32 v216, v198, v3
	v_dot4c_i32_i8_e32 v217, v209, v7
	v_dot4c_i32_i8_e32 v213, v169, v3
	v_dot4c_i32_i8_e32 v212, v193, v7
	v_mul_lo_u32 v116, v114, v195
	v_dot4c_i32_i8_e32 v211, v181, v3
	v_dot4c_i32_i8_e32 v115, v205, v7
	v_mul_lo_u32 v114, v0, v206
	ds_read_b128 v[4:7], v11 offset:7168
	ds_read_b128 v[0:3], v11 offset:7184
	v_mov_b32_e32 v218, 0
	s_add_i32 s15, s15, 2
	s_add_i32 s16, s16, 2
	s_waitcnt lgkmcnt(1)
	v_dot4c_i32_i8_e32 v218, v185, v4
	v_mov_b32_e32 v185, 0
	v_dot4c_i32_i8_e32 v185, v203, v4
	v_dot4c_i32_i8_e32 v218, v182, v5
	;; [unrolled: 1-line block ×5, first 2 shown]
	v_mov_b32_e32 v183, 0
	v_dot4c_i32_i8_e32 v185, v203, v7
	s_waitcnt lgkmcnt(0)
	v_dot4c_i32_i8_e32 v183, v175, v0
	v_dot4c_i32_i8_e32 v185, v202, v0
	;; [unrolled: 1-line block ×7, first 2 shown]
	v_mul_lo_u32 v182, v218, v194
	v_dot4c_i32_i8_e32 v183, v178, v3
	v_dot4c_i32_i8_e32 v185, v202, v3
	v_mad_u64_u32 v[176:177], s[18:19], v214, v194, v[120:121]
	s_nop 0
	v_mad_u64_u32 v[182:183], s[18:19], v183, v204, v[182:183]
	v_cvt_f32_i32_e32 v177, v182
	v_cvt_f32_i32_e32 v183, v185
	;; [unrolled: 1-line block ×4, first 2 shown]
	v_mov_b32_e32 v120, 0
	v_dot4c_i32_i8_e32 v120, v189, v0
	v_pk_mul_f32 v[182:183], v[14:15], v[182:183] op_sel_hi:[0,1]
	v_mov_b32_e32 v14, 0
	v_dot4c_i32_i8_e32 v14, v201, v4
	v_pk_fma_f32 v[176:177], v[12:13], v[176:177], v[182:183] op_sel_hi:[0,1,1] neg_lo:[0,0,1] neg_hi:[0,0,1]
	v_mov_b32_e32 v12, 0
	v_dot4c_i32_i8_e32 v14, v201, v5
	v_dot4c_i32_i8_e32 v12, v199, v4
	;; [unrolled: 1-line block ×12, first 2 shown]
	v_mul_lo_u32 v12, v12, v207
	v_dot4c_i32_i8_e32 v120, v192, v3
	v_pk_fma_f32 v[22:23], v[112:113], v[176:177], v[22:23]
	v_dot4c_i32_i8_e32 v14, v209, v3
	v_mad_u64_u32 v[176:177], s[18:19], v216, v207, v[118:119]
	v_mad_u64_u32 v[182:183], s[18:19], v120, v210, v[12:13]
	v_cvt_f32_i32_e32 v177, v182
	v_cvt_f32_i32_e32 v183, v14
	;; [unrolled: 1-line block ×4, first 2 shown]
	v_mov_b32_e32 v12, 0
	v_dot4c_i32_i8_e32 v12, v208, v4
	v_pk_mul_f32 v[182:183], v[110:111], v[182:183] op_sel_hi:[0,1]
	v_pk_fma_f32 v[176:177], v[108:109], v[176:177], v[182:183] op_sel_hi:[0,1,1] neg_lo:[0,0,1] neg_hi:[0,0,1]
	v_mov_b32_e32 v108, 0
	v_dot4c_i32_i8_e32 v108, v174, v4
	v_dot4c_i32_i8_e32 v108, v174, v5
	v_dot4c_i32_i8_e32 v108, v174, v6
	v_mov_b32_e32 v110, 0
	v_dot4c_i32_i8_e32 v12, v122, v5
	v_dot4c_i32_i8_e32 v108, v174, v7
	;; [unrolled: 1-line block ×10, first 2 shown]
	v_mul_lo_u32 v12, v12, v186
	v_dot4c_i32_i8_e32 v110, v121, v3
	v_dot4c_i32_i8_e32 v108, v193, v3
	v_mad_u64_u32 v[14:15], s[18:19], v213, v186, v[116:117]
	s_nop 0
	v_mad_u64_u32 v[116:117], s[18:19], v110, v195, v[12:13]
	v_cvt_f32_i32_e32 v15, v116
	v_cvt_f32_i32_e32 v117, v108
	;; [unrolled: 1-line block ×4, first 2 shown]
	v_pk_fma_f32 v[20:21], v[112:113], v[176:177], v[20:21]
	v_add_u32_e32 v13, 4, v13
	v_pk_mul_f32 v[116:117], v[10:11], v[116:117] op_sel_hi:[0,1]
	v_mov_b32_e32 v10, 0
	v_pk_fma_f32 v[14:15], v[8:9], v[14:15], v[116:117] op_sel_hi:[0,1,1] neg_lo:[0,0,1] neg_hi:[0,0,1]
	v_mov_b32_e32 v8, 0
	v_dot4c_i32_i8_e32 v10, v188, v4
	v_dot4c_i32_i8_e32 v8, v187, v4
	;; [unrolled: 1-line block ×5, first 2 shown]
	v_mov_b32_e32 v5, 0
	v_dot4c_i32_i8_e32 v10, v188, v7
	v_dot4c_i32_i8_e32 v5, v170, v0
	;; [unrolled: 1-line block ×9, first 2 shown]
	v_mul_lo_u32 v4, v8, v200
	v_dot4c_i32_i8_e32 v5, v173, v3
	v_dot4c_i32_i8_e32 v10, v205, v3
	v_mad_u64_u32 v[0:1], s[18:19], v211, v200, v[114:115]
	s_nop 0
	v_mad_u64_u32 v[2:3], s[18:19], v5, v206, v[4:5]
	v_cvt_f32_i32_e32 v1, v2
	v_cvt_f32_i32_e32 v3, v10
	;; [unrolled: 1-line block ×4, first 2 shown]
	v_pk_fma_f32 v[18:19], v[112:113], v[14:15], v[18:19]
	v_add_u32_e32 v11, 32, v11
	v_pk_mul_f32 v[2:3], v[106:107], v[2:3] op_sel_hi:[0,1]
	v_pk_fma_f32 v[0:1], v[104:105], v[0:1], v[2:3] op_sel_hi:[0,1,1] neg_lo:[0,0,1] neg_hi:[0,0,1]
	v_pk_fma_f32 v[16:17], v[112:113], v[0:1], v[16:17]
	s_cmp_lt_u32 s17, 14
	s_cbranch_scc1 .LBB147_9
; %bb.10:                               ;   in Loop: Header=BB147_6 Depth=1
	s_or_b32 s15, s0, 1
	s_cmp_ge_i32 s15, s4
	s_barrier
	s_cbranch_scc1 .LBB147_5
; %bb.11:                               ;   in Loop: Header=BB147_6 Depth=1
	v_add_u32_e32 v8, s14, v142
	v_add_u32_e32 v0, v8, v95
	;; [unrolled: 1-line block ×9, first 2 shown]
	v_mad_i64_i32 v[112:113], s[16:17], v8, 36, v[100:101]
	v_add_u32_e32 v8, 8, v9
	v_mad_i64_i32 v[0:1], s[16:17], v0, 36, v[100:101]
	v_mad_i64_i32 v[2:3], s[16:17], v2, 36, v[100:101]
	;; [unrolled: 1-line block ×4, first 2 shown]
	v_mad_u64_u32 v[114:115], s[16:17], v8, 36, s[2:3]
	v_mad_i64_i32 v[10:11], s[16:17], v10, 36, v[100:101]
	v_mad_i64_i32 v[12:13], s[16:17], v12, 36, v[100:101]
	;; [unrolled: 1-line block ×3, first 2 shown]
	global_load_dword v8, v[114:115], off
	s_nop 0
	global_load_dword v0, v[0:1], off offset:4
	s_nop 0
	global_load_dword v1, v[2:3], off offset:4
	;; [unrolled: 2-line block ×3, first 2 shown]
	global_load_dword v3, v[6:7], off offset:4
	s_nop 0
	global_load_dword v4, v[10:11], off offset:4
	global_load_dword v5, v[12:13], off offset:4
	;; [unrolled: 1-line block ×4, first 2 shown]
	s_mov_b32 s15, 16
	s_mov_b32 s17, 14
	v_mov_b32_e32 v11, v158
	v_mov_b32_e32 v13, v157
	s_waitcnt vmcnt(8)
	v_cvt_f32_f16_e32 v8, v8
	s_waitcnt vmcnt(7)
	ds_write_b32 v99, v0
	s_waitcnt vmcnt(6)
	ds_write_b32 v105, v1
	;; [unrolled: 2-line block ×8, first 2 shown]
	ds_write_b32 v93, v8
	s_waitcnt lgkmcnt(0)
	s_barrier
.LBB147_12:                             ;   Parent Loop BB147_6 Depth=1
                                        ; =>  This Inner Loop Header: Depth=2
	s_add_i32 s16, s17, 2
	s_and_b32 s19, s16, 0x3ffffff8
	s_lshl_b32 s19, s19, 2
	v_add_u32_e32 v8, s19, v133
	ds_read2_b32 v[112:113], v13 offset1:32
	ds_read_b128 v[4:7], v11
	ds_read_b128 v[0:3], v11 offset:16
	ds_read2_b32 v[14:15], v8 offset1:1
	s_and_b32 s18, s15, -16
	v_add_u32_e32 v12, s18, v146
	s_add_i32 s18, s17, -14
	s_lshr_b32 s20, s16, 2
	s_waitcnt lgkmcnt(0)
	v_ashrrev_i32_e32 v10, s18, v14
	v_and_b32_e32 v184, 0x3030303, v10
	v_ashrrev_i32_e32 v10, s18, v15
	ds_read2_b32 v[14:15], v8 offset0:2 offset1:3
	v_and_b32_e32 v181, 0x3030303, v10
	s_and_b32 s20, s20, 0x3ffffffc
	v_mov_b32_e32 v201, 0
	v_mov_b32_e32 v203, 0
	s_waitcnt lgkmcnt(0)
	v_ashrrev_i32_e32 v10, s18, v14
	v_and_b32_e32 v182, 0x3030303, v10
	v_ashrrev_i32_e32 v10, s18, v15
	ds_read2_b32 v[14:15], v8 offset0:4 offset1:5
	v_and_b32_e32 v183, 0x3030303, v10
	v_mov_b32_e32 v211, 0
	v_mov_b32_e32 v215, 0
	;; [unrolled: 1-line block ×3, first 2 shown]
	s_waitcnt lgkmcnt(0)
	v_ashrrev_i32_e32 v10, s18, v14
	v_and_b32_e32 v177, 0x3030303, v10
	v_ashrrev_i32_e32 v10, s18, v15
	ds_read2_b32 v[14:15], v8 offset0:6 offset1:7
	v_and_b32_e32 v178, 0x3030303, v10
	v_add_u32_e32 v10, s20, v134
	v_mov_b32_e32 v202, 0
	v_mov_b32_e32 v209, 0
	s_waitcnt lgkmcnt(0)
	v_ashrrev_i32_e32 v8, s18, v14
	v_and_b32_e32 v179, 0x3030303, v8
	v_ashrrev_i32_e32 v8, s18, v15
	v_and_b32_e32 v180, 0x3030303, v8
	v_add3_u32 v8, v151, s17, v12
	ds_read_b32 v10, v10
	ds_read_u16 v114, v8 offset:25074
	v_mov_b32_e32 v214, 0
	v_dot4c_i32_i8_e32 v115, v184, v4
	v_mov_b32_e32 v206, 0
	s_waitcnt lgkmcnt(1)
	v_cvt_f32_f16_e32 v104, v10
	s_waitcnt lgkmcnt(0)
	v_bfe_u32 v8, v114, 4, 4
	v_mul_lo_u32 v190, v8, s1
	v_lshrrev_b32_sdwa v8, v167, v114 dst_sel:DWORD dst_unused:UNUSED_PAD src0_sel:DWORD src1_sel:BYTE_1
	v_mul_lo_u32 v197, v8, s1
	v_add_u32_e32 v8, s19, v135
	ds_read2_b32 v[14:15], v8 offset1:1
	v_cvt_f32_f16_sdwa v106, v10 dst_sel:DWORD dst_unused:UNUSED_PAD src0_sel:WORD_1
	v_dot4c_i32_i8_e32 v201, v190, v4
	v_dot4c_i32_i8_e32 v201, v190, v5
	;; [unrolled: 1-line block ×3, first 2 shown]
	s_waitcnt lgkmcnt(0)
	v_ashrrev_i32_e32 v10, s18, v14
	v_and_b32_e32 v194, 0x3030303, v10
	v_ashrrev_i32_e32 v10, s18, v15
	ds_read2_b32 v[14:15], v8 offset0:2 offset1:3
	v_and_b32_e32 v191, 0x3030303, v10
	v_dot4c_i32_i8_e32 v202, v194, v4
	v_dot4c_i32_i8_e32 v201, v190, v7
	v_mov_b32_e32 v212, 0
	s_waitcnt lgkmcnt(0)
	v_ashrrev_i32_e32 v10, s18, v14
	v_and_b32_e32 v192, 0x3030303, v10
	v_ashrrev_i32_e32 v10, s18, v15
	ds_read2_b32 v[14:15], v8 offset0:4 offset1:5
	v_and_b32_e32 v193, 0x3030303, v10
	v_mov_b32_e32 v213, 0
	v_mov_b32_e32 v216, 0
	v_dot4c_i32_i8_e32 v206, v177, v0
	s_waitcnt lgkmcnt(0)
	v_ashrrev_i32_e32 v10, s18, v14
	v_and_b32_e32 v186, 0x3030303, v10
	v_ashrrev_i32_e32 v10, s18, v15
	ds_read2_b32 v[14:15], v8 offset0:6 offset1:7
	v_and_b32_e32 v187, 0x3030303, v10
	v_add_u32_e32 v10, s20, v136
	v_dot4c_i32_i8_e32 v201, v197, v0
	v_dot4c_i32_i8_e32 v212, v186, v0
	s_waitcnt lgkmcnt(0)
	v_ashrrev_i32_e32 v8, s18, v14
	v_and_b32_e32 v188, 0x3030303, v8
	v_ashrrev_i32_e32 v8, s18, v15
	v_and_b32_e32 v189, 0x3030303, v8
	v_add3_u32 v8, v149, s17, v12
	ds_read_b32 v10, v10
	ds_read_u16 v200, v8 offset:26098
	v_dot4c_i32_i8_e32 v115, v181, v5
	v_dot4c_i32_i8_e32 v206, v178, v1
	;; [unrolled: 1-line block ×3, first 2 shown]
	s_waitcnt lgkmcnt(1)
	v_cvt_f32_f16_e32 v108, v10
	s_waitcnt lgkmcnt(0)
	v_bfe_u32 v8, v200, 4, 4
	v_mul_lo_u32 v196, v8, s1
	v_lshrrev_b32_sdwa v8, v167, v200 dst_sel:DWORD dst_unused:UNUSED_PAD src0_sel:DWORD src1_sel:BYTE_1
	v_mul_lo_u32 v199, v8, s1
	v_add_u32_e32 v8, s19, v137
	ds_read2_b32 v[14:15], v8 offset1:1
	ds_read2_b32 v[116:117], v8 offset0:4 offset1:5
	v_cvt_f32_f16_sdwa v110, v10 dst_sel:DWORD dst_unused:UNUSED_PAD src0_sel:WORD_1
	ds_read2_b32 v[122:123], v8 offset0:6 offset1:7
	v_dot4c_i32_i8_e32 v203, v196, v4
	s_waitcnt lgkmcnt(2)
	v_ashrrev_i32_e32 v10, s18, v14
	v_and_b32_e32 v198, 0x3030303, v10
	v_ashrrev_i32_e32 v10, s18, v15
	ds_read2_b32 v[14:15], v8 offset0:2 offset1:3
	v_and_b32_e32 v119, 0x3030303, v10
	s_waitcnt lgkmcnt(1)
	v_ashrrev_i32_e32 v8, s18, v122
	v_dot4c_i32_i8_e32 v203, v196, v5
	v_dot4c_i32_i8_e32 v203, v196, v6
	s_waitcnt lgkmcnt(0)
	v_ashrrev_i32_e32 v10, s18, v14
	v_and_b32_e32 v120, 0x3030303, v10
	v_ashrrev_i32_e32 v10, s18, v15
	v_and_b32_e32 v121, 0x3030303, v10
	;; [unrolled: 2-line block ×4, first 2 shown]
	v_and_b32_e32 v117, 0x3030303, v8
	v_ashrrev_i32_e32 v8, s18, v123
	v_add_u32_e32 v10, s20, v138
	v_add_u32_e32 v14, s19, v139
	v_and_b32_e32 v118, 0x3030303, v8
	v_add3_u32 v8, v147, s17, v12
	ds_read_b32 v10, v10
	ds_read_u16 v208, v8 offset:27122
	ds_read2_b32 v[122:123], v14 offset1:1
	ds_read2_b32 v[204:205], v14 offset0:6 offset1:7
	v_add3_u32 v12, v144, s17, v12
	v_dot4c_i32_i8_e32 v209, v198, v4
	s_waitcnt lgkmcnt(2)
	v_bfe_u32 v8, v208, 4, 4
	s_waitcnt lgkmcnt(1)
	v_ashrrev_i32_e32 v122, s18, v122
	v_and_b32_e32 v175, 0x3030303, v122
	v_ashrrev_i32_e32 v122, s18, v123
	v_and_b32_e32 v172, 0x3030303, v122
	ds_read2_b32 v[122:123], v14 offset0:2 offset1:3
	v_mul_lo_u32 v171, v8, s1
	v_dot4c_i32_i8_e32 v211, v171, v4
	v_dot4c_i32_i8_e32 v211, v171, v5
	;; [unrolled: 1-line block ×3, first 2 shown]
	s_waitcnt lgkmcnt(0)
	v_ashrrev_i32_e32 v122, s18, v122
	v_and_b32_e32 v173, 0x3030303, v122
	v_ashrrev_i32_e32 v122, s18, v123
	v_and_b32_e32 v174, 0x3030303, v122
	ds_read2_b32 v[122:123], v14 offset0:4 offset1:5
	v_ashrrev_i32_e32 v14, s18, v204
	v_and_b32_e32 v169, 0x3030303, v14
	v_ashrrev_i32_e32 v14, s18, v205
	v_and_b32_e32 v170, 0x3030303, v14
	v_add_u32_e32 v14, s20, v140
	ds_read_b32 v14, v14
	ds_read_u16 v210, v12 offset:28146
	v_lshrrev_b32_sdwa v8, v167, v208 dst_sel:DWORD dst_unused:UNUSED_PAD src0_sel:DWORD src1_sel:BYTE_1
	s_waitcnt lgkmcnt(2)
	v_ashrrev_i32_e32 v122, s18, v122
	v_dot4c_i32_i8_e32 v214, v175, v4
	v_dot4c_i32_i8_e32 v203, v196, v7
	s_waitcnt lgkmcnt(0)
	v_bfe_u32 v12, v210, 4, 4
	v_mul_lo_u32 v176, v12, s1
	v_dot4c_i32_i8_e32 v215, v176, v4
	v_dot4c_i32_i8_e32 v215, v176, v5
	;; [unrolled: 1-line block ×3, first 2 shown]
	v_lshrrev_b32_sdwa v4, v167, v210 dst_sel:DWORD dst_unused:UNUSED_PAD src0_sel:DWORD src1_sel:BYTE_1
	v_dot4c_i32_i8_e32 v211, v171, v7
	v_mul_lo_u32 v185, v8, s1
	v_and_b32_e32 v122, 0x3030303, v122
	v_ashrrev_i32_e32 v123, s18, v123
	v_dot4c_i32_i8_e32 v215, v176, v7
	v_mul_lo_u32 v195, v4, s1
	v_dot4c_i32_i8_e32 v203, v199, v0
	v_dot4c_i32_i8_e32 v213, v15, v0
	;; [unrolled: 1-line block ×3, first 2 shown]
	v_and_b32_e32 v123, 0x3030303, v123
	v_dot4c_i32_i8_e32 v216, v122, v0
	v_dot4c_i32_i8_e32 v215, v195, v0
	;; [unrolled: 1-line block ×35, first 2 shown]
	ds_read_b128 v[4:7], v11 offset:1024
	ds_read_b128 v[0:3], v11 offset:1040
	v_mov_b32_e32 v217, 0
	v_mov_b32_e32 v207, 0
	;; [unrolled: 1-line block ×3, first 2 shown]
	s_waitcnt lgkmcnt(1)
	v_dot4c_i32_i8_e32 v217, v190, v4
	v_dot4c_i32_i8_e32 v217, v190, v5
	;; [unrolled: 1-line block ×6, first 2 shown]
	s_waitcnt lgkmcnt(0)
	v_dot4c_i32_i8_e32 v218, v177, v0
	v_dot4c_i32_i8_e32 v207, v182, v6
	v_dot4c_i32_i8_e32 v217, v197, v0
	v_dot4c_i32_i8_e32 v218, v178, v1
	v_dot4c_i32_i8_e32 v207, v183, v7
	v_dot4c_i32_i8_e32 v217, v197, v1
	v_dot4c_i32_i8_e32 v218, v179, v2
	v_and_b32_e32 v205, 15, v114
	v_and_b32_sdwa v204, v114, v168 dst_sel:DWORD dst_unused:UNUSED_PAD src0_sel:BYTE_1 src1_sel:DWORD
	v_dot4c_i32_i8_e32 v217, v197, v2
	v_dot4c_i32_i8_e32 v218, v180, v3
	v_mul_lo_u32 v114, v204, v206
	v_mul_lo_u32 v206, v205, v207
                                        ; kill: def $vgpr207 killed $sgpr0 killed $exec
	v_dot4c_i32_i8_e32 v217, v197, v3
	v_mad_u64_u32 v[206:207], s[18:19], v204, v218, v[206:207]
	v_mad_u64_u32 v[114:115], s[18:19], v205, v115, v[114:115]
	v_cvt_f32_i32_e32 v115, v114
	v_cvt_f32_i32_e32 v114, v206
	;; [unrolled: 1-line block ×4, first 2 shown]
	v_mov_b32_e32 v217, 0
	v_dot4c_i32_i8_e32 v217, v196, v4
	v_dot4c_i32_i8_e32 v217, v196, v5
	v_pk_mul_f32 v[206:207], v[106:107], v[206:207] op_sel_hi:[0,1]
	v_pk_fma_f32 v[206:207], v[104:105], v[114:115], v[206:207] op_sel_hi:[0,1,1] neg_lo:[0,0,1] neg_hi:[0,0,1]
	v_mov_b32_e32 v114, v113
	v_mov_b32_e32 v113, 0
	v_dot4c_i32_i8_e32 v113, v194, v4
	v_dot4c_i32_i8_e32 v217, v196, v6
	v_mov_b32_e32 v201, 0
	v_dot4c_i32_i8_e32 v113, v191, v5
	v_dot4c_i32_i8_e32 v217, v196, v7
	;; [unrolled: 1-line block ×3, first 2 shown]
	v_mov_b32_e32 v115, v112
	v_dot4c_i32_i8_e32 v113, v192, v6
	v_dot4c_i32_i8_e32 v217, v199, v0
	;; [unrolled: 1-line block ×3, first 2 shown]
	v_pk_fma_f32 v[76:77], v[114:115], v[206:207], v[76:77]
	v_dot4c_i32_i8_e32 v113, v193, v7
	v_dot4c_i32_i8_e32 v217, v199, v1
	;; [unrolled: 1-line block ×3, first 2 shown]
	v_and_b32_e32 v207, 15, v200
	v_and_b32_sdwa v206, v200, v168 dst_sel:DWORD dst_unused:UNUSED_PAD src0_sel:BYTE_1 src1_sel:DWORD
	v_dot4c_i32_i8_e32 v217, v199, v2
	v_dot4c_i32_i8_e32 v201, v189, v3
	v_mul_lo_u32 v112, v206, v212
	v_mul_lo_u32 v200, v207, v113
                                        ; kill: def $vgpr113 killed $sgpr0 killed $exec
	v_dot4c_i32_i8_e32 v217, v199, v3
	v_mad_u64_u32 v[200:201], s[18:19], v206, v201, v[200:201]
	v_mad_u64_u32 v[112:113], s[18:19], v207, v202, v[112:113]
	v_cvt_f32_i32_e32 v113, v112
	v_cvt_f32_i32_e32 v112, v200
	;; [unrolled: 1-line block ×4, first 2 shown]
	v_mov_b32_e32 v212, 0
	v_dot4c_i32_i8_e32 v212, v171, v4
	v_dot4c_i32_i8_e32 v212, v171, v5
	v_pk_mul_f32 v[200:201], v[110:111], v[200:201] op_sel_hi:[0,1]
	v_pk_fma_f32 v[112:113], v[108:109], v[112:113], v[200:201] op_sel_hi:[0,1,1] neg_lo:[0,0,1] neg_hi:[0,0,1]
	v_pk_fma_f32 v[86:87], v[114:115], v[112:113], v[86:87]
	v_mov_b32_e32 v113, 0
	v_dot4c_i32_i8_e32 v113, v198, v4
	v_dot4c_i32_i8_e32 v212, v171, v6
	v_mov_b32_e32 v201, 0
	v_dot4c_i32_i8_e32 v113, v119, v5
	v_dot4c_i32_i8_e32 v212, v171, v7
	;; [unrolled: 1-line block ×9, first 2 shown]
	v_and_b32_e32 v203, 15, v208
	v_and_b32_sdwa v202, v208, v168 dst_sel:DWORD dst_unused:UNUSED_PAD src0_sel:BYTE_1 src1_sel:DWORD
	v_dot4c_i32_i8_e32 v212, v185, v2
	v_dot4c_i32_i8_e32 v201, v118, v3
	v_mul_lo_u32 v112, v202, v213
	v_mul_lo_u32 v200, v203, v113
                                        ; kill: def $vgpr113 killed $sgpr0 killed $exec
	v_dot4c_i32_i8_e32 v212, v185, v3
	v_mad_u64_u32 v[200:201], s[18:19], v202, v201, v[200:201]
	v_mad_u64_u32 v[112:113], s[18:19], v203, v209, v[112:113]
	v_cvt_f32_f16_e32 v8, v10
	v_cvt_f32_f16_sdwa v10, v10 dst_sel:DWORD dst_unused:UNUSED_PAD src0_sel:WORD_1
	v_cvt_f32_i32_e32 v113, v112
	v_cvt_f32_i32_e32 v112, v200
	;; [unrolled: 1-line block ×4, first 2 shown]
	v_cvt_f32_f16_e32 v12, v14
	v_cvt_f32_f16_sdwa v14, v14 dst_sel:DWORD dst_unused:UNUSED_PAD src0_sel:WORD_1
	v_mov_b32_e32 v212, 0
	v_pk_mul_f32 v[200:201], v[10:11], v[200:201] op_sel_hi:[0,1]
	v_pk_fma_f32 v[112:113], v[8:9], v[112:113], v[200:201] op_sel_hi:[0,1,1] neg_lo:[0,0,1] neg_hi:[0,0,1]
	v_pk_fma_f32 v[72:73], v[114:115], v[112:113], v[72:73]
	v_mov_b32_e32 v113, 0
	v_dot4c_i32_i8_e32 v113, v176, v4
	v_mov_b32_e32 v112, 0
	v_dot4c_i32_i8_e32 v113, v176, v5
	v_dot4c_i32_i8_e32 v112, v175, v4
	;; [unrolled: 1-line block ×3, first 2 shown]
	v_mov_b32_e32 v4, 0
	v_dot4c_i32_i8_e32 v112, v172, v5
	v_dot4c_i32_i8_e32 v113, v176, v7
	;; [unrolled: 1-line block ×9, first 2 shown]
	v_and_b32_e32 v201, 15, v210
	v_and_b32_sdwa v200, v210, v168 dst_sel:DWORD dst_unused:UNUSED_PAD src0_sel:BYTE_1 src1_sel:DWORD
	v_dot4c_i32_i8_e32 v113, v195, v2
	v_dot4c_i32_i8_e32 v4, v170, v3
	v_mul_lo_u32 v0, v200, v216
	v_mul_lo_u32 v2, v201, v112
                                        ; kill: def $vgpr1 killed $sgpr0 killed $exec
	v_dot4c_i32_i8_e32 v113, v195, v3
	v_mad_u64_u32 v[2:3], s[18:19], v200, v4, v[2:3]
	v_mad_u64_u32 v[0:1], s[18:19], v201, v214, v[0:1]
	v_cvt_f32_i32_e32 v1, v0
	v_cvt_f32_i32_e32 v0, v2
	;; [unrolled: 1-line block ×4, first 2 shown]
	v_mov_b32_e32 v210, 0
	v_mov_b32_e32 v215, 0
	;; [unrolled: 1-line block ×3, first 2 shown]
	v_pk_mul_f32 v[2:3], v[14:15], v[2:3] op_sel_hi:[0,1]
	v_pk_fma_f32 v[0:1], v[12:13], v[0:1], v[2:3] op_sel_hi:[0,1,1] neg_lo:[0,0,1] neg_hi:[0,0,1]
	v_pk_fma_f32 v[54:55], v[114:115], v[0:1], v[54:55]
	ds_read2_b32 v[112:113], v13 offset0:64 offset1:96
	ds_read_b128 v[0:3], v11 offset:2048
	ds_read_b128 v[4:7], v11 offset:2064
	v_mov_b32_e32 v115, 0
	v_mov_b32_e32 v208, 0
	;; [unrolled: 1-line block ×3, first 2 shown]
	s_waitcnt lgkmcnt(1)
	v_dot4c_i32_i8_e32 v210, v190, v0
	v_dot4c_i32_i8_e32 v212, v196, v0
	;; [unrolled: 1-line block ×14, first 2 shown]
	v_mov_b32_e32 v213, 0
	v_mov_b32_e32 v214, 0
	v_dot4c_i32_i8_e32 v215, v171, v3
	v_mov_b32_e32 v216, 0
	v_mov_b32_e32 v217, 0
	v_dot4c_i32_i8_e32 v218, v176, v3
	v_mov_b32_e32 v219, 0
	v_dot4c_i32_i8_e32 v115, v184, v0
	s_waitcnt lgkmcnt(0)
	v_dot4c_i32_i8_e32 v208, v177, v4
	v_dot4c_i32_i8_e32 v210, v197, v4
	;; [unrolled: 1-line block ×47, first 2 shown]
	ds_read_b128 v[4:7], v11 offset:3072
	ds_read_b128 v[0:3], v11 offset:3088
	v_mov_b32_e32 v220, 0
	v_mov_b32_e32 v114, 0
	;; [unrolled: 1-line block ×3, first 2 shown]
	s_waitcnt lgkmcnt(1)
	v_dot4c_i32_i8_e32 v220, v190, v4
	v_dot4c_i32_i8_e32 v220, v190, v5
	;; [unrolled: 1-line block ×6, first 2 shown]
	s_waitcnt lgkmcnt(0)
	v_dot4c_i32_i8_e32 v221, v177, v0
	v_dot4c_i32_i8_e32 v114, v182, v6
	;; [unrolled: 1-line block ×7, first 2 shown]
	v_mul_lo_u32 v208, v208, v204
                                        ; kill: def $vgpr209 killed $sgpr0 killed $exec
	v_dot4c_i32_i8_e32 v220, v197, v2
	v_dot4c_i32_i8_e32 v221, v180, v3
	v_mul_lo_u32 v114, v114, v205
	v_mad_u64_u32 v[208:209], s[18:19], v115, v205, v[208:209]
                                        ; kill: def $vgpr115 killed $sgpr0 killed $exec
	v_dot4c_i32_i8_e32 v220, v197, v3
	v_mad_u64_u32 v[114:115], s[18:19], v221, v204, v[114:115]
	v_cvt_f32_i32_e32 v115, v114
	v_cvt_f32_i32_e32 v114, v208
	;; [unrolled: 1-line block ×4, first 2 shown]
	v_mov_b32_e32 v210, 0
	v_dot4c_i32_i8_e32 v210, v196, v4
	v_dot4c_i32_i8_e32 v210, v196, v5
	v_pk_mul_f32 v[208:209], v[106:107], v[208:209] op_sel_hi:[0,1]
	v_pk_fma_f32 v[114:115], v[104:105], v[114:115], v[208:209] op_sel_hi:[0,1,1] neg_lo:[0,0,1] neg_hi:[0,0,1]
	v_pk_fma_f32 v[38:39], v[112:113], v[114:115], v[38:39]
	v_mov_b32_e32 v114, 0
	v_dot4c_i32_i8_e32 v114, v194, v4
	v_dot4c_i32_i8_e32 v210, v196, v6
	v_mov_b32_e32 v115, 0
	v_dot4c_i32_i8_e32 v114, v191, v5
	v_dot4c_i32_i8_e32 v210, v196, v7
	;; [unrolled: 1-line block ×11, first 2 shown]
	v_mul_lo_u32 v114, v114, v207
	v_mul_lo_u32 v208, v213, v206
                                        ; kill: def $vgpr209 killed $sgpr0 killed $exec
	v_dot4c_i32_i8_e32 v210, v199, v3
	v_mad_u64_u32 v[208:209], s[18:19], v211, v207, v[208:209]
	v_mad_u64_u32 v[114:115], s[18:19], v115, v206, v[114:115]
	v_cvt_f32_i32_e32 v115, v114
	v_cvt_f32_i32_e32 v114, v208
	;; [unrolled: 1-line block ×4, first 2 shown]
	v_mov_b32_e32 v210, 0
	v_dot4c_i32_i8_e32 v210, v171, v4
	v_dot4c_i32_i8_e32 v210, v171, v5
	v_pk_mul_f32 v[208:209], v[110:111], v[208:209] op_sel_hi:[0,1]
	v_pk_fma_f32 v[114:115], v[108:109], v[114:115], v[208:209] op_sel_hi:[0,1,1] neg_lo:[0,0,1] neg_hi:[0,0,1]
	v_pk_fma_f32 v[36:37], v[112:113], v[114:115], v[36:37]
	v_mov_b32_e32 v114, 0
	v_dot4c_i32_i8_e32 v114, v198, v4
	v_dot4c_i32_i8_e32 v210, v171, v6
	v_mov_b32_e32 v115, 0
	v_dot4c_i32_i8_e32 v114, v119, v5
	v_dot4c_i32_i8_e32 v210, v171, v7
	;; [unrolled: 1-line block ×11, first 2 shown]
	v_mul_lo_u32 v114, v114, v203
	v_mul_lo_u32 v208, v216, v202
                                        ; kill: def $vgpr209 killed $sgpr0 killed $exec
	v_dot4c_i32_i8_e32 v210, v185, v3
	v_mad_u64_u32 v[208:209], s[18:19], v214, v203, v[208:209]
	v_mad_u64_u32 v[114:115], s[18:19], v115, v202, v[114:115]
	v_cvt_f32_i32_e32 v115, v114
	v_cvt_f32_i32_e32 v114, v208
	;; [unrolled: 1-line block ×4, first 2 shown]
	v_mov_b32_e32 v210, 0
	v_mov_b32_e32 v212, 0
	;; [unrolled: 1-line block ×3, first 2 shown]
	v_pk_mul_f32 v[208:209], v[10:11], v[208:209] op_sel_hi:[0,1]
	v_pk_fma_f32 v[114:115], v[8:9], v[114:115], v[208:209] op_sel_hi:[0,1,1] neg_lo:[0,0,1] neg_hi:[0,0,1]
	v_pk_fma_f32 v[34:35], v[112:113], v[114:115], v[34:35]
	v_mov_b32_e32 v115, 0
	v_dot4c_i32_i8_e32 v115, v176, v4
	v_mov_b32_e32 v114, 0
	v_dot4c_i32_i8_e32 v115, v176, v5
	v_dot4c_i32_i8_e32 v114, v175, v4
	;; [unrolled: 1-line block ×3, first 2 shown]
	v_mov_b32_e32 v4, 0
	v_dot4c_i32_i8_e32 v114, v172, v5
	v_dot4c_i32_i8_e32 v115, v176, v7
	v_dot4c_i32_i8_e32 v4, v122, v0
	v_dot4c_i32_i8_e32 v114, v173, v6
	v_dot4c_i32_i8_e32 v115, v195, v0
	v_dot4c_i32_i8_e32 v4, v123, v1
	v_dot4c_i32_i8_e32 v114, v174, v7
	v_dot4c_i32_i8_e32 v115, v195, v1
	v_dot4c_i32_i8_e32 v4, v169, v2
	v_dot4c_i32_i8_e32 v115, v195, v2
	v_dot4c_i32_i8_e32 v4, v170, v3
	v_mul_lo_u32 v0, v114, v201
	v_mul_lo_u32 v2, v219, v200
                                        ; kill: def $vgpr1 killed $sgpr0 killed $exec
	v_dot4c_i32_i8_e32 v115, v195, v3
	v_mad_u64_u32 v[2:3], s[18:19], v217, v201, v[2:3]
	v_mad_u64_u32 v[0:1], s[18:19], v4, v200, v[0:1]
	v_cvt_f32_i32_e32 v1, v0
	v_cvt_f32_i32_e32 v0, v2
	;; [unrolled: 1-line block ×4, first 2 shown]
	v_mov_b32_e32 v218, 0
	v_mov_b32_e32 v115, 0
	;; [unrolled: 1-line block ×3, first 2 shown]
	v_pk_mul_f32 v[2:3], v[14:15], v[2:3] op_sel_hi:[0,1]
	v_pk_fma_f32 v[0:1], v[12:13], v[0:1], v[2:3] op_sel_hi:[0,1,1] neg_lo:[0,0,1] neg_hi:[0,0,1]
	v_pk_fma_f32 v[32:33], v[112:113], v[0:1], v[32:33]
	ds_read2_b32 v[112:113], v13 offset0:128 offset1:160
	ds_read_b128 v[0:3], v11 offset:4096
	ds_read_b128 v[4:7], v11 offset:4112
	v_mov_b32_e32 v211, 0
	v_mov_b32_e32 v213, 0
	;; [unrolled: 1-line block ×3, first 2 shown]
	s_waitcnt lgkmcnt(1)
	v_dot4c_i32_i8_e32 v210, v190, v0
	v_dot4c_i32_i8_e32 v212, v196, v0
	;; [unrolled: 1-line block ×15, first 2 shown]
	v_mov_b32_e32 v216, 0
	v_mov_b32_e32 v217, 0
	v_dot4c_i32_i8_e32 v218, v176, v3
	v_mov_b32_e32 v219, 0
	v_dot4c_i32_i8_e32 v115, v184, v0
	s_waitcnt lgkmcnt(0)
	v_dot4c_i32_i8_e32 v208, v177, v4
	v_dot4c_i32_i8_e32 v210, v197, v4
	;; [unrolled: 1-line block ×47, first 2 shown]
	ds_read_b128 v[4:7], v11 offset:5120
	ds_read_b128 v[0:3], v11 offset:5136
	v_mov_b32_e32 v220, 0
	v_mov_b32_e32 v114, 0
	;; [unrolled: 1-line block ×3, first 2 shown]
	s_waitcnt lgkmcnt(1)
	v_dot4c_i32_i8_e32 v220, v190, v4
	v_dot4c_i32_i8_e32 v220, v190, v5
	;; [unrolled: 1-line block ×6, first 2 shown]
	s_waitcnt lgkmcnt(0)
	v_dot4c_i32_i8_e32 v221, v177, v0
	v_dot4c_i32_i8_e32 v114, v182, v6
	;; [unrolled: 1-line block ×7, first 2 shown]
	v_mul_lo_u32 v208, v208, v204
                                        ; kill: def $vgpr209 killed $sgpr0 killed $exec
	v_dot4c_i32_i8_e32 v220, v197, v2
	v_dot4c_i32_i8_e32 v221, v180, v3
	v_mul_lo_u32 v114, v114, v205
	v_mad_u64_u32 v[208:209], s[18:19], v115, v205, v[208:209]
                                        ; kill: def $vgpr115 killed $sgpr0 killed $exec
	v_dot4c_i32_i8_e32 v220, v197, v3
	v_mad_u64_u32 v[114:115], s[18:19], v221, v204, v[114:115]
	v_cvt_f32_i32_e32 v115, v114
	v_cvt_f32_i32_e32 v114, v208
	;; [unrolled: 1-line block ×4, first 2 shown]
	v_mov_b32_e32 v210, 0
	v_dot4c_i32_i8_e32 v210, v196, v4
	v_dot4c_i32_i8_e32 v210, v196, v5
	v_pk_mul_f32 v[208:209], v[106:107], v[208:209] op_sel_hi:[0,1]
	v_pk_fma_f32 v[114:115], v[104:105], v[114:115], v[208:209] op_sel_hi:[0,1,1] neg_lo:[0,0,1] neg_hi:[0,0,1]
	v_pk_fma_f32 v[30:31], v[112:113], v[114:115], v[30:31]
	v_mov_b32_e32 v114, 0
	v_dot4c_i32_i8_e32 v114, v194, v4
	v_dot4c_i32_i8_e32 v210, v196, v6
	v_mov_b32_e32 v115, 0
	v_dot4c_i32_i8_e32 v114, v191, v5
	v_dot4c_i32_i8_e32 v210, v196, v7
	;; [unrolled: 1-line block ×11, first 2 shown]
	v_mul_lo_u32 v114, v114, v207
	v_mul_lo_u32 v208, v213, v206
                                        ; kill: def $vgpr209 killed $sgpr0 killed $exec
	v_dot4c_i32_i8_e32 v210, v199, v3
	v_mad_u64_u32 v[208:209], s[18:19], v211, v207, v[208:209]
	v_mad_u64_u32 v[114:115], s[18:19], v115, v206, v[114:115]
	v_cvt_f32_i32_e32 v115, v114
	v_cvt_f32_i32_e32 v114, v208
	;; [unrolled: 1-line block ×4, first 2 shown]
	v_mov_b32_e32 v210, 0
	v_dot4c_i32_i8_e32 v210, v171, v4
	v_dot4c_i32_i8_e32 v210, v171, v5
	v_pk_mul_f32 v[208:209], v[110:111], v[208:209] op_sel_hi:[0,1]
	v_pk_fma_f32 v[114:115], v[108:109], v[114:115], v[208:209] op_sel_hi:[0,1,1] neg_lo:[0,0,1] neg_hi:[0,0,1]
	v_pk_fma_f32 v[28:29], v[112:113], v[114:115], v[28:29]
	v_mov_b32_e32 v114, 0
	v_dot4c_i32_i8_e32 v114, v198, v4
	v_dot4c_i32_i8_e32 v210, v171, v6
	v_mov_b32_e32 v115, 0
	v_dot4c_i32_i8_e32 v114, v119, v5
	v_dot4c_i32_i8_e32 v210, v171, v7
	v_dot4c_i32_i8_e32 v115, v15, v0
	v_dot4c_i32_i8_e32 v114, v120, v6
	v_dot4c_i32_i8_e32 v210, v185, v0
	v_dot4c_i32_i8_e32 v115, v116, v1
	v_dot4c_i32_i8_e32 v114, v121, v7
	v_dot4c_i32_i8_e32 v210, v185, v1
	v_dot4c_i32_i8_e32 v115, v117, v2
	v_dot4c_i32_i8_e32 v210, v185, v2
	v_dot4c_i32_i8_e32 v115, v118, v3
	v_mul_lo_u32 v114, v114, v203
	v_mul_lo_u32 v208, v216, v202
                                        ; kill: def $vgpr209 killed $sgpr0 killed $exec
	v_dot4c_i32_i8_e32 v210, v185, v3
	v_mad_u64_u32 v[208:209], s[18:19], v214, v203, v[208:209]
	v_mad_u64_u32 v[114:115], s[18:19], v115, v202, v[114:115]
	v_cvt_f32_i32_e32 v115, v114
	v_cvt_f32_i32_e32 v114, v208
	;; [unrolled: 1-line block ×4, first 2 shown]
	v_mov_b32_e32 v212, 0
	v_mov_b32_e32 v215, 0
	;; [unrolled: 1-line block ×3, first 2 shown]
	v_pk_mul_f32 v[208:209], v[10:11], v[208:209] op_sel_hi:[0,1]
	v_pk_fma_f32 v[114:115], v[8:9], v[114:115], v[208:209] op_sel_hi:[0,1,1] neg_lo:[0,0,1] neg_hi:[0,0,1]
	v_pk_fma_f32 v[26:27], v[112:113], v[114:115], v[26:27]
	v_mov_b32_e32 v115, 0
	v_dot4c_i32_i8_e32 v115, v176, v4
	v_mov_b32_e32 v114, 0
	v_dot4c_i32_i8_e32 v115, v176, v5
	v_dot4c_i32_i8_e32 v114, v175, v4
	;; [unrolled: 1-line block ×3, first 2 shown]
	v_mov_b32_e32 v4, 0
	v_dot4c_i32_i8_e32 v114, v172, v5
	v_dot4c_i32_i8_e32 v115, v176, v7
	;; [unrolled: 1-line block ×11, first 2 shown]
	v_mul_lo_u32 v0, v114, v201
	v_mul_lo_u32 v2, v219, v200
                                        ; kill: def $vgpr1 killed $sgpr0 killed $exec
	v_dot4c_i32_i8_e32 v115, v195, v3
	v_mad_u64_u32 v[2:3], s[18:19], v217, v201, v[2:3]
	v_mad_u64_u32 v[0:1], s[18:19], v4, v200, v[0:1]
	v_cvt_f32_i32_e32 v1, v0
	v_cvt_f32_i32_e32 v0, v2
	;; [unrolled: 1-line block ×4, first 2 shown]
	v_mov_b32_e32 v208, 0
	v_mov_b32_e32 v114, 0
	;; [unrolled: 1-line block ×3, first 2 shown]
	v_pk_mul_f32 v[2:3], v[14:15], v[2:3] op_sel_hi:[0,1]
	v_pk_fma_f32 v[0:1], v[12:13], v[0:1], v[2:3] op_sel_hi:[0,1,1] neg_lo:[0,0,1] neg_hi:[0,0,1]
	v_pk_fma_f32 v[24:25], v[112:113], v[0:1], v[24:25]
	ds_read2_b32 v[112:113], v13 offset0:192 offset1:224
	ds_read_b128 v[0:3], v11 offset:6144
	ds_read_b128 v[4:7], v11 offset:6160
	v_mov_b32_e32 v214, 0
	v_mov_b32_e32 v216, 0
	;; [unrolled: 1-line block ×3, first 2 shown]
	s_waitcnt lgkmcnt(1)
	v_dot4c_i32_i8_e32 v212, v190, v0
	v_dot4c_i32_i8_e32 v215, v196, v0
	;; [unrolled: 1-line block ×15, first 2 shown]
	v_mov_b32_e32 v217, 0
	v_mov_b32_e32 v115, 0
	v_dot4c_i32_i8_e32 v114, v176, v3
	v_mov_b32_e32 v209, 0
	v_dot4c_i32_i8_e32 v211, v184, v0
	s_waitcnt lgkmcnt(0)
	v_dot4c_i32_i8_e32 v213, v177, v4
	v_dot4c_i32_i8_e32 v212, v197, v4
	;; [unrolled: 1-line block ×47, first 2 shown]
	ds_read_b128 v[4:7], v11 offset:7168
	ds_read_b128 v[0:3], v11 offset:7184
	v_mov_b32_e32 v218, 0
	s_add_i32 s15, s15, 2
	s_cmp_lt_u32 s16, 22
	s_waitcnt lgkmcnt(1)
	v_dot4c_i32_i8_e32 v218, v184, v4
	v_mov_b32_e32 v184, 0
	v_dot4c_i32_i8_e32 v184, v190, v4
	v_dot4c_i32_i8_e32 v218, v181, v5
	;; [unrolled: 1-line block ×5, first 2 shown]
	v_mov_b32_e32 v182, 0
	v_dot4c_i32_i8_e32 v184, v190, v7
	s_waitcnt lgkmcnt(0)
	v_dot4c_i32_i8_e32 v182, v177, v0
	v_dot4c_i32_i8_e32 v184, v197, v0
	;; [unrolled: 1-line block ×8, first 2 shown]
	v_mul_lo_u32 v178, v218, v205
	v_mul_lo_u32 v180, v213, v204
	v_dot4c_i32_i8_e32 v184, v197, v3
	v_mad_u64_u32 v[180:181], s[18:19], v211, v205, v[180:181]
	v_mad_u64_u32 v[178:179], s[18:19], v182, v204, v[178:179]
	v_cvt_f32_i32_e32 v179, v178
	v_cvt_f32_i32_e32 v178, v180
	;; [unrolled: 1-line block ×4, first 2 shown]
	v_mov_b32_e32 v177, 0
	v_dot4c_i32_i8_e32 v177, v196, v4
	v_dot4c_i32_i8_e32 v177, v196, v5
	v_pk_mul_f32 v[180:181], v[106:107], v[180:181] op_sel_hi:[0,1]
	v_pk_fma_f32 v[178:179], v[104:105], v[178:179], v[180:181] op_sel_hi:[0,1,1] neg_lo:[0,0,1] neg_hi:[0,0,1]
	v_mov_b32_e32 v104, 0
	v_dot4c_i32_i8_e32 v104, v194, v4
	v_dot4c_i32_i8_e32 v177, v196, v6
	v_mov_b32_e32 v180, 0
	v_dot4c_i32_i8_e32 v104, v191, v5
	v_dot4c_i32_i8_e32 v177, v196, v7
	;; [unrolled: 1-line block ×11, first 2 shown]
	v_mul_lo_u32 v104, v104, v207
	v_mul_lo_u32 v106, v216, v206
	v_pk_fma_f32 v[22:23], v[112:113], v[178:179], v[22:23]
	v_dot4c_i32_i8_e32 v177, v199, v3
	v_mad_u64_u32 v[178:179], s[18:19], v214, v207, v[106:107]
	v_mad_u64_u32 v[180:181], s[18:19], v180, v206, v[104:105]
	v_cvt_f32_i32_e32 v179, v180
	v_cvt_f32_i32_e32 v181, v177
	;; [unrolled: 1-line block ×4, first 2 shown]
	v_mov_b32_e32 v104, 0
	v_dot4c_i32_i8_e32 v104, v198, v4
	v_pk_mul_f32 v[180:181], v[110:111], v[180:181] op_sel_hi:[0,1]
	v_pk_fma_f32 v[178:179], v[108:109], v[178:179], v[180:181] op_sel_hi:[0,1,1] neg_lo:[0,0,1] neg_hi:[0,0,1]
	v_mov_b32_e32 v108, 0
	v_dot4c_i32_i8_e32 v108, v171, v4
	v_dot4c_i32_i8_e32 v108, v171, v5
	;; [unrolled: 1-line block ×3, first 2 shown]
	v_mov_b32_e32 v110, 0
	v_dot4c_i32_i8_e32 v104, v119, v5
	v_dot4c_i32_i8_e32 v108, v171, v7
	;; [unrolled: 1-line block ×11, first 2 shown]
	v_mul_lo_u32 v104, v104, v203
	v_mul_lo_u32 v106, v217, v202
	v_dot4c_i32_i8_e32 v108, v185, v3
	v_mad_u64_u32 v[116:117], s[18:19], v210, v203, v[106:107]
	v_mad_u64_u32 v[118:119], s[18:19], v110, v202, v[104:105]
	v_cvt_f32_i32_e32 v117, v118
	v_cvt_f32_i32_e32 v119, v108
	;; [unrolled: 1-line block ×4, first 2 shown]
                                        ; kill: def $vgpr15 killed $sgpr0 killed $exec
	v_pk_fma_f32 v[20:21], v[112:113], v[178:179], v[20:21]
	s_mov_b32 s17, s16
	v_pk_mul_f32 v[118:119], v[10:11], v[118:119] op_sel_hi:[0,1]
	v_mov_b32_e32 v10, 0
	v_dot4c_i32_i8_e32 v10, v176, v4
	v_pk_fma_f32 v[116:117], v[8:9], v[116:117], v[118:119] op_sel_hi:[0,1,1] neg_lo:[0,0,1] neg_hi:[0,0,1]
	v_mov_b32_e32 v8, 0
	v_dot4c_i32_i8_e32 v10, v176, v5
	v_dot4c_i32_i8_e32 v8, v175, v4
	;; [unrolled: 1-line block ×3, first 2 shown]
	v_mov_b32_e32 v4, 0
	v_dot4c_i32_i8_e32 v8, v172, v5
	v_dot4c_i32_i8_e32 v10, v176, v7
	;; [unrolled: 1-line block ×11, first 2 shown]
	v_mul_lo_u32 v0, v8, v201
	v_mul_lo_u32 v2, v209, v200
                                        ; kill: def $vgpr1 killed $sgpr0 killed $exec
	v_dot4c_i32_i8_e32 v10, v195, v3
	v_mad_u64_u32 v[2:3], s[18:19], v115, v201, v[2:3]
	v_mad_u64_u32 v[0:1], s[18:19], v4, v200, v[0:1]
	v_cvt_f32_i32_e32 v1, v0
	v_cvt_f32_i32_e32 v0, v2
	;; [unrolled: 1-line block ×4, first 2 shown]
	v_pk_fma_f32 v[18:19], v[112:113], v[116:117], v[18:19]
	v_add_u32_e32 v11, 32, v11
	v_pk_mul_f32 v[2:3], v[14:15], v[2:3] op_sel_hi:[0,1]
	v_pk_fma_f32 v[0:1], v[12:13], v[0:1], v[2:3] op_sel_hi:[0,1,1] neg_lo:[0,0,1] neg_hi:[0,0,1]
	v_pk_fma_f32 v[16:17], v[112:113], v[0:1], v[16:17]
	v_add_u32_e32 v13, 4, v13
	s_cbranch_scc1 .LBB147_12
; %bb.13:                               ;   in Loop: Header=BB147_6 Depth=1
	v_add_u32_e32 v8, s14, v143
	v_add_u32_e32 v0, v8, v95
	;; [unrolled: 1-line block ×9, first 2 shown]
	v_mad_i64_i32 v[112:113], s[14:15], v8, 36, v[100:101]
	v_add_u32_e32 v8, 12, v9
	v_mad_i64_i32 v[0:1], s[14:15], v0, 36, v[100:101]
	v_mad_i64_i32 v[2:3], s[14:15], v2, 36, v[100:101]
	;; [unrolled: 1-line block ×4, first 2 shown]
	v_mad_u64_u32 v[8:9], s[14:15], v8, 36, s[2:3]
	s_barrier
	v_mad_i64_i32 v[10:11], s[14:15], v10, 36, v[100:101]
	v_mad_i64_i32 v[12:13], s[14:15], v12, 36, v[100:101]
	;; [unrolled: 1-line block ×3, first 2 shown]
	global_load_dword v8, v[8:9], off
	s_nop 0
	global_load_dword v0, v[0:1], off offset:4
	s_nop 0
	global_load_dword v1, v[2:3], off offset:4
	;; [unrolled: 2-line block ×3, first 2 shown]
	global_load_dword v3, v[6:7], off offset:4
	s_nop 0
	global_load_dword v4, v[10:11], off offset:4
	global_load_dword v5, v[12:13], off offset:4
	;; [unrolled: 1-line block ×4, first 2 shown]
	s_mov_b32 s14, 24
	s_mov_b32 s16, 22
	v_mov_b32_e32 v113, v158
	v_mov_b32_e32 v115, v157
	s_waitcnt vmcnt(8)
	v_cvt_f32_f16_e32 v8, v8
	s_waitcnt vmcnt(7)
	ds_write_b32 v99, v0
	s_waitcnt vmcnt(6)
	ds_write_b32 v105, v1
	;; [unrolled: 2-line block ×8, first 2 shown]
	ds_write_b32 v93, v8
	s_waitcnt lgkmcnt(0)
	s_barrier
.LBB147_14:                             ;   Parent Loop BB147_6 Depth=1
                                        ; =>  This Inner Loop Header: Depth=2
	s_add_i32 s15, s16, 2
	s_and_b32 s18, s15, 0x3ffffff8
	s_lshl_b32 s18, s18, 2
	v_add_u32_e32 v10, s18, v133
	ds_read2_b32 v[120:121], v115 offset1:32
	ds_read_b128 v[4:7], v113
	ds_read_b128 v[0:3], v113 offset:16
	ds_read2_b32 v[8:9], v10 offset1:1
	s_sub_i32 s17, s16, 22
	s_and_b32 s19, s14, -16
	s_add_i32 s16, s16, s19
	s_lshr_b32 s19, s15, 2
	s_waitcnt lgkmcnt(0)
	v_ashrrev_i32_e32 v8, s17, v8
	v_and_b32_e32 v194, 0x3030303, v8
	v_ashrrev_i32_e32 v8, s17, v9
	v_and_b32_e32 v188, 0x3030303, v8
	ds_read2_b32 v[8:9], v10 offset0:2 offset1:3
	s_and_b32 s19, s19, 0x3ffffffc
	v_add_u32_e32 v122, s16, v162
	v_add_u32_e32 v202, s16, v161
	v_mov_b32_e32 v208, 0
	s_waitcnt lgkmcnt(0)
	v_ashrrev_i32_e32 v8, s17, v8
	v_and_b32_e32 v191, 0x3030303, v8
	v_ashrrev_i32_e32 v8, s17, v9
	v_and_b32_e32 v192, 0x3030303, v8
	ds_read2_b32 v[8:9], v10 offset0:4 offset1:5
	v_mov_b32_e32 v209, 0
	v_mov_b32_e32 v211, 0
	;; [unrolled: 1-line block ×4, first 2 shown]
	s_waitcnt lgkmcnt(0)
	v_ashrrev_i32_e32 v8, s17, v8
	v_and_b32_e32 v181, 0x3030303, v8
	v_ashrrev_i32_e32 v8, s17, v9
	v_and_b32_e32 v182, 0x3030303, v8
	ds_read2_b32 v[8:9], v10 offset0:6 offset1:7
	v_add_u32_e32 v10, s18, v135
	v_dot4c_i32_i8_e32 v208, v181, v0
	v_dot4c_i32_i8_e32 v123, v194, v4
	;; [unrolled: 1-line block ×3, first 2 shown]
	s_waitcnt lgkmcnt(0)
	v_ashrrev_i32_e32 v8, s17, v8
	v_and_b32_e32 v185, 0x3030303, v8
	v_ashrrev_i32_e32 v8, s17, v9
	v_and_b32_e32 v186, 0x3030303, v8
	v_add_u32_e32 v8, s19, v134
	ds_read_b32 v8, v8
	v_mov_b32_e32 v210, 0
	v_dot4c_i32_i8_e32 v123, v188, v5
	v_dot4c_i32_i8_e32 v208, v185, v2
	;; [unrolled: 1-line block ×3, first 2 shown]
	s_waitcnt lgkmcnt(0)
	v_cvt_f32_f16_e32 v112, v8
	v_cvt_f32_f16_sdwa v114, v8 dst_sel:DWORD dst_unused:UNUSED_PAD src0_sel:WORD_1
	ds_read2_b32 v[8:9], v10 offset1:1
	v_dot4c_i32_i8_e32 v208, v186, v3
	v_dot4c_i32_i8_e32 v123, v192, v7
	v_add_u32_e32 v200, s16, v160
	v_add_u32_e32 v199, s16, v159
	s_waitcnt lgkmcnt(0)
	v_ashrrev_i32_e32 v8, s17, v8
	v_and_b32_e32 v193, 0x3030303, v8
	v_ashrrev_i32_e32 v8, s17, v9
	v_and_b32_e32 v187, 0x3030303, v8
	ds_read2_b32 v[8:9], v10 offset0:2 offset1:3
	v_mov_b32_e32 v218, 0
	v_mov_b32_e32 v219, 0
	;; [unrolled: 1-line block ×4, first 2 shown]
	s_waitcnt lgkmcnt(0)
	v_ashrrev_i32_e32 v8, s17, v8
	v_and_b32_e32 v189, 0x3030303, v8
	v_ashrrev_i32_e32 v8, s17, v9
	v_and_b32_e32 v190, 0x3030303, v8
	ds_read2_b32 v[8:9], v10 offset0:4 offset1:5
	v_dot4c_i32_i8_e32 v201, v193, v4
	v_dot4c_i32_i8_e32 v201, v187, v5
	;; [unrolled: 1-line block ×4, first 2 shown]
	s_waitcnt lgkmcnt(0)
	v_ashrrev_i32_e32 v8, s17, v8
	v_and_b32_e32 v179, 0x3030303, v8
	v_ashrrev_i32_e32 v8, s17, v9
	v_and_b32_e32 v180, 0x3030303, v8
	ds_read2_b32 v[8:9], v10 offset0:6 offset1:7
	v_add_u32_e32 v10, s18, v137
	v_dot4c_i32_i8_e32 v212, v179, v0
	v_dot4c_i32_i8_e32 v212, v180, v1
	v_mov_b32_e32 v215, 0
	s_waitcnt lgkmcnt(0)
	v_ashrrev_i32_e32 v8, s17, v8
	v_and_b32_e32 v183, 0x3030303, v8
	v_ashrrev_i32_e32 v8, s17, v9
	v_and_b32_e32 v184, 0x3030303, v8
	v_add_u32_e32 v8, s19, v136
	ds_read_b32 v8, v8
	v_dot4c_i32_i8_e32 v212, v183, v2
	v_dot4c_i32_i8_e32 v212, v184, v3
	v_mov_b32_e32 v207, 0
	v_mov_b32_e32 v213, 0
	s_waitcnt lgkmcnt(0)
	v_cvt_f32_f16_e32 v116, v8
	v_cvt_f32_f16_sdwa v118, v8 dst_sel:DWORD dst_unused:UNUSED_PAD src0_sel:WORD_1
	ds_read2_b32 v[8:9], v10 offset1:1
	v_mov_b32_e32 v214, 0
	v_mov_b32_e32 v220, 0
	s_add_i32 s14, s14, 2
	s_cmp_lt_u32 s15, 30
	s_waitcnt lgkmcnt(0)
	v_ashrrev_i32_e32 v8, s17, v8
	v_and_b32_e32 v198, 0x3030303, v8
	v_ashrrev_i32_e32 v8, s17, v9
	v_and_b32_e32 v195, 0x3030303, v8
	ds_read2_b32 v[8:9], v10 offset0:2 offset1:3
	v_dot4c_i32_i8_e32 v207, v198, v4
	v_dot4c_i32_i8_e32 v207, v195, v5
	s_waitcnt lgkmcnt(0)
	v_ashrrev_i32_e32 v8, s17, v8
	v_and_b32_e32 v196, 0x3030303, v8
	v_ashrrev_i32_e32 v8, s17, v9
	v_and_b32_e32 v197, 0x3030303, v8
	ds_read2_b32 v[8:9], v10 offset0:4 offset1:5
	v_dot4c_i32_i8_e32 v207, v196, v6
	v_dot4c_i32_i8_e32 v207, v197, v7
	s_waitcnt lgkmcnt(0)
	v_ashrrev_i32_e32 v8, s17, v8
	v_and_b32_e32 v171, 0x3030303, v8
	v_ashrrev_i32_e32 v8, s17, v9
	v_and_b32_e32 v172, 0x3030303, v8
	ds_read2_b32 v[8:9], v10 offset0:6 offset1:7
	v_add_u32_e32 v10, s18, v139
	v_dot4c_i32_i8_e32 v215, v171, v0
	v_dot4c_i32_i8_e32 v215, v172, v1
	s_waitcnt lgkmcnt(0)
	v_ashrrev_i32_e32 v8, s17, v8
	v_and_b32_e32 v173, 0x3030303, v8
	v_ashrrev_i32_e32 v8, s17, v9
	v_and_b32_e32 v174, 0x3030303, v8
	v_add_u32_e32 v8, s19, v138
	ds_read_b32 v8, v8
	v_dot4c_i32_i8_e32 v215, v173, v2
	v_dot4c_i32_i8_e32 v215, v174, v3
	s_waitcnt lgkmcnt(0)
	v_cvt_f32_f16_e32 v108, v8
	v_cvt_f32_f16_sdwa v110, v8 dst_sel:DWORD dst_unused:UNUSED_PAD src0_sel:WORD_1
	ds_read2_b32 v[8:9], v10 offset1:1
	s_waitcnt lgkmcnt(0)
	v_ashrrev_i32_e32 v8, s17, v8
	v_and_b32_e32 v178, 0x3030303, v8
	v_ashrrev_i32_e32 v8, s17, v9
	v_and_b32_e32 v175, 0x3030303, v8
	ds_read2_b32 v[8:9], v10 offset0:2 offset1:3
	v_dot4c_i32_i8_e32 v213, v178, v4
	v_dot4c_i32_i8_e32 v213, v175, v5
	s_waitcnt lgkmcnt(0)
	v_ashrrev_i32_e32 v8, s17, v8
	v_and_b32_e32 v176, 0x3030303, v8
	v_ashrrev_i32_e32 v8, s17, v9
	v_and_b32_e32 v177, 0x3030303, v8
	ds_read2_b32 v[8:9], v10 offset0:4 offset1:5
	v_dot4c_i32_i8_e32 v213, v176, v6
	v_dot4c_i32_i8_e32 v213, v177, v7
	;; [unrolled: 8-line block ×3, first 2 shown]
	s_waitcnt lgkmcnt(0)
	v_ashrrev_i32_e32 v8, s17, v8
	v_and_b32_e32 v169, 0x3030303, v8
	v_ashrrev_i32_e32 v8, s17, v9
	v_and_b32_e32 v170, 0x3030303, v8
	v_add_u32_e32 v8, s19, v140
	ds_read_b32 v8, v8
	v_dot4c_i32_i8_e32 v214, v169, v2
	v_dot4c_i32_i8_e32 v214, v170, v3
	s_waitcnt lgkmcnt(0)
	v_cvt_f32_f16_e32 v104, v8
	v_cvt_f32_f16_sdwa v106, v8 dst_sel:DWORD dst_unused:UNUSED_PAD src0_sel:WORD_1
	ds_read_b128 v[12:15], v113 offset:1024
	ds_read_b128 v[8:11], v113 offset:1040
	ds_read_u16 v122, v122 offset:25074
	ds_read_u16 v202, v202 offset:26098
	s_waitcnt lgkmcnt(3)
	v_dot4c_i32_i8_e32 v209, v194, v12
	v_dot4c_i32_i8_e32 v209, v188, v13
	s_waitcnt lgkmcnt(1)
	v_bfe_u32 v203, v122, 4, 4
	v_mul_lo_u32 v206, v203, s1
	v_dot4c_i32_i8_e32 v211, v206, v4
	v_dot4c_i32_i8_e32 v216, v206, v12
	;; [unrolled: 1-line block ×7, first 2 shown]
	v_lshrrev_b32_sdwa v203, v167, v122 dst_sel:DWORD dst_unused:UNUSED_PAD src0_sel:DWORD src1_sel:BYTE_1
	v_dot4c_i32_i8_e32 v216, v206, v14
	v_dot4c_i32_i8_e32 v209, v192, v15
	;; [unrolled: 1-line block ×4, first 2 shown]
	v_mul_lo_u32 v205, v203, s1
	v_and_b32_sdwa v203, v122, v168 dst_sel:DWORD dst_unused:UNUSED_PAD src0_sel:BYTE_1 src1_sel:DWORD
	v_and_b32_e32 v204, 15, v122
	v_dot4c_i32_i8_e32 v216, v206, v15
	v_dot4c_i32_i8_e32 v210, v185, v10
	;; [unrolled: 1-line block ×3, first 2 shown]
	v_mul_lo_u32 v122, v204, v209
	v_mul_lo_u32 v208, v203, v208
	v_dot4c_i32_i8_e32 v216, v205, v8
                                        ; kill: def $vgpr209 killed $sgpr0 killed $exec
	v_dot4c_i32_i8_e32 v210, v186, v11
	v_dot4c_i32_i8_e32 v211, v205, v1
	;; [unrolled: 1-line block ×3, first 2 shown]
	v_mad_u64_u32 v[208:209], s[16:17], v204, v123, v[208:209]
                                        ; kill: def $vgpr123 killed $sgpr0 killed $exec
	v_dot4c_i32_i8_e32 v211, v205, v2
	v_dot4c_i32_i8_e32 v216, v205, v10
	v_mad_u64_u32 v[122:123], s[16:17], v203, v210, v[122:123]
	v_dot4c_i32_i8_e32 v211, v205, v3
	v_dot4c_i32_i8_e32 v216, v205, v11
	v_cvt_f32_i32_e32 v123, v122
	v_cvt_f32_i32_e32 v122, v208
	;; [unrolled: 1-line block ×4, first 2 shown]
	v_pk_mul_f32 v[122:123], v[112:113], v[122:123] op_sel_hi:[0,1]
	v_pk_fma_f32 v[208:209], v[114:115], v[208:209], v[122:123] op_sel:[0,0,1] op_sel_hi:[0,1,0] neg_lo:[1,0,0] neg_hi:[1,0,0]
	v_mov_b32_e32 v122, v121
	v_mov_b32_e32 v123, v120
	v_pk_fma_f32 v[76:77], v[122:123], v[208:209], v[76:77]
	s_waitcnt lgkmcnt(0)
	v_bfe_u32 v208, v202, 4, 4
	v_mul_lo_u32 v211, v208, s1
	v_mov_b32_e32 v120, 0
	v_dot4c_i32_i8_e32 v218, v211, v4
	v_dot4c_i32_i8_e32 v219, v211, v12
	;; [unrolled: 1-line block ×3, first 2 shown]
	v_mov_b32_e32 v121, 0
	v_dot4c_i32_i8_e32 v218, v211, v5
	v_dot4c_i32_i8_e32 v219, v211, v13
	;; [unrolled: 1-line block ×5, first 2 shown]
	v_lshrrev_b32_sdwa v208, v167, v202 dst_sel:DWORD dst_unused:UNUSED_PAD src0_sel:DWORD src1_sel:BYTE_1
	v_dot4c_i32_i8_e32 v219, v211, v14
	v_dot4c_i32_i8_e32 v120, v189, v14
	;; [unrolled: 1-line block ×4, first 2 shown]
	v_mul_lo_u32 v210, v208, s1
	v_dot4c_i32_i8_e32 v219, v211, v15
	v_dot4c_i32_i8_e32 v120, v190, v15
	;; [unrolled: 1-line block ×4, first 2 shown]
	v_and_b32_sdwa v208, v202, v168 dst_sel:DWORD dst_unused:UNUSED_PAD src0_sel:BYTE_1 src1_sel:DWORD
	v_and_b32_e32 v209, 15, v202
	v_dot4c_i32_i8_e32 v219, v210, v8
	v_dot4c_i32_i8_e32 v121, v184, v11
	;; [unrolled: 1-line block ×3, first 2 shown]
	v_mul_lo_u32 v120, v209, v120
	v_mul_lo_u32 v202, v208, v212
	v_dot4c_i32_i8_e32 v219, v210, v9
	v_dot4c_i32_i8_e32 v218, v210, v2
	;; [unrolled: 1-line block ×3, first 2 shown]
	v_mad_u64_u32 v[216:217], s[16:17], v209, v201, v[202:203]
	v_mad_u64_u32 v[120:121], s[16:17], v208, v121, v[120:121]
	ds_read_u16 v201, v200 offset:27122
	v_dot4c_i32_i8_e32 v218, v210, v3
	v_dot4c_i32_i8_e32 v219, v210, v11
	v_cvt_f32_i32_e32 v121, v120
	v_cvt_f32_i32_e32 v120, v216
	;; [unrolled: 1-line block ×4, first 2 shown]
	s_waitcnt lgkmcnt(0)
	v_bfe_u32 v200, v201, 4, 4
	v_pk_mul_f32 v[120:121], v[116:117], v[120:121] op_sel_hi:[0,1]
	v_mul_lo_u32 v212, v200, s1
	v_pk_fma_f32 v[120:121], v[118:119], v[216:217], v[120:121] op_sel:[0,0,1] op_sel_hi:[0,1,0] neg_lo:[1,0,0] neg_hi:[1,0,0]
	v_mov_b32_e32 v218, 0
	v_mov_b32_e32 v219, 0
	v_pk_fma_f32 v[86:87], v[122:123], v[120:121], v[86:87]
	v_mov_b32_e32 v120, 0
	v_dot4c_i32_i8_e32 v218, v212, v4
	v_dot4c_i32_i8_e32 v219, v212, v12
	;; [unrolled: 1-line block ×3, first 2 shown]
	v_mov_b32_e32 v121, 0
	v_dot4c_i32_i8_e32 v218, v212, v5
	v_dot4c_i32_i8_e32 v219, v212, v13
	;; [unrolled: 1-line block ×5, first 2 shown]
	v_lshrrev_b32_sdwa v200, v167, v201 dst_sel:DWORD dst_unused:UNUSED_PAD src0_sel:DWORD src1_sel:BYTE_1
	v_dot4c_i32_i8_e32 v219, v212, v14
	v_dot4c_i32_i8_e32 v120, v196, v14
	;; [unrolled: 1-line block ×4, first 2 shown]
	v_mul_lo_u32 v202, v200, s1
	v_dot4c_i32_i8_e32 v219, v212, v15
	v_dot4c_i32_i8_e32 v120, v197, v15
	;; [unrolled: 1-line block ×4, first 2 shown]
	v_and_b32_sdwa v200, v201, v168 dst_sel:DWORD dst_unused:UNUSED_PAD src0_sel:BYTE_1 src1_sel:DWORD
	v_and_b32_e32 v201, 15, v201
	v_dot4c_i32_i8_e32 v219, v202, v8
	v_dot4c_i32_i8_e32 v121, v174, v11
	;; [unrolled: 1-line block ×3, first 2 shown]
	v_mul_lo_u32 v120, v201, v120
	v_mul_lo_u32 v216, v200, v215
	v_dot4c_i32_i8_e32 v219, v202, v9
	v_dot4c_i32_i8_e32 v218, v202, v2
	;; [unrolled: 1-line block ×3, first 2 shown]
	v_mad_u64_u32 v[216:217], s[16:17], v201, v207, v[216:217]
	v_mad_u64_u32 v[120:121], s[16:17], v200, v121, v[120:121]
	v_dot4c_i32_i8_e32 v218, v202, v3
	v_dot4c_i32_i8_e32 v219, v202, v11
	v_cvt_f32_i32_e32 v121, v120
	v_cvt_f32_i32_e32 v120, v216
	;; [unrolled: 1-line block ×4, first 2 shown]
	v_mov_b32_e32 v215, 0
	v_pk_mul_f32 v[120:121], v[108:109], v[120:121] op_sel_hi:[0,1]
	v_dot4c_i32_i8_e32 v215, v178, v12
	v_pk_fma_f32 v[120:121], v[110:111], v[216:217], v[120:121] op_sel:[0,0,1] op_sel_hi:[0,1,0] neg_lo:[1,0,0] neg_hi:[1,0,0]
	v_pk_fma_f32 v[72:73], v[122:123], v[120:121], v[72:73]
	ds_read_u16 v121, v199 offset:28146
	v_mov_b32_e32 v217, 0
	v_mov_b32_e32 v216, 0
	v_dot4c_i32_i8_e32 v215, v175, v13
	v_dot4c_i32_i8_e32 v216, v117, v8
	s_waitcnt lgkmcnt(0)
	v_bfe_u32 v120, v121, 4, 4
	v_mul_lo_u32 v207, v120, s1
	v_dot4c_i32_i8_e32 v217, v207, v4
	v_lshrrev_b32_sdwa v4, v167, v121 dst_sel:DWORD dst_unused:UNUSED_PAD src0_sel:DWORD src1_sel:BYTE_1
	v_mul_lo_u32 v199, v4, s1
	v_mov_b32_e32 v4, 0
	v_dot4c_i32_i8_e32 v217, v207, v5
	v_dot4c_i32_i8_e32 v4, v207, v12
	;; [unrolled: 1-line block ×13, first 2 shown]
	v_and_b32_sdwa v120, v121, v168 dst_sel:DWORD dst_unused:UNUSED_PAD src0_sel:BYTE_1 src1_sel:DWORD
	v_and_b32_e32 v121, 15, v121
	v_dot4c_i32_i8_e32 v4, v199, v8
	v_dot4c_i32_i8_e32 v216, v170, v11
	;; [unrolled: 1-line block ×3, first 2 shown]
	v_mul_lo_u32 v0, v121, v215
	v_mul_lo_u32 v2, v120, v214
	v_dot4c_i32_i8_e32 v4, v199, v9
                                        ; kill: def $vgpr1 killed $sgpr0 killed $exec
	v_dot4c_i32_i8_e32 v217, v199, v3
	v_dot4c_i32_i8_e32 v4, v199, v10
	v_mad_u64_u32 v[2:3], s[16:17], v121, v213, v[2:3]
	v_mad_u64_u32 v[0:1], s[16:17], v120, v216, v[0:1]
	v_dot4c_i32_i8_e32 v4, v199, v11
	v_cvt_f32_i32_e32 v1, v0
	v_cvt_f32_i32_e32 v0, v2
	;; [unrolled: 1-line block ×4, first 2 shown]
	v_mov_b32_e32 v14, 0
	v_pk_mul_f32 v[0:1], v[104:105], v[0:1] op_sel_hi:[0,1]
	v_mov_b32_e32 v214, 0
	v_pk_fma_f32 v[0:1], v[106:107], v[2:3], v[0:1] op_sel:[0,0,1] op_sel_hi:[0,1,0] neg_lo:[1,0,0] neg_hi:[1,0,0]
	v_pk_fma_f32 v[54:55], v[122:123], v[0:1], v[54:55]
	ds_read2_b32 v[8:9], v115 offset0:64 offset1:96
	ds_read_b128 v[0:3], v113 offset:2048
	ds_read_b128 v[4:7], v113 offset:2064
	v_mov_b32_e32 v122, 0
	v_mov_b32_e32 v217, 0
	;; [unrolled: 1-line block ×3, first 2 shown]
	s_waitcnt lgkmcnt(1)
	v_dot4c_i32_i8_e32 v14, v206, v0
	v_dot4c_i32_i8_e32 v122, v211, v0
	;; [unrolled: 1-line block ×13, first 2 shown]
	v_mov_b32_e32 v12, 0
	v_mov_b32_e32 v15, 0
	v_dot4c_i32_i8_e32 v122, v211, v3
	v_mov_b32_e32 v123, 0
	v_mov_b32_e32 v213, 0
	v_dot4c_i32_i8_e32 v214, v212, v3
	;; [unrolled: 3-line block ×3, first 2 shown]
	v_mov_b32_e32 v218, 0
	v_dot4c_i32_i8_e32 v11, v194, v0
	s_waitcnt lgkmcnt(0)
	v_dot4c_i32_i8_e32 v12, v181, v4
	v_dot4c_i32_i8_e32 v14, v205, v4
	;; [unrolled: 1-line block ×47, first 2 shown]
	ds_read_b128 v[4:7], v113 offset:3072
	ds_read_b128 v[0:3], v113 offset:3088
	v_mov_b32_e32 v219, 0
	v_mov_b32_e32 v10, 0
	v_mul_lo_u32 v12, v12, v203
	s_waitcnt lgkmcnt(1)
	v_dot4c_i32_i8_e32 v219, v206, v4
	v_dot4c_i32_i8_e32 v219, v206, v5
	;; [unrolled: 1-line block ×6, first 2 shown]
	s_waitcnt lgkmcnt(0)
	v_dot4c_i32_i8_e32 v220, v181, v0
	v_dot4c_i32_i8_e32 v10, v191, v6
	;; [unrolled: 1-line block ×7, first 2 shown]
                                        ; kill: def $vgpr13 killed $sgpr0 killed $exec
	v_dot4c_i32_i8_e32 v219, v205, v2
	v_dot4c_i32_i8_e32 v220, v186, v3
	v_mul_lo_u32 v10, v10, v204
	v_mad_u64_u32 v[12:13], s[16:17], v11, v204, v[12:13]
                                        ; kill: def $vgpr11 killed $sgpr0 killed $exec
	v_dot4c_i32_i8_e32 v219, v205, v3
	v_mad_u64_u32 v[10:11], s[16:17], v220, v203, v[10:11]
	v_cvt_f32_i32_e32 v11, v10
	v_cvt_f32_i32_e32 v10, v12
	v_cvt_f32_i32_e32 v13, v219
	v_cvt_f32_i32_e32 v12, v14
	v_mov_b32_e32 v14, 0
	v_dot4c_i32_i8_e32 v14, v211, v4
	v_dot4c_i32_i8_e32 v14, v211, v5
	v_pk_mul_f32 v[12:13], v[114:115], v[12:13] op_sel_hi:[0,1]
	v_pk_fma_f32 v[10:11], v[112:113], v[10:11], v[12:13] op_sel_hi:[0,1,1] neg_lo:[0,0,1] neg_hi:[0,0,1]
	v_pk_fma_f32 v[38:39], v[8:9], v[10:11], v[38:39]
	v_mov_b32_e32 v10, 0
	v_dot4c_i32_i8_e32 v10, v193, v4
	v_dot4c_i32_i8_e32 v14, v211, v6
	v_mov_b32_e32 v11, 0
	v_dot4c_i32_i8_e32 v10, v187, v5
	v_dot4c_i32_i8_e32 v14, v211, v7
	;; [unrolled: 1-line block ×11, first 2 shown]
	v_mul_lo_u32 v10, v10, v209
	v_mul_lo_u32 v12, v123, v208
                                        ; kill: def $vgpr13 killed $sgpr0 killed $exec
	v_dot4c_i32_i8_e32 v14, v210, v3
	v_mad_u64_u32 v[12:13], s[16:17], v15, v209, v[12:13]
	v_mad_u64_u32 v[10:11], s[16:17], v11, v208, v[10:11]
	v_cvt_f32_i32_e32 v11, v10
	v_cvt_f32_i32_e32 v10, v12
	v_cvt_f32_i32_e32 v13, v14
	v_cvt_f32_i32_e32 v12, v122
	v_mov_b32_e32 v14, 0
	v_dot4c_i32_i8_e32 v14, v212, v4
	v_dot4c_i32_i8_e32 v14, v212, v5
	v_pk_mul_f32 v[12:13], v[118:119], v[12:13] op_sel_hi:[0,1]
	v_pk_fma_f32 v[10:11], v[116:117], v[10:11], v[12:13] op_sel_hi:[0,1,1] neg_lo:[0,0,1] neg_hi:[0,0,1]
	v_pk_fma_f32 v[36:37], v[8:9], v[10:11], v[36:37]
	v_mov_b32_e32 v10, 0
	v_dot4c_i32_i8_e32 v10, v198, v4
	v_dot4c_i32_i8_e32 v14, v212, v6
	v_mov_b32_e32 v11, 0
	v_dot4c_i32_i8_e32 v10, v195, v5
	v_dot4c_i32_i8_e32 v14, v212, v7
	;; [unrolled: 1-line block ×11, first 2 shown]
	v_mul_lo_u32 v10, v10, v201
	v_mul_lo_u32 v12, v215, v200
                                        ; kill: def $vgpr13 killed $sgpr0 killed $exec
	v_dot4c_i32_i8_e32 v14, v202, v3
	v_mad_u64_u32 v[12:13], s[16:17], v213, v201, v[12:13]
	v_mad_u64_u32 v[10:11], s[16:17], v11, v200, v[10:11]
	v_cvt_f32_i32_e32 v11, v10
	v_cvt_f32_i32_e32 v10, v12
	;; [unrolled: 1-line block ×4, first 2 shown]
	v_mov_b32_e32 v14, 0
	v_mov_b32_e32 v122, 0
	;; [unrolled: 1-line block ×3, first 2 shown]
	v_pk_mul_f32 v[12:13], v[110:111], v[12:13] op_sel_hi:[0,1]
	v_pk_fma_f32 v[10:11], v[108:109], v[10:11], v[12:13] op_sel_hi:[0,1,1] neg_lo:[0,0,1] neg_hi:[0,0,1]
	v_pk_fma_f32 v[34:35], v[8:9], v[10:11], v[34:35]
	v_mov_b32_e32 v11, 0
	v_dot4c_i32_i8_e32 v11, v207, v4
	v_mov_b32_e32 v10, 0
	v_dot4c_i32_i8_e32 v11, v207, v5
	v_dot4c_i32_i8_e32 v10, v178, v4
	;; [unrolled: 1-line block ×3, first 2 shown]
	v_mov_b32_e32 v4, 0
	v_dot4c_i32_i8_e32 v10, v175, v5
	v_dot4c_i32_i8_e32 v11, v207, v7
	;; [unrolled: 1-line block ×11, first 2 shown]
	v_mul_lo_u32 v0, v10, v121
	v_mul_lo_u32 v2, v218, v120
                                        ; kill: def $vgpr1 killed $sgpr0 killed $exec
	v_dot4c_i32_i8_e32 v11, v199, v3
	v_mad_u64_u32 v[2:3], s[16:17], v216, v121, v[2:3]
	v_mad_u64_u32 v[0:1], s[16:17], v4, v120, v[0:1]
	v_cvt_f32_i32_e32 v1, v0
	v_cvt_f32_i32_e32 v0, v2
	;; [unrolled: 1-line block ×4, first 2 shown]
	v_mov_b32_e32 v217, 0
	v_mov_b32_e32 v11, 0
	;; [unrolled: 1-line block ×3, first 2 shown]
	v_pk_mul_f32 v[2:3], v[106:107], v[2:3] op_sel_hi:[0,1]
	v_pk_fma_f32 v[0:1], v[104:105], v[0:1], v[2:3] op_sel_hi:[0,1,1] neg_lo:[0,0,1] neg_hi:[0,0,1]
	v_pk_fma_f32 v[32:33], v[8:9], v[0:1], v[32:33]
	ds_read2_b32 v[8:9], v115 offset0:128 offset1:160
	ds_read_b128 v[0:3], v113 offset:4096
	ds_read_b128 v[4:7], v113 offset:4112
	v_mov_b32_e32 v15, 0
	v_mov_b32_e32 v123, 0
	;; [unrolled: 1-line block ×3, first 2 shown]
	s_waitcnt lgkmcnt(1)
	v_dot4c_i32_i8_e32 v14, v206, v0
	v_dot4c_i32_i8_e32 v122, v211, v0
	;; [unrolled: 1-line block ×15, first 2 shown]
	v_mov_b32_e32 v215, 0
	v_mov_b32_e32 v216, 0
	v_dot4c_i32_i8_e32 v217, v207, v3
	v_mov_b32_e32 v218, 0
	v_dot4c_i32_i8_e32 v11, v194, v0
	s_waitcnt lgkmcnt(0)
	v_dot4c_i32_i8_e32 v12, v181, v4
	v_dot4c_i32_i8_e32 v14, v205, v4
	;; [unrolled: 1-line block ×47, first 2 shown]
	ds_read_b128 v[4:7], v113 offset:5120
	ds_read_b128 v[0:3], v113 offset:5136
	v_mov_b32_e32 v219, 0
	v_mov_b32_e32 v10, 0
	;; [unrolled: 1-line block ×3, first 2 shown]
	s_waitcnt lgkmcnt(1)
	v_dot4c_i32_i8_e32 v219, v206, v4
	v_dot4c_i32_i8_e32 v219, v206, v5
	;; [unrolled: 1-line block ×6, first 2 shown]
	s_waitcnt lgkmcnt(0)
	v_dot4c_i32_i8_e32 v220, v181, v0
	v_dot4c_i32_i8_e32 v10, v191, v6
	;; [unrolled: 1-line block ×7, first 2 shown]
	v_mul_lo_u32 v12, v12, v203
                                        ; kill: def $vgpr13 killed $sgpr0 killed $exec
	v_dot4c_i32_i8_e32 v219, v205, v2
	v_dot4c_i32_i8_e32 v220, v186, v3
	v_mul_lo_u32 v10, v10, v204
	v_mad_u64_u32 v[12:13], s[16:17], v11, v204, v[12:13]
                                        ; kill: def $vgpr11 killed $sgpr0 killed $exec
	v_dot4c_i32_i8_e32 v219, v205, v3
	v_mad_u64_u32 v[10:11], s[16:17], v220, v203, v[10:11]
	v_cvt_f32_i32_e32 v11, v10
	v_cvt_f32_i32_e32 v10, v12
	;; [unrolled: 1-line block ×4, first 2 shown]
	v_mov_b32_e32 v14, 0
	v_dot4c_i32_i8_e32 v14, v211, v4
	v_dot4c_i32_i8_e32 v14, v211, v5
	v_pk_mul_f32 v[12:13], v[114:115], v[12:13] op_sel_hi:[0,1]
	v_pk_fma_f32 v[10:11], v[112:113], v[10:11], v[12:13] op_sel_hi:[0,1,1] neg_lo:[0,0,1] neg_hi:[0,0,1]
	v_pk_fma_f32 v[30:31], v[8:9], v[10:11], v[30:31]
	v_mov_b32_e32 v10, 0
	v_dot4c_i32_i8_e32 v10, v193, v4
	v_dot4c_i32_i8_e32 v14, v211, v6
	v_mov_b32_e32 v11, 0
	v_dot4c_i32_i8_e32 v10, v187, v5
	v_dot4c_i32_i8_e32 v14, v211, v7
	;; [unrolled: 1-line block ×11, first 2 shown]
	v_mul_lo_u32 v10, v10, v209
	v_mul_lo_u32 v12, v123, v208
                                        ; kill: def $vgpr13 killed $sgpr0 killed $exec
	v_dot4c_i32_i8_e32 v14, v210, v3
	v_mad_u64_u32 v[12:13], s[16:17], v15, v209, v[12:13]
	v_mad_u64_u32 v[10:11], s[16:17], v11, v208, v[10:11]
	v_cvt_f32_i32_e32 v11, v10
	v_cvt_f32_i32_e32 v10, v12
	;; [unrolled: 1-line block ×4, first 2 shown]
	v_mov_b32_e32 v14, 0
	v_dot4c_i32_i8_e32 v14, v212, v4
	v_dot4c_i32_i8_e32 v14, v212, v5
	v_pk_mul_f32 v[12:13], v[118:119], v[12:13] op_sel_hi:[0,1]
	v_pk_fma_f32 v[10:11], v[116:117], v[10:11], v[12:13] op_sel_hi:[0,1,1] neg_lo:[0,0,1] neg_hi:[0,0,1]
	v_pk_fma_f32 v[28:29], v[8:9], v[10:11], v[28:29]
	v_mov_b32_e32 v10, 0
	v_dot4c_i32_i8_e32 v10, v198, v4
	v_dot4c_i32_i8_e32 v14, v212, v6
	v_mov_b32_e32 v11, 0
	v_dot4c_i32_i8_e32 v10, v195, v5
	v_dot4c_i32_i8_e32 v14, v212, v7
	;; [unrolled: 1-line block ×11, first 2 shown]
	v_mul_lo_u32 v10, v10, v201
	v_mul_lo_u32 v12, v215, v200
                                        ; kill: def $vgpr13 killed $sgpr0 killed $exec
	v_dot4c_i32_i8_e32 v14, v202, v3
	v_mad_u64_u32 v[12:13], s[16:17], v213, v201, v[12:13]
	v_mad_u64_u32 v[10:11], s[16:17], v11, v200, v[10:11]
	v_cvt_f32_i32_e32 v11, v10
	v_cvt_f32_i32_e32 v10, v12
	;; [unrolled: 1-line block ×4, first 2 shown]
	v_mov_b32_e32 v213, 0
	v_mov_b32_e32 v215, 0
	;; [unrolled: 1-line block ×3, first 2 shown]
	v_pk_mul_f32 v[12:13], v[110:111], v[12:13] op_sel_hi:[0,1]
	v_pk_fma_f32 v[10:11], v[108:109], v[10:11], v[12:13] op_sel_hi:[0,1,1] neg_lo:[0,0,1] neg_hi:[0,0,1]
	v_pk_fma_f32 v[26:27], v[8:9], v[10:11], v[26:27]
	v_mov_b32_e32 v11, 0
	v_dot4c_i32_i8_e32 v11, v207, v4
	v_mov_b32_e32 v10, 0
	v_dot4c_i32_i8_e32 v11, v207, v5
	v_dot4c_i32_i8_e32 v10, v178, v4
	;; [unrolled: 1-line block ×3, first 2 shown]
	v_mov_b32_e32 v4, 0
	v_dot4c_i32_i8_e32 v10, v175, v5
	v_dot4c_i32_i8_e32 v11, v207, v7
	;; [unrolled: 1-line block ×11, first 2 shown]
	v_mul_lo_u32 v0, v10, v121
	v_mul_lo_u32 v2, v218, v120
                                        ; kill: def $vgpr1 killed $sgpr0 killed $exec
	v_dot4c_i32_i8_e32 v11, v199, v3
	v_mad_u64_u32 v[2:3], s[16:17], v216, v121, v[2:3]
	v_mad_u64_u32 v[0:1], s[16:17], v4, v120, v[0:1]
	v_cvt_f32_i32_e32 v1, v0
	v_cvt_f32_i32_e32 v0, v2
	;; [unrolled: 1-line block ×4, first 2 shown]
	v_mov_b32_e32 v13, 0
	v_mov_b32_e32 v10, 0
	;; [unrolled: 1-line block ×3, first 2 shown]
	v_pk_mul_f32 v[2:3], v[106:107], v[2:3] op_sel_hi:[0,1]
	v_pk_fma_f32 v[0:1], v[104:105], v[0:1], v[2:3] op_sel_hi:[0,1,1] neg_lo:[0,0,1] neg_hi:[0,0,1]
	v_pk_fma_f32 v[24:25], v[8:9], v[0:1], v[24:25]
	ds_read2_b32 v[8:9], v115 offset0:192 offset1:224
	ds_read_b128 v[0:3], v113 offset:6144
	ds_read_b128 v[4:7], v113 offset:6160
	v_mov_b32_e32 v214, 0
	v_mov_b32_e32 v216, 0
	;; [unrolled: 1-line block ×3, first 2 shown]
	s_waitcnt lgkmcnt(1)
	v_dot4c_i32_i8_e32 v213, v206, v0
	v_dot4c_i32_i8_e32 v215, v211, v0
	;; [unrolled: 1-line block ×15, first 2 shown]
	v_mov_b32_e32 v217, 0
	v_mov_b32_e32 v11, 0
	v_dot4c_i32_i8_e32 v10, v207, v3
	v_mov_b32_e32 v12, 0
	v_dot4c_i32_i8_e32 v15, v194, v0
	s_waitcnt lgkmcnt(0)
	v_dot4c_i32_i8_e32 v123, v181, v4
	v_dot4c_i32_i8_e32 v213, v205, v4
	;; [unrolled: 1-line block ×47, first 2 shown]
	ds_read_b128 v[4:7], v113 offset:7168
	ds_read_b128 v[0:3], v113 offset:7184
	v_mov_b32_e32 v122, 0
	s_waitcnt lgkmcnt(1)
	v_dot4c_i32_i8_e32 v122, v194, v4
	v_mov_b32_e32 v194, 0
	v_dot4c_i32_i8_e32 v194, v206, v4
	v_dot4c_i32_i8_e32 v194, v206, v5
	;; [unrolled: 1-line block ×5, first 2 shown]
	v_mov_b32_e32 v188, 0
	s_waitcnt lgkmcnt(0)
	v_dot4c_i32_i8_e32 v188, v181, v0
	v_dot4c_i32_i8_e32 v194, v205, v0
	;; [unrolled: 1-line block ×8, first 2 shown]
	v_mul_lo_u32 v182, v123, v203
	v_dot4c_i32_i8_e32 v188, v186, v3
	v_dot4c_i32_i8_e32 v194, v205, v3
	v_mul_lo_u32 v122, v122, v204
                                        ; kill: def $vgpr123 killed $sgpr0 killed $exec
	v_mad_u64_u32 v[204:205], s[16:17], v15, v204, v[182:183]
	v_mov_b32_e32 v182, 0
	v_mad_u64_u32 v[122:123], s[16:17], v188, v203, v[122:123]
	v_dot4c_i32_i8_e32 v182, v211, v4
	v_cvt_f32_i32_e32 v123, v122
	v_cvt_f32_i32_e32 v122, v204
	;; [unrolled: 1-line block ×4, first 2 shown]
	v_mov_b32_e32 v15, 0
	v_dot4c_i32_i8_e32 v182, v211, v5
	v_dot4c_i32_i8_e32 v15, v193, v4
	;; [unrolled: 1-line block ×3, first 2 shown]
	v_mov_b32_e32 v181, 0
	v_dot4c_i32_i8_e32 v15, v187, v5
	v_dot4c_i32_i8_e32 v182, v211, v7
	;; [unrolled: 1-line block ×6, first 2 shown]
	v_pk_mul_f32 v[204:205], v[114:115], v[204:205] op_sel_hi:[0,1]
	v_dot4c_i32_i8_e32 v15, v190, v7
	v_dot4c_i32_i8_e32 v182, v210, v1
	;; [unrolled: 1-line block ×3, first 2 shown]
	v_pk_fma_f32 v[122:123], v[112:113], v[122:123], v[204:205] op_sel_hi:[0,1,1] neg_lo:[0,0,1] neg_hi:[0,0,1]
	v_dot4c_i32_i8_e32 v182, v210, v2
	v_dot4c_i32_i8_e32 v181, v184, v3
	v_mul_lo_u32 v112, v15, v209
	v_mul_lo_u32 v114, v216, v208
	v_pk_fma_f32 v[22:23], v[8:9], v[122:123], v[22:23]
	v_dot4c_i32_i8_e32 v182, v210, v3
	v_mad_u64_u32 v[122:123], s[16:17], v214, v209, v[114:115]
	v_mad_u64_u32 v[180:181], s[16:17], v181, v208, v[112:113]
	v_cvt_f32_i32_e32 v123, v180
	v_cvt_f32_i32_e32 v181, v182
	;; [unrolled: 1-line block ×4, first 2 shown]
	v_mov_b32_e32 v15, 0
	v_dot4c_i32_i8_e32 v15, v198, v4
	v_pk_mul_f32 v[180:181], v[118:119], v[180:181] op_sel_hi:[0,1]
	v_pk_fma_f32 v[122:123], v[116:117], v[122:123], v[180:181] op_sel_hi:[0,1,1] neg_lo:[0,0,1] neg_hi:[0,0,1]
	v_mov_b32_e32 v116, 0
	v_dot4c_i32_i8_e32 v116, v212, v4
	v_dot4c_i32_i8_e32 v116, v212, v5
	;; [unrolled: 1-line block ×3, first 2 shown]
	v_mov_b32_e32 v118, 0
	v_dot4c_i32_i8_e32 v15, v195, v5
	v_dot4c_i32_i8_e32 v116, v212, v7
	;; [unrolled: 1-line block ×11, first 2 shown]
	v_mul_lo_u32 v112, v15, v201
	v_mul_lo_u32 v114, v217, v200
	v_pk_fma_f32 v[20:21], v[8:9], v[122:123], v[20:21]
	v_dot4c_i32_i8_e32 v116, v202, v3
	v_mad_u64_u32 v[14:15], s[16:17], v14, v201, v[114:115]
	v_mad_u64_u32 v[122:123], s[16:17], v118, v200, v[112:113]
	v_cvt_f32_i32_e32 v15, v122
	v_cvt_f32_i32_e32 v123, v116
	;; [unrolled: 1-line block ×4, first 2 shown]
	v_mov_b32_e32 v13, 0
	v_dot4c_i32_i8_e32 v13, v178, v4
	v_pk_mul_f32 v[122:123], v[110:111], v[122:123] op_sel_hi:[0,1]
	v_pk_fma_f32 v[14:15], v[108:109], v[14:15], v[122:123] op_sel_hi:[0,1,1] neg_lo:[0,0,1] neg_hi:[0,0,1]
	v_pk_fma_f32 v[18:19], v[8:9], v[14:15], v[18:19]
	v_mov_b32_e32 v14, 0
	v_dot4c_i32_i8_e32 v14, v207, v4
	v_dot4c_i32_i8_e32 v14, v207, v5
	;; [unrolled: 1-line block ×3, first 2 shown]
	v_mov_b32_e32 v4, 0
	v_dot4c_i32_i8_e32 v13, v175, v5
	v_dot4c_i32_i8_e32 v14, v207, v7
	;; [unrolled: 1-line block ×11, first 2 shown]
	v_mul_lo_u32 v0, v13, v121
	v_mul_lo_u32 v2, v12, v120
                                        ; kill: def $vgpr1 killed $sgpr0 killed $exec
	v_dot4c_i32_i8_e32 v14, v199, v3
	v_mad_u64_u32 v[2:3], s[16:17], v11, v121, v[2:3]
	v_mad_u64_u32 v[0:1], s[16:17], v4, v120, v[0:1]
	v_cvt_f32_i32_e32 v1, v0
	v_cvt_f32_i32_e32 v0, v2
	;; [unrolled: 1-line block ×4, first 2 shown]
	v_add_u32_e32 v115, 4, v115
	v_add_u32_e32 v113, 32, v113
	s_mov_b32 s16, s15
	v_pk_mul_f32 v[2:3], v[106:107], v[2:3] op_sel_hi:[0,1]
	v_pk_fma_f32 v[0:1], v[104:105], v[0:1], v[2:3] op_sel_hi:[0,1,1] neg_lo:[0,0,1] neg_hi:[0,0,1]
	v_pk_fma_f32 v[16:17], v[8:9], v[0:1], v[16:17]
	s_cbranch_scc1 .LBB147_14
; %bb.15:                               ;   in Loop: Header=BB147_6 Depth=1
	s_barrier
	s_branch .LBB147_5
.LBB147_16:
	v_mov_b32_e32 v1, v43
.LBB147_17:
	v_cmp_gt_u32_e32 vcc, s8, v45
	s_and_saveexec_b64 s[0:1], vcc
	s_cbranch_execz .LBB147_68
; %bb.18:
	v_add_u32_e32 v0, s6, v41
	v_mul_lo_u32 v5, v45, s10
	v_cmp_gt_u32_e32 vcc, s10, v0
	s_and_saveexec_b64 s[2:3], vcc
	s_cbranch_execz .LBB147_20
; %bb.19:
	v_add_u32_e32 v2, v0, v5
	v_mov_b32_e32 v3, 0
	v_cvt_f16_f32_e32 v6, v77
	v_lshlrev_b64 v[2:3], 1, v[2:3]
	s_waitcnt lgkmcnt(0)
	v_mov_b32_e32 v4, s13
	v_add_co_u32_e64 v2, s[0:1], s12, v2
	v_addc_co_u32_e64 v3, s[0:1], v4, v3, s[0:1]
	global_store_short v[2:3], v6, off
.LBB147_20:
	s_or_b64 exec, exec, s[2:3]
	v_add_u32_e32 v2, 32, v0
	v_cmp_gt_u32_e64 s[0:1], s10, v2
	s_and_saveexec_b64 s[4:5], s[0:1]
	s_cbranch_execz .LBB147_22
; %bb.21:
	v_add_u32_e32 v6, v2, v5
	v_mov_b32_e32 v7, 0
	v_cvt_f16_f32_e32 v4, v87
	v_lshlrev_b64 v[6:7], 1, v[6:7]
	s_waitcnt lgkmcnt(0)
	v_mov_b32_e32 v3, s13
	v_add_co_u32_e64 v6, s[2:3], s12, v6
	v_addc_co_u32_e64 v7, s[2:3], v3, v7, s[2:3]
	global_store_short v[6:7], v4, off
.LBB147_22:
	s_or_b64 exec, exec, s[4:5]
	v_add_u32_e32 v3, 64, v0
	v_cmp_gt_u32_e64 s[2:3], s10, v3
	s_and_saveexec_b64 s[6:7], s[2:3]
	;; [unrolled: 16-line block ×3, first 2 shown]
	s_cbranch_execz .LBB147_26
; %bb.25:
	v_add_u32_e32 v6, v4, v5
	v_mov_b32_e32 v7, 0
	v_cvt_f16_f32_e32 v8, v55
	v_lshlrev_b64 v[6:7], 1, v[6:7]
	s_waitcnt lgkmcnt(0)
	v_mov_b32_e32 v5, s13
	v_add_co_u32_e64 v6, s[6:7], s12, v6
	v_addc_co_u32_e64 v7, s[6:7], v5, v7, s[6:7]
	global_store_short v[6:7], v8, off
.LBB147_26:
	s_or_b64 exec, exec, s[14:15]
	v_add3_u32 v5, v1, s11, 8
	v_cmp_gt_u32_e64 s[6:7], s8, v5
	s_and_b64 exec, exec, s[6:7]
	s_cbranch_execz .LBB147_68
; %bb.27:
	v_mul_lo_u32 v5, v5, s10
	s_and_saveexec_b64 s[14:15], vcc
	s_cbranch_execnz .LBB147_69
; %bb.28:
	s_or_b64 exec, exec, s[14:15]
	s_and_saveexec_b64 s[14:15], s[0:1]
	s_cbranch_execnz .LBB147_70
.LBB147_29:
	s_or_b64 exec, exec, s[14:15]
	s_and_saveexec_b64 s[14:15], s[2:3]
	s_cbranch_execnz .LBB147_71
.LBB147_30:
	s_or_b64 exec, exec, s[14:15]
	s_and_saveexec_b64 s[14:15], s[4:5]
	s_cbranch_execz .LBB147_32
.LBB147_31:
	v_add_u32_e32 v6, v5, v4
	v_mov_b32_e32 v7, 0
	v_cvt_f16_f32_e32 v8, v54
	v_lshlrev_b64 v[6:7], 1, v[6:7]
	s_waitcnt lgkmcnt(0)
	v_mov_b32_e32 v5, s13
	v_add_co_u32_e64 v6, s[6:7], s12, v6
	v_addc_co_u32_e64 v7, s[6:7], v5, v7, s[6:7]
	global_store_short v[6:7], v8, off
.LBB147_32:
	s_or_b64 exec, exec, s[14:15]
	v_add3_u32 v5, v1, s11, 16
	v_cmp_gt_u32_e64 s[6:7], s8, v5
	s_and_b64 exec, exec, s[6:7]
	s_cbranch_execz .LBB147_68
; %bb.33:
	v_mul_lo_u32 v5, v5, s10
	s_and_saveexec_b64 s[14:15], vcc
	s_cbranch_execnz .LBB147_72
; %bb.34:
	s_or_b64 exec, exec, s[14:15]
	s_and_saveexec_b64 s[14:15], s[0:1]
	s_cbranch_execnz .LBB147_73
.LBB147_35:
	s_or_b64 exec, exec, s[14:15]
	s_and_saveexec_b64 s[14:15], s[2:3]
	s_cbranch_execnz .LBB147_74
.LBB147_36:
	s_or_b64 exec, exec, s[14:15]
	s_and_saveexec_b64 s[14:15], s[4:5]
	s_cbranch_execz .LBB147_38
.LBB147_37:
	v_add_u32_e32 v6, v5, v4
	v_mov_b32_e32 v7, 0
	v_cvt_f16_f32_e32 v8, v32
	v_lshlrev_b64 v[6:7], 1, v[6:7]
	s_waitcnt lgkmcnt(0)
	v_mov_b32_e32 v5, s13
	v_add_co_u32_e64 v6, s[6:7], s12, v6
	v_addc_co_u32_e64 v7, s[6:7], v5, v7, s[6:7]
	global_store_short v[6:7], v8, off
.LBB147_38:
	s_or_b64 exec, exec, s[14:15]
	v_add3_u32 v5, v1, s11, 24
	v_cmp_gt_u32_e64 s[6:7], s8, v5
	s_and_b64 exec, exec, s[6:7]
	s_cbranch_execz .LBB147_68
; %bb.39:
	v_mul_lo_u32 v5, v5, s10
	s_and_saveexec_b64 s[14:15], vcc
	s_cbranch_execnz .LBB147_75
; %bb.40:
	s_or_b64 exec, exec, s[14:15]
	s_and_saveexec_b64 s[14:15], s[0:1]
	s_cbranch_execnz .LBB147_76
.LBB147_41:
	s_or_b64 exec, exec, s[14:15]
	s_and_saveexec_b64 s[14:15], s[2:3]
	s_cbranch_execnz .LBB147_77
.LBB147_42:
	s_or_b64 exec, exec, s[14:15]
	s_and_saveexec_b64 s[14:15], s[4:5]
	s_cbranch_execz .LBB147_44
.LBB147_43:
	v_add_u32_e32 v6, v5, v4
	v_mov_b32_e32 v7, 0
	v_cvt_f16_f32_e32 v8, v33
	v_lshlrev_b64 v[6:7], 1, v[6:7]
	s_waitcnt lgkmcnt(0)
	v_mov_b32_e32 v5, s13
	v_add_co_u32_e64 v6, s[6:7], s12, v6
	v_addc_co_u32_e64 v7, s[6:7], v5, v7, s[6:7]
	global_store_short v[6:7], v8, off
.LBB147_44:
	s_or_b64 exec, exec, s[14:15]
	v_add3_u32 v5, v1, s11, 32
	v_cmp_gt_u32_e64 s[6:7], s8, v5
	s_and_b64 exec, exec, s[6:7]
	s_cbranch_execz .LBB147_68
; %bb.45:
	v_mul_lo_u32 v5, v5, s10
	s_and_saveexec_b64 s[14:15], vcc
	s_cbranch_execnz .LBB147_78
; %bb.46:
	s_or_b64 exec, exec, s[14:15]
	s_and_saveexec_b64 s[14:15], s[0:1]
	s_cbranch_execnz .LBB147_79
.LBB147_47:
	s_or_b64 exec, exec, s[14:15]
	s_and_saveexec_b64 s[14:15], s[2:3]
	s_cbranch_execnz .LBB147_80
.LBB147_48:
	s_or_b64 exec, exec, s[14:15]
	s_and_saveexec_b64 s[14:15], s[4:5]
	s_cbranch_execz .LBB147_50
.LBB147_49:
	v_add_u32_e32 v6, v5, v4
	v_mov_b32_e32 v7, 0
	v_cvt_f16_f32_e32 v8, v24
	v_lshlrev_b64 v[6:7], 1, v[6:7]
	s_waitcnt lgkmcnt(0)
	v_mov_b32_e32 v5, s13
	v_add_co_u32_e64 v6, s[6:7], s12, v6
	v_addc_co_u32_e64 v7, s[6:7], v5, v7, s[6:7]
	global_store_short v[6:7], v8, off
.LBB147_50:
	s_or_b64 exec, exec, s[14:15]
	v_add3_u32 v5, v1, s11, 40
	v_cmp_gt_u32_e64 s[6:7], s8, v5
	s_and_b64 exec, exec, s[6:7]
	s_cbranch_execz .LBB147_68
; %bb.51:
	v_mul_lo_u32 v5, v5, s10
	s_and_saveexec_b64 s[14:15], vcc
	s_cbranch_execnz .LBB147_81
; %bb.52:
	s_or_b64 exec, exec, s[14:15]
	s_and_saveexec_b64 s[14:15], s[0:1]
	s_cbranch_execnz .LBB147_82
.LBB147_53:
	s_or_b64 exec, exec, s[14:15]
	s_and_saveexec_b64 s[14:15], s[2:3]
	s_cbranch_execnz .LBB147_83
.LBB147_54:
	s_or_b64 exec, exec, s[14:15]
	s_and_saveexec_b64 s[14:15], s[4:5]
	s_cbranch_execz .LBB147_56
.LBB147_55:
	v_add_u32_e32 v6, v5, v4
	v_mov_b32_e32 v7, 0
	v_cvt_f16_f32_e32 v8, v25
	v_lshlrev_b64 v[6:7], 1, v[6:7]
	s_waitcnt lgkmcnt(0)
	v_mov_b32_e32 v5, s13
	v_add_co_u32_e64 v6, s[6:7], s12, v6
	v_addc_co_u32_e64 v7, s[6:7], v5, v7, s[6:7]
	global_store_short v[6:7], v8, off
.LBB147_56:
	s_or_b64 exec, exec, s[14:15]
	v_add3_u32 v5, v1, s11, 48
	v_cmp_gt_u32_e64 s[6:7], s8, v5
	s_and_b64 exec, exec, s[6:7]
	s_cbranch_execz .LBB147_68
; %bb.57:
	v_mul_lo_u32 v5, v5, s10
	s_and_saveexec_b64 s[14:15], vcc
	s_cbranch_execnz .LBB147_84
; %bb.58:
	s_or_b64 exec, exec, s[14:15]
	s_and_saveexec_b64 s[14:15], s[0:1]
	s_cbranch_execnz .LBB147_85
.LBB147_59:
	s_or_b64 exec, exec, s[14:15]
	s_and_saveexec_b64 s[14:15], s[2:3]
	s_cbranch_execnz .LBB147_86
.LBB147_60:
	s_or_b64 exec, exec, s[14:15]
	s_and_saveexec_b64 s[14:15], s[4:5]
	s_cbranch_execz .LBB147_62
.LBB147_61:
	v_add_u32_e32 v6, v5, v4
	v_mov_b32_e32 v7, 0
	v_cvt_f16_f32_e32 v8, v16
	v_lshlrev_b64 v[6:7], 1, v[6:7]
	s_waitcnt lgkmcnt(0)
	v_mov_b32_e32 v5, s13
	v_add_co_u32_e64 v6, s[6:7], s12, v6
	v_addc_co_u32_e64 v7, s[6:7], v5, v7, s[6:7]
	global_store_short v[6:7], v8, off
.LBB147_62:
	s_or_b64 exec, exec, s[14:15]
	v_add3_u32 v1, v1, s11, 56
	v_cmp_gt_u32_e64 s[6:7], s8, v1
	s_and_b64 exec, exec, s[6:7]
	s_cbranch_execz .LBB147_68
; %bb.63:
	v_mul_lo_u32 v1, v1, s10
	s_and_saveexec_b64 s[6:7], vcc
	s_cbranch_execnz .LBB147_87
; %bb.64:
	s_or_b64 exec, exec, s[6:7]
	s_and_saveexec_b64 s[6:7], s[0:1]
	s_cbranch_execnz .LBB147_88
.LBB147_65:
	s_or_b64 exec, exec, s[6:7]
	s_and_saveexec_b64 s[0:1], s[2:3]
	s_cbranch_execnz .LBB147_89
.LBB147_66:
	s_or_b64 exec, exec, s[0:1]
	s_and_b64 exec, exec, s[4:5]
	s_cbranch_execz .LBB147_68
.LBB147_67:
	v_add_u32_e32 v0, v1, v4
	v_mov_b32_e32 v1, 0
	v_cvt_f16_f32_e32 v3, v17
	v_lshlrev_b64 v[0:1], 1, v[0:1]
	s_waitcnt lgkmcnt(0)
	v_mov_b32_e32 v2, s13
	v_add_co_u32_e32 v0, vcc, s12, v0
	v_addc_co_u32_e32 v1, vcc, v2, v1, vcc
	global_store_short v[0:1], v3, off
.LBB147_68:
	s_endpgm
.LBB147_69:
	v_add_u32_e32 v6, v5, v0
	v_mov_b32_e32 v7, 0
	v_cvt_f16_f32_e32 v9, v76
	v_lshlrev_b64 v[6:7], 1, v[6:7]
	s_waitcnt lgkmcnt(0)
	v_mov_b32_e32 v8, s13
	v_add_co_u32_e64 v6, s[6:7], s12, v6
	v_addc_co_u32_e64 v7, s[6:7], v8, v7, s[6:7]
	global_store_short v[6:7], v9, off
	s_or_b64 exec, exec, s[14:15]
	s_and_saveexec_b64 s[14:15], s[0:1]
	s_cbranch_execz .LBB147_29
.LBB147_70:
	v_add_u32_e32 v6, v5, v2
	v_mov_b32_e32 v7, 0
	v_cvt_f16_f32_e32 v9, v86
	v_lshlrev_b64 v[6:7], 1, v[6:7]
	s_waitcnt lgkmcnt(0)
	v_mov_b32_e32 v8, s13
	v_add_co_u32_e64 v6, s[6:7], s12, v6
	v_addc_co_u32_e64 v7, s[6:7], v8, v7, s[6:7]
	global_store_short v[6:7], v9, off
	s_or_b64 exec, exec, s[14:15]
	s_and_saveexec_b64 s[14:15], s[2:3]
	s_cbranch_execz .LBB147_30
.LBB147_71:
	v_add_u32_e32 v6, v5, v3
	v_mov_b32_e32 v7, 0
	v_cvt_f16_f32_e32 v9, v72
	v_lshlrev_b64 v[6:7], 1, v[6:7]
	s_waitcnt lgkmcnt(0)
	v_mov_b32_e32 v8, s13
	v_add_co_u32_e64 v6, s[6:7], s12, v6
	v_addc_co_u32_e64 v7, s[6:7], v8, v7, s[6:7]
	global_store_short v[6:7], v9, off
	s_or_b64 exec, exec, s[14:15]
	s_and_saveexec_b64 s[14:15], s[4:5]
	s_cbranch_execnz .LBB147_31
	s_branch .LBB147_32
.LBB147_72:
	v_add_u32_e32 v6, v5, v0
	v_mov_b32_e32 v7, 0
	v_cvt_f16_f32_e32 v9, v38
	v_lshlrev_b64 v[6:7], 1, v[6:7]
	s_waitcnt lgkmcnt(0)
	v_mov_b32_e32 v8, s13
	v_add_co_u32_e64 v6, s[6:7], s12, v6
	v_addc_co_u32_e64 v7, s[6:7], v8, v7, s[6:7]
	global_store_short v[6:7], v9, off
	s_or_b64 exec, exec, s[14:15]
	s_and_saveexec_b64 s[14:15], s[0:1]
	s_cbranch_execz .LBB147_35
.LBB147_73:
	v_add_u32_e32 v6, v5, v2
	v_mov_b32_e32 v7, 0
	v_cvt_f16_f32_e32 v9, v36
	v_lshlrev_b64 v[6:7], 1, v[6:7]
	s_waitcnt lgkmcnt(0)
	v_mov_b32_e32 v8, s13
	v_add_co_u32_e64 v6, s[6:7], s12, v6
	v_addc_co_u32_e64 v7, s[6:7], v8, v7, s[6:7]
	global_store_short v[6:7], v9, off
	s_or_b64 exec, exec, s[14:15]
	s_and_saveexec_b64 s[14:15], s[2:3]
	s_cbranch_execz .LBB147_36
.LBB147_74:
	v_add_u32_e32 v6, v5, v3
	v_mov_b32_e32 v7, 0
	v_cvt_f16_f32_e32 v9, v34
	v_lshlrev_b64 v[6:7], 1, v[6:7]
	s_waitcnt lgkmcnt(0)
	v_mov_b32_e32 v8, s13
	v_add_co_u32_e64 v6, s[6:7], s12, v6
	v_addc_co_u32_e64 v7, s[6:7], v8, v7, s[6:7]
	global_store_short v[6:7], v9, off
	s_or_b64 exec, exec, s[14:15]
	s_and_saveexec_b64 s[14:15], s[4:5]
	s_cbranch_execnz .LBB147_37
	s_branch .LBB147_38
.LBB147_75:
	v_add_u32_e32 v6, v5, v0
	v_mov_b32_e32 v7, 0
	v_cvt_f16_f32_e32 v9, v39
	v_lshlrev_b64 v[6:7], 1, v[6:7]
	s_waitcnt lgkmcnt(0)
	v_mov_b32_e32 v8, s13
	v_add_co_u32_e64 v6, s[6:7], s12, v6
	v_addc_co_u32_e64 v7, s[6:7], v8, v7, s[6:7]
	global_store_short v[6:7], v9, off
	s_or_b64 exec, exec, s[14:15]
	s_and_saveexec_b64 s[14:15], s[0:1]
	s_cbranch_execz .LBB147_41
.LBB147_76:
	v_add_u32_e32 v6, v5, v2
	v_mov_b32_e32 v7, 0
	v_cvt_f16_f32_e32 v9, v37
	v_lshlrev_b64 v[6:7], 1, v[6:7]
	s_waitcnt lgkmcnt(0)
	v_mov_b32_e32 v8, s13
	v_add_co_u32_e64 v6, s[6:7], s12, v6
	v_addc_co_u32_e64 v7, s[6:7], v8, v7, s[6:7]
	global_store_short v[6:7], v9, off
	s_or_b64 exec, exec, s[14:15]
	s_and_saveexec_b64 s[14:15], s[2:3]
	s_cbranch_execz .LBB147_42
.LBB147_77:
	v_add_u32_e32 v6, v5, v3
	v_mov_b32_e32 v7, 0
	v_cvt_f16_f32_e32 v9, v35
	v_lshlrev_b64 v[6:7], 1, v[6:7]
	s_waitcnt lgkmcnt(0)
	v_mov_b32_e32 v8, s13
	v_add_co_u32_e64 v6, s[6:7], s12, v6
	v_addc_co_u32_e64 v7, s[6:7], v8, v7, s[6:7]
	global_store_short v[6:7], v9, off
	s_or_b64 exec, exec, s[14:15]
	s_and_saveexec_b64 s[14:15], s[4:5]
	s_cbranch_execnz .LBB147_43
	s_branch .LBB147_44
.LBB147_78:
	v_add_u32_e32 v6, v5, v0
	v_mov_b32_e32 v7, 0
	v_cvt_f16_f32_e32 v9, v30
	v_lshlrev_b64 v[6:7], 1, v[6:7]
	s_waitcnt lgkmcnt(0)
	v_mov_b32_e32 v8, s13
	v_add_co_u32_e64 v6, s[6:7], s12, v6
	v_addc_co_u32_e64 v7, s[6:7], v8, v7, s[6:7]
	global_store_short v[6:7], v9, off
	s_or_b64 exec, exec, s[14:15]
	s_and_saveexec_b64 s[14:15], s[0:1]
	s_cbranch_execz .LBB147_47
.LBB147_79:
	v_add_u32_e32 v6, v5, v2
	v_mov_b32_e32 v7, 0
	v_cvt_f16_f32_e32 v9, v28
	v_lshlrev_b64 v[6:7], 1, v[6:7]
	s_waitcnt lgkmcnt(0)
	v_mov_b32_e32 v8, s13
	v_add_co_u32_e64 v6, s[6:7], s12, v6
	v_addc_co_u32_e64 v7, s[6:7], v8, v7, s[6:7]
	global_store_short v[6:7], v9, off
	s_or_b64 exec, exec, s[14:15]
	s_and_saveexec_b64 s[14:15], s[2:3]
	s_cbranch_execz .LBB147_48
.LBB147_80:
	v_add_u32_e32 v6, v5, v3
	v_mov_b32_e32 v7, 0
	v_cvt_f16_f32_e32 v9, v26
	v_lshlrev_b64 v[6:7], 1, v[6:7]
	s_waitcnt lgkmcnt(0)
	v_mov_b32_e32 v8, s13
	v_add_co_u32_e64 v6, s[6:7], s12, v6
	v_addc_co_u32_e64 v7, s[6:7], v8, v7, s[6:7]
	global_store_short v[6:7], v9, off
	s_or_b64 exec, exec, s[14:15]
	s_and_saveexec_b64 s[14:15], s[4:5]
	s_cbranch_execnz .LBB147_49
	s_branch .LBB147_50
.LBB147_81:
	v_add_u32_e32 v6, v5, v0
	v_mov_b32_e32 v7, 0
	v_cvt_f16_f32_e32 v9, v31
	v_lshlrev_b64 v[6:7], 1, v[6:7]
	s_waitcnt lgkmcnt(0)
	v_mov_b32_e32 v8, s13
	v_add_co_u32_e64 v6, s[6:7], s12, v6
	v_addc_co_u32_e64 v7, s[6:7], v8, v7, s[6:7]
	global_store_short v[6:7], v9, off
	s_or_b64 exec, exec, s[14:15]
	s_and_saveexec_b64 s[14:15], s[0:1]
	s_cbranch_execz .LBB147_53
.LBB147_82:
	v_add_u32_e32 v6, v5, v2
	v_mov_b32_e32 v7, 0
	v_cvt_f16_f32_e32 v9, v29
	v_lshlrev_b64 v[6:7], 1, v[6:7]
	s_waitcnt lgkmcnt(0)
	v_mov_b32_e32 v8, s13
	v_add_co_u32_e64 v6, s[6:7], s12, v6
	v_addc_co_u32_e64 v7, s[6:7], v8, v7, s[6:7]
	global_store_short v[6:7], v9, off
	s_or_b64 exec, exec, s[14:15]
	s_and_saveexec_b64 s[14:15], s[2:3]
	s_cbranch_execz .LBB147_54
.LBB147_83:
	v_add_u32_e32 v6, v5, v3
	v_mov_b32_e32 v7, 0
	v_cvt_f16_f32_e32 v9, v27
	v_lshlrev_b64 v[6:7], 1, v[6:7]
	s_waitcnt lgkmcnt(0)
	v_mov_b32_e32 v8, s13
	v_add_co_u32_e64 v6, s[6:7], s12, v6
	v_addc_co_u32_e64 v7, s[6:7], v8, v7, s[6:7]
	global_store_short v[6:7], v9, off
	s_or_b64 exec, exec, s[14:15]
	s_and_saveexec_b64 s[14:15], s[4:5]
	s_cbranch_execnz .LBB147_55
	s_branch .LBB147_56
.LBB147_84:
	v_add_u32_e32 v6, v5, v0
	v_mov_b32_e32 v7, 0
	v_cvt_f16_f32_e32 v9, v22
	v_lshlrev_b64 v[6:7], 1, v[6:7]
	s_waitcnt lgkmcnt(0)
	v_mov_b32_e32 v8, s13
	v_add_co_u32_e64 v6, s[6:7], s12, v6
	v_addc_co_u32_e64 v7, s[6:7], v8, v7, s[6:7]
	global_store_short v[6:7], v9, off
	s_or_b64 exec, exec, s[14:15]
	s_and_saveexec_b64 s[14:15], s[0:1]
	s_cbranch_execz .LBB147_59
.LBB147_85:
	v_add_u32_e32 v6, v5, v2
	v_mov_b32_e32 v7, 0
	v_cvt_f16_f32_e32 v9, v20
	v_lshlrev_b64 v[6:7], 1, v[6:7]
	s_waitcnt lgkmcnt(0)
	v_mov_b32_e32 v8, s13
	v_add_co_u32_e64 v6, s[6:7], s12, v6
	v_addc_co_u32_e64 v7, s[6:7], v8, v7, s[6:7]
	global_store_short v[6:7], v9, off
	s_or_b64 exec, exec, s[14:15]
	s_and_saveexec_b64 s[14:15], s[2:3]
	s_cbranch_execz .LBB147_60
.LBB147_86:
	v_add_u32_e32 v6, v5, v3
	v_mov_b32_e32 v7, 0
	v_cvt_f16_f32_e32 v9, v18
	v_lshlrev_b64 v[6:7], 1, v[6:7]
	s_waitcnt lgkmcnt(0)
	v_mov_b32_e32 v8, s13
	v_add_co_u32_e64 v6, s[6:7], s12, v6
	v_addc_co_u32_e64 v7, s[6:7], v8, v7, s[6:7]
	global_store_short v[6:7], v9, off
	s_or_b64 exec, exec, s[14:15]
	s_and_saveexec_b64 s[14:15], s[4:5]
	s_cbranch_execnz .LBB147_61
	s_branch .LBB147_62
.LBB147_87:
	v_add_u32_e32 v6, v1, v0
	v_mov_b32_e32 v7, 0
	v_cvt_f16_f32_e32 v5, v23
	v_lshlrev_b64 v[6:7], 1, v[6:7]
	s_waitcnt lgkmcnt(0)
	v_mov_b32_e32 v0, s13
	v_add_co_u32_e32 v6, vcc, s12, v6
	v_addc_co_u32_e32 v7, vcc, v0, v7, vcc
	global_store_short v[6:7], v5, off
	s_or_b64 exec, exec, s[6:7]
	s_and_saveexec_b64 s[6:7], s[0:1]
	s_cbranch_execz .LBB147_65
.LBB147_88:
	v_add_u32_e32 v6, v1, v2
	v_mov_b32_e32 v7, 0
	v_cvt_f16_f32_e32 v2, v21
	v_lshlrev_b64 v[6:7], 1, v[6:7]
	s_waitcnt lgkmcnt(0)
	v_mov_b32_e32 v0, s13
	v_add_co_u32_e32 v6, vcc, s12, v6
	v_addc_co_u32_e32 v7, vcc, v0, v7, vcc
	global_store_short v[6:7], v2, off
	s_or_b64 exec, exec, s[6:7]
	s_and_saveexec_b64 s[0:1], s[2:3]
	s_cbranch_execz .LBB147_66
.LBB147_89:
	v_add_u32_e32 v2, v1, v3
	v_mov_b32_e32 v3, 0
	v_cvt_f16_f32_e32 v5, v19
	v_lshlrev_b64 v[2:3], 1, v[2:3]
	s_waitcnt lgkmcnt(0)
	v_mov_b32_e32 v0, s13
	v_add_co_u32_e32 v2, vcc, s12, v2
	v_addc_co_u32_e32 v3, vcc, v0, v3, vcc
	global_store_short v[2:3], v5, off
	s_or_b64 exec, exec, s[0:1]
	s_and_b64 exec, exec, s[4:5]
	s_cbranch_execnz .LBB147_67
	s_branch .LBB147_68
	.section	.rodata,"a",@progbits
	.p2align	6, 0x0
	.amdhsa_kernel _ZL12mul_mat_q2_KIN3c104HalfELb0EEvPKvS3_PT_iiiii
		.amdhsa_group_segment_fixed_size 31392
		.amdhsa_private_segment_fixed_size 0
		.amdhsa_kernarg_size 44
		.amdhsa_user_sgpr_count 6
		.amdhsa_user_sgpr_private_segment_buffer 1
		.amdhsa_user_sgpr_dispatch_ptr 0
		.amdhsa_user_sgpr_queue_ptr 0
		.amdhsa_user_sgpr_kernarg_segment_ptr 1
		.amdhsa_user_sgpr_dispatch_id 0
		.amdhsa_user_sgpr_flat_scratch_init 0
		.amdhsa_user_sgpr_kernarg_preload_length 0
		.amdhsa_user_sgpr_kernarg_preload_offset 0
		.amdhsa_user_sgpr_private_segment_size 0
		.amdhsa_uses_dynamic_stack 0
		.amdhsa_system_sgpr_private_segment_wavefront_offset 0
		.amdhsa_system_sgpr_workgroup_id_x 1
		.amdhsa_system_sgpr_workgroup_id_y 1
		.amdhsa_system_sgpr_workgroup_id_z 0
		.amdhsa_system_sgpr_workgroup_info 0
		.amdhsa_system_vgpr_workitem_id 1
		.amdhsa_next_free_vgpr 223
		.amdhsa_next_free_sgpr 22
		.amdhsa_accum_offset 224
		.amdhsa_reserve_vcc 1
		.amdhsa_reserve_flat_scratch 0
		.amdhsa_float_round_mode_32 0
		.amdhsa_float_round_mode_16_64 0
		.amdhsa_float_denorm_mode_32 3
		.amdhsa_float_denorm_mode_16_64 3
		.amdhsa_dx10_clamp 1
		.amdhsa_ieee_mode 1
		.amdhsa_fp16_overflow 0
		.amdhsa_tg_split 0
		.amdhsa_exception_fp_ieee_invalid_op 0
		.amdhsa_exception_fp_denorm_src 0
		.amdhsa_exception_fp_ieee_div_zero 0
		.amdhsa_exception_fp_ieee_overflow 0
		.amdhsa_exception_fp_ieee_underflow 0
		.amdhsa_exception_fp_ieee_inexact 0
		.amdhsa_exception_int_div_zero 0
	.end_amdhsa_kernel
	.section	.text._ZL12mul_mat_q2_KIN3c104HalfELb0EEvPKvS3_PT_iiiii,"axG",@progbits,_ZL12mul_mat_q2_KIN3c104HalfELb0EEvPKvS3_PT_iiiii,comdat
.Lfunc_end147:
	.size	_ZL12mul_mat_q2_KIN3c104HalfELb0EEvPKvS3_PT_iiiii, .Lfunc_end147-_ZL12mul_mat_q2_KIN3c104HalfELb0EEvPKvS3_PT_iiiii
                                        ; -- End function
	.section	.AMDGPU.csdata,"",@progbits
; Kernel info:
; codeLenInByte = 25600
; NumSgprs: 26
; NumVgprs: 223
; NumAgprs: 0
; TotalNumVgprs: 223
; ScratchSize: 0
; MemoryBound: 0
; FloatMode: 240
; IeeeMode: 1
; LDSByteSize: 31392 bytes/workgroup (compile time only)
; SGPRBlocks: 3
; VGPRBlocks: 27
; NumSGPRsForWavesPerEU: 26
; NumVGPRsForWavesPerEU: 223
; AccumOffset: 224
; Occupancy: 2
; WaveLimiterHint : 0
; COMPUTE_PGM_RSRC2:SCRATCH_EN: 0
; COMPUTE_PGM_RSRC2:USER_SGPR: 6
; COMPUTE_PGM_RSRC2:TRAP_HANDLER: 0
; COMPUTE_PGM_RSRC2:TGID_X_EN: 1
; COMPUTE_PGM_RSRC2:TGID_Y_EN: 1
; COMPUTE_PGM_RSRC2:TGID_Z_EN: 0
; COMPUTE_PGM_RSRC2:TIDIG_COMP_CNT: 1
; COMPUTE_PGM_RSRC3_GFX90A:ACCUM_OFFSET: 55
; COMPUTE_PGM_RSRC3_GFX90A:TG_SPLIT: 0
	.section	.text._ZL12mul_mat_q2_KIN3c104HalfELb1EEvPKvS3_PT_iiiii,"axG",@progbits,_ZL12mul_mat_q2_KIN3c104HalfELb1EEvPKvS3_PT_iiiii,comdat
	.globl	_ZL12mul_mat_q2_KIN3c104HalfELb1EEvPKvS3_PT_iiiii ; -- Begin function _ZL12mul_mat_q2_KIN3c104HalfELb1EEvPKvS3_PT_iiiii
	.p2align	8
	.type	_ZL12mul_mat_q2_KIN3c104HalfELb1EEvPKvS3_PT_iiiii,@function
_ZL12mul_mat_q2_KIN3c104HalfELb1EEvPKvS3_PT_iiiii: ; @_ZL12mul_mat_q2_KIN3c104HalfELb1EEvPKvS3_PT_iiiii
; %bb.0:
	s_load_dwordx4 s[8:11], s[4:5], 0x18
	s_load_dword s14, s[4:5], 0x28
	s_lshl_b32 s15, s7, 6
	v_bfe_u32 v43, v0, 10, 10
	s_waitcnt lgkmcnt(0)
	s_cmpk_gt_i32 s8, 0xff
	s_cbranch_scc1 .LBB148_2
; %bb.1:
	v_bfe_u32 v1, v0, 10, 10
	s_mov_b32 s0, 0
	v_and_b32_e32 v41, 0x3ff, v0
	v_add_u32_e32 v45, s15, v1
	s_mov_b32 s1, s0
	s_mov_b64 s[2:3], 0
	s_branch .LBB148_3
.LBB148_2:
	s_mov_b64 s[2:3], -1
                                        ; implicit-def: $sgpr0_sgpr1
                                        ; implicit-def: $vgpr1
                                        ; implicit-def: $vgpr41
                                        ; implicit-def: $vgpr45
.LBB148_3:
	s_load_dwordx2 s[12:13], s[4:5], 0x10
	s_lshl_b32 s6, s6, 7
	s_andn2_b64 vcc, exec, s[2:3]
	v_pk_mov_b32 v[16:17], s[0:1], s[0:1] op_sel:[0,1]
	v_pk_mov_b32 v[24:25], s[0:1], s[0:1] op_sel:[0,1]
	;; [unrolled: 1-line block ×16, first 2 shown]
	s_cbranch_vccnz .LBB148_17
; %bb.4:
	s_load_dwordx4 s[0:3], s[4:5], 0x0
	s_ashr_i32 s4, s8, 31
	s_lshr_b32 s4, s4, 24
	s_add_i32 s4, s8, s4
	s_ashr_i32 s5, s11, 31
	s_ashr_i32 s4, s4, 8
	s_lshr_b32 s5, s5, 27
	s_add_i32 s5, s11, s5
	s_mul_i32 s7, s4, s6
	s_ashr_i32 s11, s5, 5
	s_mul_hi_i32 s8, s7, 0x54
	s_mulk_i32 s7, 0x54
	s_waitcnt lgkmcnt(0)
	s_add_u32 s7, s0, s7
	s_addc_u32 s8, s1, s8
	s_not_b32 s0, s6
	s_add_i32 s9, s0, s9
	v_and_b32_e32 v41, 0x3ff, v0
	v_lshlrev_b32_e32 v0, 2, v41
	v_min_i32_e32 v1, s9, v43
	s_movk_i32 s1, 0x84
	v_add_u32_e32 v4, 8, v43
	v_mul_lo_u32 v44, v1, s4
	v_mad_u64_u32 v[46:47], s[16:17], v1, s1, v[0:1]
	v_min_i32_e32 v1, s9, v4
	v_add_u32_e32 v5, 16, v43
	v_mul_lo_u32 v48, v1, s4
	v_mad_u64_u32 v[50:51], s[16:17], v1, s1, v[0:1]
	v_min_i32_e32 v1, s9, v5
	v_add_u32_e32 v6, 24, v43
	v_mul_lo_u32 v52, v1, s4
	v_mad_u64_u32 v[54:55], s[16:17], v1, s1, v[0:1]
	v_min_i32_e32 v1, s9, v6
	v_add_u32_e32 v7, 32, v43
	v_mul_lo_u32 v56, v1, s4
	v_mad_u64_u32 v[58:59], s[16:17], v1, s1, v[0:1]
	v_min_i32_e32 v1, s9, v7
	v_add_u32_e32 v8, 40, v43
	v_mul_lo_u32 v60, v1, s4
	v_mad_u64_u32 v[62:63], s[16:17], v1, s1, v[0:1]
	v_min_i32_e32 v1, s9, v8
	v_add_u32_e32 v9, 48, v43
	v_mul_lo_u32 v64, v1, s4
	v_mad_u64_u32 v[66:67], s[16:17], v1, s1, v[0:1]
	v_min_i32_e32 v1, s9, v9
	v_add_u32_e32 v10, 56, v43
	v_mul_lo_u32 v68, v1, s4
	v_mad_u64_u32 v[70:71], s[16:17], v1, s1, v[0:1]
	v_min_i32_e32 v1, s9, v10
	v_mul_lo_u32 v72, v1, s4
	v_mad_u64_u32 v[74:75], s[16:17], v1, s1, v[0:1]
	v_add_u32_e32 v1, 64, v43
	v_min_i32_e32 v1, s9, v1
	v_mul_lo_u32 v76, v1, s4
	v_mad_u64_u32 v[78:79], s[16:17], v1, s1, v[0:1]
	v_add_u32_e32 v1, 0x48, v43
	v_min_i32_e32 v1, s9, v1
	;; [unrolled: 4-line block ×8, first 2 shown]
	v_mul_lo_u32 v108, v1, s4
	v_mad_u64_u32 v[110:111], s[16:17], v1, s1, v[0:1]
	v_lshlrev_b32_e32 v47, 4, v43
	v_lshrrev_b32_e32 v1, 1, v41
	v_add_u32_e32 v1, v1, v47
	v_and_b32_e32 v1, 0x7f, v1
	v_min_i32_e32 v1, s9, v1
	v_ashrrev_i32_e32 v2, 31, v1
	v_lshrrev_b32_e32 v2, 28, v2
	v_add_u32_e32 v2, v1, v2
	v_and_b32_e32 v112, 1, v41
	v_ashrrev_i32_e32 v2, 4, v2
	v_lshrrev_b32_e32 v49, 3, v41
	v_mul_lo_u32 v114, v1, s4
	v_lshlrev_b32_e32 v2, 2, v2
	v_lshlrev_b32_e32 v3, 2, v112
	s_movk_i32 s18, 0x7280
	v_lshlrev_b32_e32 v12, 3, v1
	v_lshl_add_u32 v1, v43, 2, v49
	v_add3_u32 v11, v2, v3, s18
	v_min_i32_e32 v3, s9, v1
	v_ashrrev_i32_e32 v13, 31, v3
	v_lshrrev_b32_e32 v13, 30, v13
	v_mul_lo_u32 v124, v3, s4
	v_add_u32_e32 v13, v3, v13
	v_lshlrev_b32_e32 v14, 5, v3
	v_add_u32_e32 v3, 32, v1
	v_min_i32_e32 v3, s9, v3
	v_ashrrev_i32_e32 v15, 31, v3
	v_lshrrev_b32_e32 v15, 30, v15
	v_mul_lo_u32 v126, v3, s4
	v_add_u32_e32 v15, v3, v15
	v_lshlrev_b32_e32 v16, 5, v3
	v_add_u32_e32 v3, 64, v1
	v_min_i32_e32 v3, s9, v3
	v_ashrrev_i32_e32 v17, 31, v3
	v_add_u32_e32 v1, 0x60, v1
	v_and_b32_e32 v2, 7, v41
	v_lshrrev_b32_e32 v17, 30, v17
	v_min_i32_e32 v1, s9, v1
	v_and_b32_e32 v42, 60, v0
	v_cmp_lt_u32_e32 vcc, 3, v2
	v_and_b32_e32 v122, 12, v0
	v_mul_lo_u32 v128, v3, s4
	v_add_u32_e32 v17, v3, v17
	v_lshlrev_b32_e32 v18, 5, v3
	v_ashrrev_i32_e32 v3, 31, v1
	v_and_b32_e32 v0, 28, v0
	v_cndmask_b32_e64 v120, 0, 1, vcc
	v_lshrrev_b32_e32 v3, 30, v3
	v_add_co_u32_e32 v132, vcc, s2, v0
	v_lshrrev_b32_e32 v0, 2, v41
	v_mul_lo_u32 v130, v1, s4
	v_add_u32_e32 v3, v1, v3
	v_lshlrev_b32_e32 v20, 5, v1
	v_mov_b32_e32 v1, s3
	v_lshl_add_u32 v0, v43, 3, v0
	v_addc_co_u32_e32 v133, vcc, 0, v1, vcc
	v_and_b32_e32 v1, 63, v0
	s_add_i32 s9, s10, -1
	v_or_b32_e32 v22, s15, v1
	v_and_b32_e32 v13, -4, v13
	v_lshlrev_b32_e32 v2, 2, v2
	s_movk_i32 s16, 0x6200
	v_and_b32_e32 v15, -4, v15
	v_and_b32_e32 v17, -4, v17
	;; [unrolled: 1-line block ×3, first 2 shown]
	v_and_b32_e32 v0, 3, v41
	v_min_i32_e32 v22, s9, v22
	v_add3_u32 v13, v13, v2, s16
	v_add3_u32 v15, v15, v2, s16
	;; [unrolled: 1-line block ×4, first 2 shown]
	v_mad_u64_u32 v[134:135], s[16:17], v22, s11, v[0:1]
	v_lshlrev_b32_e32 v0, 2, v0
	v_add_u32_e32 v45, s15, v43
	v_lshl_or_b32 v0, v1, 4, v0
	v_cvt_f64_i32_e32 v[2:3], s9
	v_add_u32_e32 v51, 0x76a0, v0
	v_cvt_f64_u32_e32 v[0:1], v45
	v_and_b32_e32 v21, 31, v41
	v_min_f64 v[0:1], v[0:1], v[2:3]
	v_cvt_i32_f64_e32 v0, v[0:1]
	v_lshlrev_b32_e32 v21, 2, v21
	v_lshlrev_b32_e32 v55, 7, v43
	v_mul_lo_u32 v53, s11, v0
	v_or_b32_e32 v0, v55, v21
	v_add_u32_e32 v57, 0x4200, v0
	v_add_u32_e32 v0, 8, v45
	v_cvt_f64_u32_e32 v[0:1], v0
	v_min_f64 v[0:1], v[0:1], v[2:3]
	v_cvt_i32_f64_e32 v0, v[0:1]
	v_mul_lo_u32 v59, s11, v0
	v_lshl_or_b32 v0, v4, 7, v21
	v_add_u32_e32 v61, 0x4200, v0
	v_add_u32_e32 v0, 16, v45
	v_cvt_f64_u32_e32 v[0:1], v0
	v_min_f64 v[0:1], v[0:1], v[2:3]
	v_cvt_i32_f64_e32 v0, v[0:1]
	v_mul_lo_u32 v63, s11, v0
	v_lshl_or_b32 v0, v5, 7, v21
	v_add_u32_e32 v65, 0x4200, v0
	v_add_u32_e32 v0, 24, v45
	v_cvt_f64_u32_e32 v[0:1], v0
	v_min_f64 v[0:1], v[0:1], v[2:3]
	v_cvt_i32_f64_e32 v0, v[0:1]
	v_mul_lo_u32 v67, s11, v0
	v_lshl_or_b32 v0, v6, 7, v21
	v_add_u32_e32 v69, 0x4200, v0
	v_add_u32_e32 v0, 32, v45
	v_cvt_f64_u32_e32 v[0:1], v0
	v_min_f64 v[0:1], v[0:1], v[2:3]
	v_cvt_i32_f64_e32 v0, v[0:1]
	v_mul_lo_u32 v71, s11, v0
	v_lshl_or_b32 v0, v7, 7, v21
	v_add_u32_e32 v73, 0x4200, v0
	v_add_u32_e32 v0, 40, v45
	v_cvt_f64_u32_e32 v[0:1], v0
	v_min_f64 v[0:1], v[0:1], v[2:3]
	v_cvt_i32_f64_e32 v0, v[0:1]
	v_mul_lo_u32 v75, s11, v0
	v_lshl_or_b32 v0, v8, 7, v21
	v_add_u32_e32 v77, 0x4200, v0
	v_add_u32_e32 v0, 48, v45
	v_cvt_f64_u32_e32 v[0:1], v0
	v_min_f64 v[0:1], v[0:1], v[2:3]
	v_cvt_i32_f64_e32 v0, v[0:1]
	v_mul_lo_u32 v79, s11, v0
	v_lshl_or_b32 v0, v9, 7, v21
	v_add_u32_e32 v81, 0x4200, v0
	v_add_u32_e32 v0, 56, v45
	v_cvt_f64_u32_e32 v[0:1], v0
	v_min_f64 v[0:1], v[0:1], v[2:3]
	v_cvt_i32_f64_e32 v0, v[0:1]
	v_lshrrev_b32_e32 v40, 4, v41
	v_mul_lo_u32 v85, s11, v0
	v_lshl_or_b32 v0, v10, 7, v21
	v_add_u32_e32 v87, 0x4200, v0
	v_lshlrev_b32_e32 v0, 3, v41
	v_lshlrev_b32_e32 v7, 2, v40
	v_add_u32_e32 v1, 32, v41
	v_add3_u32 v91, v7, v0, s18
	v_mov_b32_e32 v0, 0x1080
	v_mad_u32_u24 v93, v41, s1, v0
	v_lshrrev_b32_e32 v0, 2, v1
	v_lshlrev_b32_e32 v2, 3, v1
	v_and_b32_e32 v0, 0x7c, v0
	v_add_u32_e32 v3, 64, v41
	v_add3_u32 v95, v2, v0, s18
	v_mov_b32_e32 v0, 0x2100
	v_mad_u32_u24 v97, v41, s1, v0
	v_lshrrev_b32_e32 v0, 2, v3
	v_lshlrev_b32_e32 v4, 3, v3
	v_and_b32_e32 v0, 0x7c, v0
	s_mov_b32 s0, 0
	v_add_u32_e32 v5, 0x60, v41
	v_add3_u32 v99, v4, v0, s18
	v_mov_b32_e32 v0, 0x3180
	v_mad_u32_u24 v101, v41, s1, v0
	v_lshrrev_b32_e32 v0, 2, v5
	s_mov_b32 s1, s0
	v_lshlrev_b32_e32 v6, 3, v5
	v_and_b32_e32 v0, 0x7c, v0
	v_and_b32_e32 v113, 0x1fc, v5
	v_lshlrev_b32_e32 v121, 5, v41
	v_and_b32_e32 v123, 0x1fc, v3
	v_and_b32_e32 v127, 0x1fc, v1
	;; [unrolled: 1-line block ×3, first 2 shown]
	v_pk_mov_b32 v[118:119], s[0:1], s[0:1] op_sel:[0,1]
	s_movk_i32 s5, 0x54
	v_mul_u32_u24_e32 v89, 0x84, v41
	v_add3_u32 v105, v6, v0, s18
	v_lshrrev_b32_e32 v107, 3, v1
	v_lshrrev_b32_e32 v109, 3, v3
	v_lshrrev_b32_e32 v111, 3, v5
	v_or_b32_e32 v115, 0x4200, v113
	v_or_b32_e32 v125, 0x4200, v123
	;; [unrolled: 1-line block ×4, first 2 shown]
	v_add_u32_e32 v137, 0x6e08, v113
	v_add_u32_e32 v139, 0x6a08, v123
	;; [unrolled: 1-line block ×15, first 2 shown]
	s_mov_b32 s1, 0x1010101
	v_mov_b32_e32 v167, 4
	v_mov_b32_e32 v168, 15
	v_pk_mov_b32 v[38:39], v[118:119], v[118:119] op_sel:[0,1]
	v_pk_mov_b32 v[30:31], v[118:119], v[118:119] op_sel:[0,1]
	;; [unrolled: 1-line block ×15, first 2 shown]
	s_branch .LBB148_6
.LBB148_5:                              ;   in Loop: Header=BB148_6 Depth=1
	s_add_i32 s0, s0, 2
	s_cmp_ge_i32 s0, s4
	s_cbranch_scc1 .LBB148_16
.LBB148_6:                              ; =>This Loop Header: Depth=1
                                        ;     Child Loop BB148_7 Depth 2
                                        ;     Child Loop BB148_9 Depth 2
	;; [unrolled: 1-line block ×4, first 2 shown]
	s_mul_i32 s11, s0, 0x54
	s_mul_hi_u32 s9, s0, 0x54
	s_add_u32 s16, s7, s11
	s_addc_u32 s17, s8, s9
	v_pk_mov_b32 v[0:1], s[16:17], s[16:17] op_sel:[0,1]
	v_mad_u64_u32 v[2:3], s[16:17], v40, s5, v[0:1]
	v_add_co_u32_e32 v2, vcc, v2, v42
	v_addc_co_u32_e32 v3, vcc, 0, v3, vcc
	v_add_co_u32_e32 v2, vcc, 16, v2
	v_addc_co_u32_e32 v3, vcc, 0, v3, vcc
	v_mad_i64_i32 v[4:5], s[16:17], v44, s5, v[2:3]
	v_mad_i64_i32 v[6:7], s[16:17], v48, s5, v[2:3]
	;; [unrolled: 1-line block ×8, first 2 shown]
	global_load_dword v136, v[4:5], off
	global_load_dword v138, v[6:7], off
	;; [unrolled: 1-line block ×8, first 2 shown]
	v_mad_i64_i32 v[4:5], s[16:17], v76, s5, v[2:3]
	v_mad_i64_i32 v[6:7], s[16:17], v80, s5, v[2:3]
	;; [unrolled: 1-line block ×8, first 2 shown]
	global_load_dword v152, v[4:5], off
	global_load_dword v153, v[6:7], off
	;; [unrolled: 1-line block ×8, first 2 shown]
	v_mad_i64_i32 v[2:3], s[16:17], v114, s5, v[0:1]
	v_mad_u64_u32 v[0:1], s[16:17], v120, s5, v[0:1]
	v_add_co_u32_e32 v0, vcc, v0, v122
	v_addc_co_u32_e32 v1, vcc, 0, v1, vcc
	s_lshl_b32 s9, s0, 3
	v_mad_u64_u32 v[2:3], s[16:17], v112, s5, v[2:3]
	v_mad_i64_i32 v[4:5], s[16:17], v124, s5, v[0:1]
	v_mad_i64_i32 v[6:7], s[16:17], v126, s5, v[0:1]
	;; [unrolled: 1-line block ×4, first 2 shown]
	v_add_u32_e32 v144, s9, v49
	global_load_dword v173, v[2:3], off offset:80
	global_load_dword v174, v[4:5], off
	global_load_dword v175, v[6:7], off
	s_nop 0
	global_load_dword v8, v[8:9], off
	s_nop 0
	global_load_dword v176, v[0:1], off
	v_add_u32_e32 v0, v144, v53
	v_add_u32_e32 v2, v144, v59
	;; [unrolled: 1-line block ×6, first 2 shown]
	v_mad_i64_i32 v[0:1], s[16:17], v0, 36, v[132:133]
	v_mad_i64_i32 v[2:3], s[16:17], v2, 36, v[132:133]
	;; [unrolled: 1-line block ×5, first 2 shown]
	v_add_u32_e32 v12, v144, v75
	v_add_u32_e32 v14, v144, v79
	;; [unrolled: 1-line block ×3, first 2 shown]
	v_mad_i64_i32 v[12:13], s[16:17], v12, 36, v[132:133]
	v_mad_i64_i32 v[14:15], s[16:17], v14, 36, v[132:133]
	v_mad_i64_i32 v[144:145], s[16:17], v144, 36, v[132:133]
	v_mad_u64_u32 v[146:147], s[16:17], v9, 36, s[2:3]
	global_load_dword v0, v[0:1], off offset:4
	s_nop 0
	global_load_dword v1, v[2:3], off offset:4
	s_nop 0
	global_load_dword v2, v[4:5], off offset:4
	global_load_dword v3, v[6:7], off offset:4
	s_nop 0
	global_load_dword v4, v[10:11], off offset:4
	global_load_dword v5, v[146:147], off
	global_load_dword v6, v[12:13], off offset:4
	global_load_dword v7, v[14:15], off offset:4
	s_nop 0
	global_load_dword v10, v[144:145], off offset:4
	s_waitcnt vmcnt(29)
	ds_write_b32 v46, v136
	s_waitcnt vmcnt(28)
	ds_write_b32 v50, v138
	;; [unrolled: 2-line block ×26, first 2 shown]
	s_waitcnt vmcnt(3)
	v_cvt_f32_f16_e32 v0, v5
	s_mov_b32 s17, -2
	v_mov_b32_e32 v11, v55
	v_mov_b32_e32 v13, v47
	s_mov_b32 s11, 0
	s_waitcnt vmcnt(2)
	ds_write_b32 v77, v6
	s_waitcnt vmcnt(1)
	ds_write_b32 v81, v7
	;; [unrolled: 2-line block ×3, first 2 shown]
	ds_write_b32 v51, v0
	s_waitcnt lgkmcnt(0)
	s_barrier
.LBB148_7:                              ;   Parent Loop BB148_6 Depth=1
                                        ; =>  This Inner Loop Header: Depth=2
	s_and_b32 s16, s11, -16
	v_add_u32_e32 v136, s16, v121
	s_add_i32 s16, s17, 2
	s_and_b32 s18, s16, 0x3ffffff8
	s_lshl_b32 s18, s18, 2
	v_add_u32_e32 v0, 0x7400, v13
	v_add_u32_e32 v8, s18, v89
	ds_read2_b32 v[144:145], v0 offset0:168 offset1:200
	ds_read_b128 v[4:7], v11 offset:16896
	ds_read_b128 v[0:3], v11 offset:16912
	ds_read2_b32 v[14:15], v8 offset1:1
	ds_read2_b32 v[146:147], v8 offset0:4 offset1:5
	s_lshr_b32 s19, s16, 2
	s_and_b32 s19, s19, 0x3ffffffc
	v_mov_b32_e32 v148, 0
	s_waitcnt lgkmcnt(1)
	v_ashrrev_i32_e32 v10, s16, v14
	v_and_b32_e32 v173, 0x3030303, v10
	v_ashrrev_i32_e32 v10, s16, v15
	ds_read2_b32 v[14:15], v8 offset0:2 offset1:3
	v_and_b32_e32 v170, 0x3030303, v10
	v_mov_b32_e32 v216, 0
	v_mov_b32_e32 v217, 0
	;; [unrolled: 1-line block ×3, first 2 shown]
	s_waitcnt lgkmcnt(0)
	v_ashrrev_i32_e32 v10, s16, v14
	v_and_b32_e32 v171, 0x3030303, v10
	v_ashrrev_i32_e32 v10, s16, v15
	v_and_b32_e32 v172, 0x3030303, v10
	;; [unrolled: 2-line block ×3, first 2 shown]
	v_ashrrev_i32_e32 v10, s16, v147
	ds_read2_b32 v[146:147], v8 offset0:6 offset1:7
	v_and_b32_e32 v154, 0x3030303, v10
	v_add_u32_e32 v10, s19, v91
	v_mov_b32_e32 v219, 0
	s_add_i32 s11, s11, 2
	s_waitcnt lgkmcnt(0)
	v_ashrrev_i32_e32 v8, s16, v146
	v_and_b32_e32 v155, 0x3030303, v8
	v_ashrrev_i32_e32 v8, s16, v147
	v_and_b32_e32 v169, 0x3030303, v8
	v_add3_u32 v8, v135, s17, v136
	ds_read_b32 v10, v10
	ds_read_u16 v12, v8 offset:8194
	s_cmp_lt_u32 s16, 6
	s_waitcnt lgkmcnt(0)
	v_bfe_u32 v8, v12, 4, 4
	v_mul_lo_u32 v174, v8, s1
	v_mov_b32_e32 v8, 0
	v_and_b32_e32 v190, 15, v12
	v_lshrrev_b32_sdwa v14, v167, v12 dst_sel:DWORD dst_unused:UNUSED_PAD src0_sel:DWORD src1_sel:BYTE_1
	v_and_b32_sdwa v189, v12, v168 dst_sel:DWORD dst_unused:UNUSED_PAD src0_sel:BYTE_1 src1_sel:DWORD
	v_add_u32_e32 v12, s18, v93
	v_dot4c_i32_i8_e32 v8, v173, v4
	v_mul_lo_u32 v187, v14, s1
	v_mov_b32_e32 v14, 0
	ds_read2_b32 v[150:151], v12 offset1:1
	v_dot4c_i32_i8_e32 v8, v170, v5
	v_dot4c_i32_i8_e32 v14, v15, v0
	;; [unrolled: 1-line block ×8, first 2 shown]
	v_mul_lo_u32 v8, v190, v8
	v_dot4c_i32_i8_e32 v148, v174, v5
	v_mad_u64_u32 v[146:147], s[20:21], v189, v14, v[8:9]
	s_waitcnt lgkmcnt(0)
	v_ashrrev_i32_e32 v14, s16, v150
	v_and_b32_e32 v186, 0x3030303, v14
	v_ashrrev_i32_e32 v14, s16, v151
	ds_read2_b32 v[150:151], v12 offset0:2 offset1:3
	v_and_b32_e32 v183, 0x3030303, v14
	v_cvt_f32_i32_e32 v147, v146
	v_dot4c_i32_i8_e32 v148, v174, v6
	v_dot4c_i32_i8_e32 v148, v174, v7
	s_waitcnt lgkmcnt(0)
	v_ashrrev_i32_e32 v14, s16, v150
	v_and_b32_e32 v184, 0x3030303, v14
	v_ashrrev_i32_e32 v14, s16, v151
	ds_read2_b32 v[150:151], v12 offset0:4 offset1:5
	v_and_b32_e32 v185, 0x3030303, v14
	v_dot4c_i32_i8_e32 v148, v187, v0
	v_dot4c_i32_i8_e32 v148, v187, v1
	;; [unrolled: 1-line block ×3, first 2 shown]
	s_waitcnt lgkmcnt(0)
	v_ashrrev_i32_e32 v14, s16, v150
	v_and_b32_e32 v175, 0x3030303, v14
	v_ashrrev_i32_e32 v14, s16, v151
	ds_read2_b32 v[150:151], v12 offset0:6 offset1:7
	v_and_b32_e32 v176, 0x3030303, v14
	v_add_u32_e32 v14, s19, v95
	v_dot4c_i32_i8_e32 v148, v187, v3
	v_cvt_f32_f16_e32 v8, v10
	s_waitcnt lgkmcnt(0)
	v_ashrrev_i32_e32 v12, s16, v150
	v_and_b32_e32 v177, 0x3030303, v12
	v_ashrrev_i32_e32 v12, s16, v151
	v_and_b32_e32 v178, 0x3030303, v12
	v_add3_u32 v12, v129, s17, v136
	ds_read_b32 v14, v14
	ds_read_u16 v138, v12 offset:9218
	v_mov_b32_e32 v150, 0
	v_cvt_f32_f16_sdwa v10, v10 dst_sel:DWORD dst_unused:UNUSED_PAD src0_sel:WORD_1
	s_waitcnt lgkmcnt(0)
	v_bfe_u32 v12, v138, 4, 4
	v_mul_lo_u32 v188, v12, s1
	v_mov_b32_e32 v12, 0
	v_lshrrev_b32_sdwa v140, v167, v138 dst_sel:DWORD dst_unused:UNUSED_PAD src0_sel:DWORD src1_sel:BYTE_1
	v_dot4c_i32_i8_e32 v12, v186, v4
	v_mul_lo_u32 v199, v140, s1
	v_mov_b32_e32 v140, 0
	v_dot4c_i32_i8_e32 v12, v183, v5
	v_dot4c_i32_i8_e32 v140, v175, v0
	;; [unrolled: 1-line block ×5, first 2 shown]
	v_and_b32_e32 v204, 15, v138
	v_dot4c_i32_i8_e32 v140, v177, v2
	v_dot4c_i32_i8_e32 v140, v178, v3
	v_mul_lo_u32 v12, v204, v12
	v_and_b32_sdwa v202, v138, v168 dst_sel:DWORD dst_unused:UNUSED_PAD src0_sel:BYTE_1 src1_sel:DWORD
	v_add_u32_e32 v138, s18, v97
	v_mad_u64_u32 v[152:153], s[20:21], v202, v140, v[12:13]
	v_cvt_f32_i32_e32 v149, v152
	ds_read2_b32 v[152:153], v138 offset1:1
	v_dot4c_i32_i8_e32 v150, v188, v4
	v_dot4c_i32_i8_e32 v150, v188, v5
	;; [unrolled: 1-line block ×4, first 2 shown]
	s_waitcnt lgkmcnt(0)
	v_ashrrev_i32_e32 v140, s16, v152
	v_and_b32_e32 v198, 0x3030303, v140
	v_ashrrev_i32_e32 v140, s16, v153
	ds_read2_b32 v[152:153], v138 offset0:2 offset1:3
	v_and_b32_e32 v195, 0x3030303, v140
	v_dot4c_i32_i8_e32 v150, v199, v0
	v_dot4c_i32_i8_e32 v150, v199, v1
	;; [unrolled: 1-line block ×3, first 2 shown]
	s_waitcnt lgkmcnt(0)
	v_ashrrev_i32_e32 v140, s16, v152
	v_and_b32_e32 v196, 0x3030303, v140
	v_ashrrev_i32_e32 v140, s16, v153
	ds_read2_b32 v[152:153], v138 offset0:4 offset1:5
	v_and_b32_e32 v197, 0x3030303, v140
	v_dot4c_i32_i8_e32 v150, v199, v3
	v_cvt_f32_f16_e32 v12, v14
	v_cvt_f32_f16_sdwa v14, v14 dst_sel:DWORD dst_unused:UNUSED_PAD src0_sel:WORD_1
	s_waitcnt lgkmcnt(0)
	v_ashrrev_i32_e32 v140, s16, v152
	v_and_b32_e32 v191, 0x3030303, v140
	v_ashrrev_i32_e32 v140, s16, v153
	ds_read2_b32 v[152:153], v138 offset0:6 offset1:7
	v_and_b32_e32 v192, 0x3030303, v140
	v_add_u32_e32 v140, s19, v99
	s_waitcnt lgkmcnt(0)
	v_ashrrev_i32_e32 v138, s16, v152
	v_and_b32_e32 v193, 0x3030303, v138
	v_ashrrev_i32_e32 v138, s16, v153
	v_and_b32_e32 v194, 0x3030303, v138
	v_add3_u32 v138, v125, s17, v136
	ds_read_b32 v142, v140
	ds_read_u16 v140, v138 offset:10242
	v_add3_u32 v136, v115, s17, v136
	v_mov_b32_e32 v152, 0
	s_mov_b32 s17, s16
	s_waitcnt lgkmcnt(0)
	v_bfe_u32 v138, v140, 4, 4
	v_mul_lo_u32 v201, v138, s1
	v_mov_b32_e32 v138, 0
	v_lshrrev_b32_sdwa v146, v167, v140 dst_sel:DWORD dst_unused:UNUSED_PAD src0_sel:DWORD src1_sel:BYTE_1
	v_dot4c_i32_i8_e32 v138, v198, v4
	v_mul_lo_u32 v209, v146, s1
	v_mov_b32_e32 v146, 0
	v_dot4c_i32_i8_e32 v138, v195, v5
	v_dot4c_i32_i8_e32 v146, v191, v0
	;; [unrolled: 1-line block ×5, first 2 shown]
	v_and_b32_e32 v212, 15, v140
	v_dot4c_i32_i8_e32 v146, v193, v2
	v_dot4c_i32_i8_e32 v146, v194, v3
	v_mul_lo_u32 v138, v212, v138
	v_and_b32_sdwa v211, v140, v168 dst_sel:DWORD dst_unused:UNUSED_PAD src0_sel:BYTE_1 src1_sel:DWORD
	v_dot4c_i32_i8_e32 v152, v201, v4
	v_mad_u64_u32 v[180:181], s[20:21], v211, v146, v[138:139]
	v_add_u32_e32 v138, s18, v101
	v_cvt_f32_i32_e32 v151, v180
	ds_read2_b32 v[180:181], v138 offset1:1
	ds_read2_b32 v[214:215], v138 offset0:6 offset1:7
	v_dot4c_i32_i8_e32 v152, v201, v5
	v_dot4c_i32_i8_e32 v152, v201, v6
	;; [unrolled: 1-line block ×3, first 2 shown]
	s_waitcnt lgkmcnt(1)
	v_ashrrev_i32_e32 v146, s16, v180
	v_and_b32_e32 v208, 0x3030303, v146
	v_ashrrev_i32_e32 v146, s16, v181
	ds_read2_b32 v[180:181], v138 offset0:2 offset1:3
	v_and_b32_e32 v205, 0x3030303, v146
	v_dot4c_i32_i8_e32 v152, v209, v0
	v_dot4c_i32_i8_e32 v152, v209, v1
	;; [unrolled: 1-line block ×3, first 2 shown]
	s_waitcnt lgkmcnt(0)
	v_ashrrev_i32_e32 v146, s16, v180
	v_and_b32_e32 v206, 0x3030303, v146
	v_ashrrev_i32_e32 v146, s16, v181
	ds_read2_b32 v[180:181], v138 offset0:4 offset1:5
	v_and_b32_e32 v207, 0x3030303, v146
	v_ashrrev_i32_e32 v138, s16, v214
	v_dot4c_i32_i8_e32 v152, v209, v3
	v_mov_b32_e32 v214, 0
	s_waitcnt lgkmcnt(0)
	v_ashrrev_i32_e32 v146, s16, v180
	v_and_b32_e32 v179, 0x3030303, v146
	v_ashrrev_i32_e32 v146, s16, v181
	v_and_b32_e32 v181, 0x3030303, v138
	;; [unrolled: 2-line block ×3, first 2 shown]
	v_add_u32_e32 v138, s19, v105
	ds_read_b32 v138, v138
	ds_read_u16 v136, v136 offset:11266
	v_and_b32_e32 v180, 0x3030303, v146
	v_cvt_f32_f16_e32 v140, v142
	v_cvt_f32_f16_sdwa v142, v142 dst_sel:DWORD dst_unused:UNUSED_PAD src0_sel:WORD_1
	s_waitcnt lgkmcnt(0)
	v_bfe_u32 v146, v136, 4, 4
	v_mul_lo_u32 v210, v146, s1
	v_mov_b32_e32 v146, 0
	v_dot4c_i32_i8_e32 v146, v208, v4
	v_dot4c_i32_i8_e32 v216, v210, v4
	;; [unrolled: 1-line block ×4, first 2 shown]
	v_lshrrev_b32_sdwa v5, v167, v136 dst_sel:DWORD dst_unused:UNUSED_PAD src0_sel:DWORD src1_sel:BYTE_1
	v_mul_lo_u32 v200, v5, s1
	v_mov_b32_e32 v5, 0
	v_dot4c_i32_i8_e32 v216, v210, v6
	v_dot4c_i32_i8_e32 v5, v179, v0
	;; [unrolled: 1-line block ×6, first 2 shown]
	v_and_b32_e32 v213, 15, v136
	v_dot4c_i32_i8_e32 v216, v200, v0
	v_dot4c_i32_i8_e32 v5, v181, v2
	v_mul_lo_u32 v4, v213, v146
	v_dot4c_i32_i8_e32 v216, v200, v1
	v_dot4c_i32_i8_e32 v5, v182, v3
	v_and_b32_sdwa v203, v136, v168 dst_sel:DWORD dst_unused:UNUSED_PAD src0_sel:BYTE_1 src1_sel:DWORD
	v_dot4c_i32_i8_e32 v216, v200, v2
	v_dot4c_i32_i8_e32 v216, v200, v3
	v_mad_u64_u32 v[0:1], s[18:19], v203, v5, v[4:5]
	v_cvt_f32_i32_e32 v153, v0
	ds_read_b128 v[4:7], v11 offset:17920
	ds_read_b128 v[0:3], v11 offset:17936
	v_mov_b32_e32 v146, 0
	v_cvt_f32_f16_e32 v136, v138
	v_cvt_f32_f16_sdwa v138, v138 dst_sel:DWORD dst_unused:UNUSED_PAD src0_sel:WORD_1
	s_waitcnt lgkmcnt(1)
	v_dot4c_i32_i8_e32 v217, v174, v4
	v_dot4c_i32_i8_e32 v217, v174, v5
	;; [unrolled: 1-line block ×6, first 2 shown]
	s_waitcnt lgkmcnt(0)
	v_dot4c_i32_i8_e32 v214, v15, v0
	v_dot4c_i32_i8_e32 v146, v171, v6
	;; [unrolled: 1-line block ×8, first 2 shown]
	v_mul_lo_u32 v146, v146, v190
	v_dot4c_i32_i8_e32 v214, v169, v3
	v_dot4c_i32_i8_e32 v217, v187, v3
	s_nop 1
	v_mad_u64_u32 v[214:215], s[18:19], v214, v189, v[146:147]
	v_cvt_f32_i32_e32 v146, v214
	v_cvt_f32_i32_e32 v215, v148
	;; [unrolled: 1-line block ×3, first 2 shown]
	v_mov_b32_e32 v217, 0
	v_pk_mul_f32 v[214:215], v[10:11], v[214:215] op_sel_hi:[0,1]
	v_pk_fma_f32 v[214:215], v[8:9], v[146:147], v[214:215] op_sel_hi:[0,1,1] neg_lo:[0,0,1] neg_hi:[0,0,1]
	v_mov_b32_e32 v146, v145
	v_mov_b32_e32 v147, v144
	v_pk_fma_f32 v[118:119], v[146:147], v[214:215], v[118:119]
	v_mov_b32_e32 v214, 0
	v_dot4c_i32_i8_e32 v214, v188, v4
	v_mov_b32_e32 v144, 0
	v_dot4c_i32_i8_e32 v214, v188, v5
	v_dot4c_i32_i8_e32 v144, v186, v4
	;; [unrolled: 1-line block ×3, first 2 shown]
	v_mov_b32_e32 v145, 0
	v_dot4c_i32_i8_e32 v144, v183, v5
	v_dot4c_i32_i8_e32 v214, v188, v7
	;; [unrolled: 1-line block ×10, first 2 shown]
	v_mul_lo_u32 v144, v144, v204
	v_dot4c_i32_i8_e32 v145, v178, v3
	v_dot4c_i32_i8_e32 v214, v199, v3
	s_nop 1
	v_mad_u64_u32 v[144:145], s[18:19], v145, v202, v[144:145]
	v_cvt_f32_i32_e32 v148, v144
	v_cvt_f32_i32_e32 v145, v150
	;; [unrolled: 1-line block ×3, first 2 shown]
	v_pk_mul_f32 v[144:145], v[14:15], v[144:145] op_sel_hi:[0,1]
	v_pk_fma_f32 v[144:145], v[12:13], v[148:149], v[144:145] op_sel_hi:[0,1,1] neg_lo:[0,0,1] neg_hi:[0,0,1]
	v_mov_b32_e32 v148, 0
	v_dot4c_i32_i8_e32 v148, v201, v4
	v_pk_fma_f32 v[116:117], v[146:147], v[144:145], v[116:117]
	v_mov_b32_e32 v144, 0
	v_dot4c_i32_i8_e32 v148, v201, v5
	v_dot4c_i32_i8_e32 v144, v198, v4
	;; [unrolled: 1-line block ×3, first 2 shown]
	v_mov_b32_e32 v145, 0
	v_dot4c_i32_i8_e32 v144, v195, v5
	v_dot4c_i32_i8_e32 v148, v201, v7
	;; [unrolled: 1-line block ×10, first 2 shown]
	v_mul_lo_u32 v144, v144, v212
	v_dot4c_i32_i8_e32 v145, v194, v3
	v_dot4c_i32_i8_e32 v148, v209, v3
	v_mov_b32_e32 v149, 0
	s_nop 0
	v_mad_u64_u32 v[144:145], s[18:19], v145, v211, v[144:145]
	v_cvt_f32_i32_e32 v150, v144
	v_cvt_f32_i32_e32 v145, v152
	;; [unrolled: 1-line block ×3, first 2 shown]
	v_pk_mul_f32 v[144:145], v[142:143], v[144:145] op_sel_hi:[0,1]
	v_pk_fma_f32 v[144:145], v[140:141], v[150:151], v[144:145] op_sel_hi:[0,1,1] neg_lo:[0,0,1] neg_hi:[0,0,1]
	v_pk_fma_f32 v[102:103], v[146:147], v[144:145], v[102:103]
	v_mov_b32_e32 v145, 0
	v_mov_b32_e32 v144, 0
	v_dot4c_i32_i8_e32 v145, v210, v4
	v_dot4c_i32_i8_e32 v144, v208, v4
	;; [unrolled: 1-line block ×5, first 2 shown]
	v_mov_b32_e32 v5, 0
	v_dot4c_i32_i8_e32 v145, v210, v7
	v_dot4c_i32_i8_e32 v5, v179, v0
	;; [unrolled: 1-line block ×9, first 2 shown]
	v_mul_lo_u32 v4, v144, v213
	v_dot4c_i32_i8_e32 v5, v182, v3
	v_dot4c_i32_i8_e32 v145, v200, v3
	v_mov_b32_e32 v151, 0
	s_nop 0
	v_mad_u64_u32 v[0:1], s[18:19], v5, v203, v[4:5]
	v_cvt_f32_i32_e32 v152, v0
	v_cvt_f32_i32_e32 v1, v216
	;; [unrolled: 1-line block ×3, first 2 shown]
	v_mov_b32_e32 v216, 0
	v_pk_mul_f32 v[0:1], v[138:139], v[0:1] op_sel_hi:[0,1]
	v_pk_fma_f32 v[0:1], v[136:137], v[152:153], v[0:1] op_sel_hi:[0,1,1] neg_lo:[0,0,1] neg_hi:[0,0,1]
	v_pk_fma_f32 v[82:83], v[146:147], v[0:1], v[82:83]
	v_add_u32_e32 v0, 0x7600, v13
	ds_read2_b32 v[144:145], v0 offset0:104 offset1:136
	ds_read_b128 v[4:7], v11 offset:18944
	ds_read_b128 v[0:3], v11 offset:18960
	v_mov_b32_e32 v146, 0
	v_mov_b32_e32 v147, 0
	s_waitcnt lgkmcnt(1)
	v_dot4c_i32_i8_e32 v146, v173, v4
	v_dot4c_i32_i8_e32 v146, v170, v5
	s_waitcnt lgkmcnt(0)
	v_dot4c_i32_i8_e32 v147, v15, v0
	v_dot4c_i32_i8_e32 v146, v171, v6
	;; [unrolled: 1-line block ×7, first 2 shown]
	v_mul_lo_u32 v146, v146, v190
	v_dot4c_i32_i8_e32 v216, v188, v4
	v_mad_u64_u32 v[146:147], s[18:19], v147, v189, v[146:147]
	v_cvt_f32_i32_e32 v152, v146
	v_mov_b32_e32 v146, 0
	v_dot4c_i32_i8_e32 v146, v186, v4
	v_mov_b32_e32 v147, 0
	v_dot4c_i32_i8_e32 v146, v183, v5
	v_dot4c_i32_i8_e32 v147, v175, v0
	;; [unrolled: 1-line block ×8, first 2 shown]
	v_mul_lo_u32 v146, v146, v204
	v_dot4c_i32_i8_e32 v218, v210, v4
	v_mad_u64_u32 v[146:147], s[18:19], v147, v202, v[146:147]
	v_cvt_f32_i32_e32 v150, v146
	v_mov_b32_e32 v146, 0
	v_dot4c_i32_i8_e32 v146, v198, v4
	v_mov_b32_e32 v147, 0
	v_dot4c_i32_i8_e32 v146, v195, v5
	v_dot4c_i32_i8_e32 v147, v191, v0
	;; [unrolled: 1-line block ×8, first 2 shown]
	v_mul_lo_u32 v146, v146, v212
	v_dot4c_i32_i8_e32 v216, v188, v5
	v_mad_u64_u32 v[146:147], s[18:19], v147, v211, v[146:147]
	v_cvt_f32_i32_e32 v148, v146
	v_mov_b32_e32 v146, 0
	v_dot4c_i32_i8_e32 v146, v208, v4
	v_dot4c_i32_i8_e32 v217, v201, v5
	;; [unrolled: 1-line block ×4, first 2 shown]
	v_mov_b32_e32 v5, 0
	v_dot4c_i32_i8_e32 v149, v174, v6
	v_dot4c_i32_i8_e32 v216, v188, v6
	;; [unrolled: 1-line block ×20, first 2 shown]
	v_mul_lo_u32 v4, v146, v213
	v_dot4c_i32_i8_e32 v218, v200, v1
	v_dot4c_i32_i8_e32 v5, v182, v3
	;; [unrolled: 1-line block ×6, first 2 shown]
	v_mad_u64_u32 v[0:1], s[18:19], v5, v203, v[4:5]
	v_dot4c_i32_i8_e32 v149, v187, v3
	v_dot4c_i32_i8_e32 v216, v199, v3
	;; [unrolled: 1-line block ×4, first 2 shown]
	v_cvt_f32_i32_e32 v146, v0
	ds_read_b128 v[4:7], v11 offset:19968
	ds_read_b128 v[0:3], v11 offset:19984
	v_mov_b32_e32 v147, 0
	s_waitcnt lgkmcnt(1)
	v_dot4c_i32_i8_e32 v147, v173, v4
	v_dot4c_i32_i8_e32 v147, v170, v5
	;; [unrolled: 1-line block ×8, first 2 shown]
	s_waitcnt lgkmcnt(0)
	v_dot4c_i32_i8_e32 v151, v187, v0
	v_mul_lo_u32 v214, v147, v190
	v_mov_b32_e32 v147, 0
	v_dot4c_i32_i8_e32 v147, v15, v0
	v_dot4c_i32_i8_e32 v147, v154, v1
	;; [unrolled: 1-line block ×7, first 2 shown]
	s_nop 1
	v_mad_u64_u32 v[214:215], s[18:19], v147, v189, v[214:215]
	v_cvt_f32_i32_e32 v153, v214
	v_cvt_f32_i32_e32 v215, v151
	;; [unrolled: 1-line block ×3, first 2 shown]
	v_mov_b32_e32 v147, 0
	v_dot4c_i32_i8_e32 v147, v186, v4
	v_mov_b32_e32 v149, 0
	v_dot4c_i32_i8_e32 v147, v183, v5
	v_pk_mul_f32 v[214:215], v[10:11], v[214:215] op_sel_hi:[0,1]
	v_dot4c_i32_i8_e32 v149, v188, v4
	v_dot4c_i32_i8_e32 v147, v184, v6
	v_pk_fma_f32 v[152:153], v[8:9], v[152:153], v[214:215] op_sel_hi:[0,1,1] neg_lo:[0,0,1] neg_hi:[0,0,1]
	v_dot4c_i32_i8_e32 v149, v188, v5
	v_dot4c_i32_i8_e32 v147, v185, v7
	v_pk_fma_f32 v[38:39], v[144:145], v[152:153], v[38:39]
	v_dot4c_i32_i8_e32 v149, v188, v6
	v_dot4c_i32_i8_e32 v149, v188, v7
	v_mul_lo_u32 v152, v147, v204
	v_mov_b32_e32 v147, 0
	v_dot4c_i32_i8_e32 v147, v175, v0
	v_dot4c_i32_i8_e32 v149, v199, v0
	;; [unrolled: 1-line block ×8, first 2 shown]
	v_add_u32_e32 v214, 0x7800, v13
	v_mov_b32_e32 v215, 0
	v_mad_u64_u32 v[152:153], s[18:19], v147, v202, v[152:153]
	v_cvt_f32_i32_e32 v151, v152
	v_cvt_f32_i32_e32 v153, v149
	v_cvt_f32_i32_e32 v152, v216
	v_mov_b32_e32 v147, 0
	v_dot4c_i32_i8_e32 v147, v198, v4
	v_dot4c_i32_i8_e32 v147, v195, v5
	v_pk_mul_f32 v[152:153], v[14:15], v[152:153] op_sel_hi:[0,1]
	v_pk_fma_f32 v[150:151], v[12:13], v[150:151], v[152:153] op_sel_hi:[0,1,1] neg_lo:[0,0,1] neg_hi:[0,0,1]
	v_mov_b32_e32 v152, 0
	v_dot4c_i32_i8_e32 v152, v201, v4
	v_dot4c_i32_i8_e32 v147, v196, v6
	;; [unrolled: 1-line block ×4, first 2 shown]
	v_pk_fma_f32 v[36:37], v[144:145], v[150:151], v[36:37]
	v_dot4c_i32_i8_e32 v152, v201, v6
	v_dot4c_i32_i8_e32 v152, v201, v7
	v_mul_lo_u32 v150, v147, v212
	v_mov_b32_e32 v147, 0
	v_dot4c_i32_i8_e32 v147, v191, v0
	v_dot4c_i32_i8_e32 v152, v209, v0
	;; [unrolled: 1-line block ×8, first 2 shown]
	s_nop 1
	v_mad_u64_u32 v[150:151], s[18:19], v147, v211, v[150:151]
	v_cvt_f32_i32_e32 v149, v150
	v_cvt_f32_i32_e32 v151, v152
	;; [unrolled: 1-line block ×3, first 2 shown]
	v_mov_b32_e32 v147, 0
	v_dot4c_i32_i8_e32 v147, v208, v4
	v_dot4c_i32_i8_e32 v147, v205, v5
	v_pk_mul_f32 v[150:151], v[142:143], v[150:151] op_sel_hi:[0,1]
	v_pk_fma_f32 v[148:149], v[140:141], v[148:149], v[150:151] op_sel_hi:[0,1,1] neg_lo:[0,0,1] neg_hi:[0,0,1]
	v_pk_fma_f32 v[34:35], v[144:145], v[148:149], v[34:35]
	v_mov_b32_e32 v148, 0
	v_dot4c_i32_i8_e32 v148, v210, v4
	v_dot4c_i32_i8_e32 v148, v210, v5
	v_dot4c_i32_i8_e32 v148, v210, v6
	v_mov_b32_e32 v5, 0
	v_dot4c_i32_i8_e32 v148, v210, v7
	v_dot4c_i32_i8_e32 v5, v179, v0
	;; [unrolled: 1-line block ×9, first 2 shown]
	v_mul_lo_u32 v4, v147, v213
	v_dot4c_i32_i8_e32 v5, v182, v3
	v_dot4c_i32_i8_e32 v148, v200, v3
	v_mov_b32_e32 v149, 0
	v_mov_b32_e32 v151, 0
	v_mad_u64_u32 v[0:1], s[18:19], v5, v203, v[4:5]
	v_cvt_f32_i32_e32 v147, v0
	v_cvt_f32_i32_e32 v1, v148
	;; [unrolled: 1-line block ×3, first 2 shown]
	v_mov_b32_e32 v218, 0
	v_pk_mul_f32 v[0:1], v[138:139], v[0:1] op_sel_hi:[0,1]
	v_pk_fma_f32 v[0:1], v[136:137], v[146:147], v[0:1] op_sel_hi:[0,1,1] neg_lo:[0,0,1] neg_hi:[0,0,1]
	v_pk_fma_f32 v[32:33], v[144:145], v[0:1], v[32:33]
	ds_read2_b32 v[144:145], v214 offset0:40 offset1:72
	ds_read_b128 v[4:7], v11 offset:20992
	ds_read_b128 v[0:3], v11 offset:21008
	v_mov_b32_e32 v146, 0
	v_mov_b32_e32 v147, 0
	s_waitcnt lgkmcnt(1)
	v_dot4c_i32_i8_e32 v146, v173, v4
	v_dot4c_i32_i8_e32 v146, v170, v5
	s_waitcnt lgkmcnt(0)
	v_dot4c_i32_i8_e32 v147, v15, v0
	v_dot4c_i32_i8_e32 v146, v171, v6
	;; [unrolled: 1-line block ×7, first 2 shown]
	v_mul_lo_u32 v146, v146, v190
	v_dot4c_i32_i8_e32 v215, v188, v4
	v_mad_u64_u32 v[146:147], s[18:19], v147, v189, v[146:147]
	v_cvt_f32_i32_e32 v152, v146
	v_mov_b32_e32 v146, 0
	v_dot4c_i32_i8_e32 v146, v186, v4
	v_mov_b32_e32 v147, 0
	v_dot4c_i32_i8_e32 v146, v183, v5
	v_dot4c_i32_i8_e32 v147, v175, v0
	;; [unrolled: 1-line block ×8, first 2 shown]
	v_mul_lo_u32 v146, v146, v204
	v_dot4c_i32_i8_e32 v219, v210, v4
	v_mad_u64_u32 v[146:147], s[18:19], v147, v202, v[146:147]
	v_cvt_f32_i32_e32 v150, v146
	v_mov_b32_e32 v146, 0
	v_dot4c_i32_i8_e32 v146, v198, v4
	v_mov_b32_e32 v147, 0
	v_dot4c_i32_i8_e32 v146, v195, v5
	v_dot4c_i32_i8_e32 v147, v191, v0
	;; [unrolled: 1-line block ×8, first 2 shown]
	v_mul_lo_u32 v146, v146, v212
	v_dot4c_i32_i8_e32 v215, v188, v5
	v_mad_u64_u32 v[146:147], s[18:19], v147, v211, v[146:147]
	v_cvt_f32_i32_e32 v148, v146
	v_mov_b32_e32 v146, 0
	v_dot4c_i32_i8_e32 v146, v208, v4
	v_dot4c_i32_i8_e32 v218, v201, v5
	;; [unrolled: 1-line block ×4, first 2 shown]
	v_mov_b32_e32 v5, 0
	v_dot4c_i32_i8_e32 v149, v174, v6
	v_dot4c_i32_i8_e32 v215, v188, v6
	;; [unrolled: 1-line block ×20, first 2 shown]
	v_mul_lo_u32 v4, v146, v213
	v_dot4c_i32_i8_e32 v219, v200, v1
	v_dot4c_i32_i8_e32 v5, v182, v3
	v_dot4c_i32_i8_e32 v149, v187, v2
	v_dot4c_i32_i8_e32 v215, v199, v2
	v_dot4c_i32_i8_e32 v218, v209, v2
	v_dot4c_i32_i8_e32 v219, v200, v2
	v_mad_u64_u32 v[0:1], s[18:19], v5, v203, v[4:5]
	v_dot4c_i32_i8_e32 v149, v187, v3
	v_dot4c_i32_i8_e32 v215, v199, v3
	;; [unrolled: 1-line block ×4, first 2 shown]
	v_cvt_f32_i32_e32 v146, v0
	ds_read_b128 v[4:7], v11 offset:22016
	ds_read_b128 v[0:3], v11 offset:22032
	v_mov_b32_e32 v147, 0
	s_waitcnt lgkmcnt(1)
	v_dot4c_i32_i8_e32 v147, v173, v4
	v_dot4c_i32_i8_e32 v147, v170, v5
	;; [unrolled: 1-line block ×8, first 2 shown]
	s_waitcnt lgkmcnt(0)
	v_dot4c_i32_i8_e32 v151, v187, v0
	v_mul_lo_u32 v216, v147, v190
	v_mov_b32_e32 v147, 0
	v_dot4c_i32_i8_e32 v147, v15, v0
	v_dot4c_i32_i8_e32 v147, v154, v1
	;; [unrolled: 1-line block ×7, first 2 shown]
	s_nop 1
	v_mad_u64_u32 v[216:217], s[18:19], v147, v189, v[216:217]
	v_cvt_f32_i32_e32 v153, v216
	v_cvt_f32_i32_e32 v217, v151
	;; [unrolled: 1-line block ×3, first 2 shown]
	v_mov_b32_e32 v147, 0
	v_dot4c_i32_i8_e32 v147, v186, v4
	v_mov_b32_e32 v149, 0
	v_dot4c_i32_i8_e32 v147, v183, v5
	v_pk_mul_f32 v[216:217], v[10:11], v[216:217] op_sel_hi:[0,1]
	v_dot4c_i32_i8_e32 v149, v188, v4
	v_dot4c_i32_i8_e32 v147, v184, v6
	v_pk_fma_f32 v[152:153], v[8:9], v[152:153], v[216:217] op_sel_hi:[0,1,1] neg_lo:[0,0,1] neg_hi:[0,0,1]
	v_dot4c_i32_i8_e32 v149, v188, v5
	v_dot4c_i32_i8_e32 v147, v185, v7
	v_pk_fma_f32 v[30:31], v[144:145], v[152:153], v[30:31]
	v_dot4c_i32_i8_e32 v149, v188, v6
	v_dot4c_i32_i8_e32 v149, v188, v7
	v_mul_lo_u32 v152, v147, v204
	v_mov_b32_e32 v147, 0
	v_dot4c_i32_i8_e32 v147, v175, v0
	v_dot4c_i32_i8_e32 v149, v199, v0
	;; [unrolled: 1-line block ×8, first 2 shown]
	v_mov_b32_e32 v216, 0
	s_nop 0
	v_mad_u64_u32 v[152:153], s[18:19], v147, v202, v[152:153]
	v_cvt_f32_i32_e32 v151, v152
	v_cvt_f32_i32_e32 v153, v149
	;; [unrolled: 1-line block ×3, first 2 shown]
	v_mov_b32_e32 v147, 0
	v_dot4c_i32_i8_e32 v147, v198, v4
	v_dot4c_i32_i8_e32 v147, v195, v5
	v_pk_mul_f32 v[152:153], v[14:15], v[152:153] op_sel_hi:[0,1]
	v_pk_fma_f32 v[150:151], v[12:13], v[150:151], v[152:153] op_sel_hi:[0,1,1] neg_lo:[0,0,1] neg_hi:[0,0,1]
	v_mov_b32_e32 v152, 0
	v_dot4c_i32_i8_e32 v152, v201, v4
	v_dot4c_i32_i8_e32 v147, v196, v6
	;; [unrolled: 1-line block ×4, first 2 shown]
	v_pk_fma_f32 v[28:29], v[144:145], v[150:151], v[28:29]
	v_dot4c_i32_i8_e32 v152, v201, v6
	v_dot4c_i32_i8_e32 v152, v201, v7
	v_mul_lo_u32 v150, v147, v212
	v_mov_b32_e32 v147, 0
	v_dot4c_i32_i8_e32 v147, v191, v0
	v_dot4c_i32_i8_e32 v152, v209, v0
	v_dot4c_i32_i8_e32 v147, v192, v1
	v_dot4c_i32_i8_e32 v152, v209, v1
	v_dot4c_i32_i8_e32 v147, v193, v2
	v_dot4c_i32_i8_e32 v152, v209, v2
	v_dot4c_i32_i8_e32 v147, v194, v3
	v_dot4c_i32_i8_e32 v152, v209, v3
	v_mov_b32_e32 v215, 0
	s_nop 0
	v_mad_u64_u32 v[150:151], s[18:19], v147, v211, v[150:151]
	v_cvt_f32_i32_e32 v149, v150
	v_cvt_f32_i32_e32 v151, v152
	;; [unrolled: 1-line block ×3, first 2 shown]
	v_mov_b32_e32 v147, 0
	v_dot4c_i32_i8_e32 v147, v208, v4
	v_dot4c_i32_i8_e32 v147, v205, v5
	v_pk_mul_f32 v[150:151], v[142:143], v[150:151] op_sel_hi:[0,1]
	v_pk_fma_f32 v[148:149], v[140:141], v[148:149], v[150:151] op_sel_hi:[0,1,1] neg_lo:[0,0,1] neg_hi:[0,0,1]
	v_pk_fma_f32 v[26:27], v[144:145], v[148:149], v[26:27]
	v_mov_b32_e32 v148, 0
	v_dot4c_i32_i8_e32 v148, v210, v4
	v_dot4c_i32_i8_e32 v148, v210, v5
	;; [unrolled: 1-line block ×3, first 2 shown]
	v_mov_b32_e32 v5, 0
	v_dot4c_i32_i8_e32 v148, v210, v7
	v_dot4c_i32_i8_e32 v5, v179, v0
	;; [unrolled: 1-line block ×9, first 2 shown]
	v_mul_lo_u32 v4, v147, v213
	v_dot4c_i32_i8_e32 v5, v182, v3
	v_dot4c_i32_i8_e32 v148, v200, v3
	v_mov_b32_e32 v149, 0
	v_mov_b32_e32 v151, 0
	v_mad_u64_u32 v[0:1], s[18:19], v5, v203, v[4:5]
	v_cvt_f32_i32_e32 v147, v0
	v_cvt_f32_i32_e32 v1, v148
	;; [unrolled: 1-line block ×3, first 2 shown]
	v_pk_mul_f32 v[0:1], v[138:139], v[0:1] op_sel_hi:[0,1]
	v_pk_fma_f32 v[0:1], v[136:137], v[146:147], v[0:1] op_sel_hi:[0,1,1] neg_lo:[0,0,1] neg_hi:[0,0,1]
	v_pk_fma_f32 v[24:25], v[144:145], v[0:1], v[24:25]
	ds_read2_b32 v[144:145], v214 offset0:104 offset1:136
	ds_read_b128 v[4:7], v11 offset:23040
	ds_read_b128 v[0:3], v11 offset:23056
	v_mov_b32_e32 v146, 0
	v_mov_b32_e32 v147, 0
	v_mov_b32_e32 v214, 0
	s_waitcnt lgkmcnt(1)
	v_dot4c_i32_i8_e32 v146, v173, v4
	v_dot4c_i32_i8_e32 v146, v170, v5
	s_waitcnt lgkmcnt(0)
	v_dot4c_i32_i8_e32 v147, v15, v0
	v_dot4c_i32_i8_e32 v146, v171, v6
	;; [unrolled: 1-line block ×7, first 2 shown]
	v_mul_lo_u32 v146, v146, v190
	v_dot4c_i32_i8_e32 v215, v188, v4
	v_mad_u64_u32 v[146:147], s[18:19], v147, v189, v[146:147]
	v_cvt_f32_i32_e32 v152, v146
	v_mov_b32_e32 v146, 0
	v_dot4c_i32_i8_e32 v146, v186, v4
	v_mov_b32_e32 v147, 0
	v_dot4c_i32_i8_e32 v146, v183, v5
	v_dot4c_i32_i8_e32 v147, v175, v0
	;; [unrolled: 1-line block ×8, first 2 shown]
	v_mul_lo_u32 v146, v146, v204
	v_dot4c_i32_i8_e32 v214, v210, v4
	v_mad_u64_u32 v[146:147], s[18:19], v147, v202, v[146:147]
	v_cvt_f32_i32_e32 v150, v146
	v_mov_b32_e32 v146, 0
	v_dot4c_i32_i8_e32 v146, v198, v4
	v_mov_b32_e32 v147, 0
	v_dot4c_i32_i8_e32 v146, v195, v5
	v_dot4c_i32_i8_e32 v147, v191, v0
	;; [unrolled: 1-line block ×8, first 2 shown]
	v_mul_lo_u32 v146, v146, v212
	v_dot4c_i32_i8_e32 v215, v188, v5
	v_mad_u64_u32 v[146:147], s[18:19], v147, v211, v[146:147]
	v_cvt_f32_i32_e32 v148, v146
	v_mov_b32_e32 v146, 0
	v_dot4c_i32_i8_e32 v146, v208, v4
	v_dot4c_i32_i8_e32 v216, v201, v5
	;; [unrolled: 1-line block ×4, first 2 shown]
	v_mov_b32_e32 v5, 0
	v_dot4c_i32_i8_e32 v149, v174, v6
	v_dot4c_i32_i8_e32 v215, v188, v6
	;; [unrolled: 1-line block ×20, first 2 shown]
	v_mul_lo_u32 v4, v146, v213
	v_dot4c_i32_i8_e32 v214, v200, v1
	v_dot4c_i32_i8_e32 v5, v182, v3
	;; [unrolled: 1-line block ×6, first 2 shown]
	v_mad_u64_u32 v[0:1], s[18:19], v5, v203, v[4:5]
	v_dot4c_i32_i8_e32 v149, v187, v3
	v_dot4c_i32_i8_e32 v215, v199, v3
	v_dot4c_i32_i8_e32 v216, v209, v3
	v_dot4c_i32_i8_e32 v214, v200, v3
	v_cvt_f32_i32_e32 v146, v0
	ds_read_b128 v[4:7], v11 offset:24064
	ds_read_b128 v[0:3], v11 offset:24080
	v_mov_b32_e32 v147, 0
	s_waitcnt lgkmcnt(1)
	v_dot4c_i32_i8_e32 v147, v173, v4
	v_dot4c_i32_i8_e32 v147, v170, v5
	;; [unrolled: 1-line block ×8, first 2 shown]
	s_waitcnt lgkmcnt(0)
	v_dot4c_i32_i8_e32 v151, v187, v0
	v_mul_lo_u32 v170, v147, v190
	v_mov_b32_e32 v147, 0
	v_dot4c_i32_i8_e32 v147, v15, v0
	v_dot4c_i32_i8_e32 v147, v154, v1
	;; [unrolled: 1-line block ×7, first 2 shown]
	v_mov_b32_e32 v15, 0
	v_dot4c_i32_i8_e32 v15, v175, v0
	v_mad_u64_u32 v[154:155], s[18:19], v147, v189, v[170:171]
	v_cvt_f32_i32_e32 v153, v154
	v_cvt_f32_i32_e32 v155, v151
	;; [unrolled: 1-line block ×3, first 2 shown]
	v_dot4c_i32_i8_e32 v15, v176, v1
	v_dot4c_i32_i8_e32 v15, v177, v2
	;; [unrolled: 1-line block ×3, first 2 shown]
	v_pk_mul_f32 v[154:155], v[10:11], v[154:155] op_sel_hi:[0,1]
	v_mov_b32_e32 v10, 0
	v_dot4c_i32_i8_e32 v10, v188, v4
	v_pk_fma_f32 v[152:153], v[8:9], v[152:153], v[154:155] op_sel_hi:[0,1,1] neg_lo:[0,0,1] neg_hi:[0,0,1]
	v_mov_b32_e32 v8, 0
	v_dot4c_i32_i8_e32 v10, v188, v5
	v_dot4c_i32_i8_e32 v8, v186, v4
	;; [unrolled: 1-line block ×10, first 2 shown]
	v_pk_fma_f32 v[22:23], v[144:145], v[152:153], v[22:23]
	v_mul_lo_u32 v8, v8, v204
	v_dot4c_i32_i8_e32 v10, v199, v3
	v_mad_u64_u32 v[152:153], s[18:19], v15, v202, v[8:9]
	v_cvt_f32_i32_e32 v151, v152
	s_nop 0
	v_cvt_f32_i32_e32 v153, v10
	v_cvt_f32_i32_e32 v152, v215
	v_mov_b32_e32 v10, 0
	v_dot4c_i32_i8_e32 v10, v201, v4
	v_mov_b32_e32 v8, 0
	v_pk_mul_f32 v[14:15], v[14:15], v[152:153] op_sel_hi:[0,1]
	v_dot4c_i32_i8_e32 v10, v201, v5
	v_pk_fma_f32 v[14:15], v[12:13], v[150:151], v[14:15] op_sel_hi:[0,1,1] neg_lo:[0,0,1] neg_hi:[0,0,1]
	v_dot4c_i32_i8_e32 v8, v198, v4
	v_dot4c_i32_i8_e32 v10, v201, v6
	v_mov_b32_e32 v12, 0
	v_dot4c_i32_i8_e32 v8, v195, v5
	v_dot4c_i32_i8_e32 v10, v201, v7
	;; [unrolled: 1-line block ×10, first 2 shown]
	v_mul_lo_u32 v8, v8, v212
	v_dot4c_i32_i8_e32 v12, v194, v3
	v_pk_fma_f32 v[20:21], v[144:145], v[14:15], v[20:21]
	v_dot4c_i32_i8_e32 v10, v209, v3
	v_add_u32_e32 v13, 4, v13
	v_mad_u64_u32 v[14:15], s[18:19], v12, v211, v[8:9]
	s_nop 0
	v_cvt_f32_i32_e32 v15, v10
	v_mov_b32_e32 v10, 0
	v_mov_b32_e32 v8, 0
	v_dot4c_i32_i8_e32 v10, v210, v4
	v_dot4c_i32_i8_e32 v8, v208, v4
	;; [unrolled: 1-line block ×5, first 2 shown]
	v_mov_b32_e32 v5, 0
	v_dot4c_i32_i8_e32 v10, v210, v7
	v_dot4c_i32_i8_e32 v5, v179, v0
	;; [unrolled: 1-line block ×9, first 2 shown]
	v_mul_lo_u32 v4, v8, v213
	v_dot4c_i32_i8_e32 v5, v182, v3
	v_dot4c_i32_i8_e32 v10, v200, v3
	v_cvt_f32_i32_e32 v149, v14
	v_cvt_f32_i32_e32 v14, v216
	v_mad_u64_u32 v[0:1], s[18:19], v5, v203, v[4:5]
	v_cvt_f32_i32_e32 v147, v0
	v_cvt_f32_i32_e32 v1, v10
	;; [unrolled: 1-line block ×3, first 2 shown]
	v_pk_mul_f32 v[14:15], v[142:143], v[14:15] op_sel_hi:[0,1]
	v_pk_fma_f32 v[14:15], v[140:141], v[148:149], v[14:15] op_sel_hi:[0,1,1] neg_lo:[0,0,1] neg_hi:[0,0,1]
	v_pk_fma_f32 v[18:19], v[144:145], v[14:15], v[18:19]
	v_pk_mul_f32 v[0:1], v[138:139], v[0:1] op_sel_hi:[0,1]
	v_pk_fma_f32 v[0:1], v[136:137], v[146:147], v[0:1] op_sel_hi:[0,1,1] neg_lo:[0,0,1] neg_hi:[0,0,1]
	v_pk_fma_f32 v[16:17], v[144:145], v[0:1], v[16:17]
	v_add_u32_e32 v11, 32, v11
	s_cbranch_scc1 .LBB148_7
; %bb.8:                                ;   in Loop: Header=BB148_6 Depth=1
	v_add_u32_e32 v8, s9, v107
	v_add_u32_e32 v0, v8, v53
	;; [unrolled: 1-line block ×9, first 2 shown]
	v_mad_i64_i32 v[144:145], s[16:17], v8, 36, v[132:133]
	v_add_u32_e32 v8, 4, v9
	v_mad_i64_i32 v[0:1], s[16:17], v0, 36, v[132:133]
	v_mad_i64_i32 v[2:3], s[16:17], v2, 36, v[132:133]
	v_mad_i64_i32 v[4:5], s[16:17], v4, 36, v[132:133]
	v_mad_i64_i32 v[6:7], s[16:17], v6, 36, v[132:133]
	v_mad_u64_u32 v[146:147], s[16:17], v8, 36, s[2:3]
	s_barrier
	v_mad_i64_i32 v[10:11], s[16:17], v10, 36, v[132:133]
	v_mad_i64_i32 v[12:13], s[16:17], v12, 36, v[132:133]
	;; [unrolled: 1-line block ×3, first 2 shown]
	global_load_dword v8, v[146:147], off
	s_nop 0
	global_load_dword v0, v[0:1], off offset:4
	s_nop 0
	global_load_dword v1, v[2:3], off offset:4
	;; [unrolled: 2-line block ×3, first 2 shown]
	global_load_dword v3, v[6:7], off offset:4
	s_nop 0
	global_load_dword v4, v[10:11], off offset:4
	global_load_dword v5, v[12:13], off offset:4
	;; [unrolled: 1-line block ×4, first 2 shown]
	s_mov_b32 s11, 8
	s_mov_b32 s16, 0
	v_mov_b32_e32 v11, v157
	v_mov_b32_e32 v13, v156
	s_waitcnt vmcnt(8)
	v_cvt_f32_f16_e32 v8, v8
	s_waitcnt vmcnt(7)
	ds_write_b32 v57, v0
	s_waitcnt vmcnt(6)
	ds_write_b32 v61, v1
	;; [unrolled: 2-line block ×8, first 2 shown]
	ds_write_b32 v51, v8
	s_waitcnt lgkmcnt(0)
	s_barrier
.LBB148_9:                              ;   Parent Loop BB148_6 Depth=1
                                        ; =>  This Inner Loop Header: Depth=2
	s_add_i32 s17, s16, 8
	s_and_b32 s19, s17, 0x3ffffff8
	s_lshl_b32 s19, s19, 2
	v_add_u32_e32 v8, s19, v89
	ds_read2_b32 v[144:145], v13 offset1:32
	ds_read_b128 v[4:7], v11
	ds_read_b128 v[0:3], v11 offset:16
	ds_read2_b32 v[14:15], v8 offset1:1
	s_lshr_b32 s20, s17, 2
	s_and_b32 s18, s11, -16
	v_add_u32_e32 v136, s16, v121
	s_and_b32 s20, s20, 0x3ffffffc
	s_waitcnt lgkmcnt(0)
	v_ashrrev_i32_e32 v10, s16, v14
	v_and_b32_e32 v185, 0x3030303, v10
	v_ashrrev_i32_e32 v10, s16, v15
	ds_read2_b32 v[14:15], v8 offset0:2 offset1:3
	v_and_b32_e32 v182, 0x3030303, v10
	v_mov_b32_e32 v211, 0
	v_mov_b32_e32 v213, 0
	;; [unrolled: 1-line block ×3, first 2 shown]
	s_waitcnt lgkmcnt(0)
	v_ashrrev_i32_e32 v10, s16, v14
	v_and_b32_e32 v183, 0x3030303, v10
	v_ashrrev_i32_e32 v10, s16, v15
	ds_read2_b32 v[14:15], v8 offset0:4 offset1:5
	v_and_b32_e32 v184, 0x3030303, v10
	v_mov_b32_e32 v219, 0
	v_mov_b32_e32 v147, 0
	;; [unrolled: 1-line block ×3, first 2 shown]
	s_waitcnt lgkmcnt(0)
	v_ashrrev_i32_e32 v10, s16, v14
	v_and_b32_e32 v175, 0x3030303, v10
	v_ashrrev_i32_e32 v10, s16, v15
	ds_read2_b32 v[14:15], v8 offset0:6 offset1:7
	v_and_b32_e32 v176, 0x3030303, v10
	v_add_u32_e32 v10, s20, v91
	v_mov_b32_e32 v214, 0
	v_mov_b32_e32 v218, 0
	s_waitcnt lgkmcnt(0)
	v_ashrrev_i32_e32 v8, s16, v14
	v_and_b32_e32 v177, 0x3030303, v8
	v_ashrrev_i32_e32 v8, s16, v15
	v_and_b32_e32 v178, 0x3030303, v8
	v_add3_u32 v8, v143, s18, v136
	ds_read_b32 v10, v10
	ds_read_u16 v8, v8
	v_dot4c_i32_i8_e32 v147, v185, v4
	v_dot4c_i32_i8_e32 v147, v182, v5
	;; [unrolled: 1-line block ×3, first 2 shown]
	s_waitcnt lgkmcnt(1)
	v_cvt_f32_f16_sdwa v14, v10 dst_sel:DWORD dst_unused:UNUSED_PAD src0_sel:WORD_1
	s_waitcnt lgkmcnt(0)
	v_bfe_u32 v12, v8, 4, 4
	v_mul_lo_u32 v203, v12, s1
	v_and_b32_e32 v194, 15, v8
	v_lshrrev_b32_sdwa v12, v167, v8 dst_sel:DWORD dst_unused:UNUSED_PAD src0_sel:DWORD src1_sel:BYTE_1
	v_and_b32_sdwa v204, v8, v168 dst_sel:DWORD dst_unused:UNUSED_PAD src0_sel:BYTE_1 src1_sel:DWORD
	v_add_u32_e32 v8, s19, v93
	v_mul_lo_u32 v202, v12, s1
	v_mov_b32_e32 v12, 0
	ds_read2_b32 v[148:149], v8 offset1:1
	v_dot4c_i32_i8_e32 v12, v175, v0
	v_dot4c_i32_i8_e32 v12, v176, v1
	;; [unrolled: 1-line block ×7, first 2 shown]
	v_mul_lo_u32 v146, v204, v12
	v_cvt_f32_f16_e32 v12, v10
	s_waitcnt lgkmcnt(0)
	v_ashrrev_i32_e32 v10, s16, v148
	v_and_b32_e32 v199, 0x3030303, v10
	v_ashrrev_i32_e32 v10, s16, v149
	ds_read2_b32 v[148:149], v8 offset0:2 offset1:3
	v_and_b32_e32 v196, 0x3030303, v10
	v_dot4c_i32_i8_e32 v212, v199, v4
	v_dot4c_i32_i8_e32 v211, v203, v7
	;; [unrolled: 1-line block ×3, first 2 shown]
	s_waitcnt lgkmcnt(0)
	v_ashrrev_i32_e32 v10, s16, v148
	v_and_b32_e32 v197, 0x3030303, v10
	v_ashrrev_i32_e32 v10, s16, v149
	ds_read2_b32 v[148:149], v8 offset0:4 offset1:5
	v_and_b32_e32 v198, 0x3030303, v10
	v_dot4c_i32_i8_e32 v211, v202, v1
	v_dot4c_i32_i8_e32 v212, v196, v5
	;; [unrolled: 1-line block ×3, first 2 shown]
	s_waitcnt lgkmcnt(0)
	v_ashrrev_i32_e32 v10, s16, v148
	v_and_b32_e32 v189, 0x3030303, v10
	v_ashrrev_i32_e32 v10, s16, v149
	ds_read2_b32 v[148:149], v8 offset0:6 offset1:7
	v_and_b32_e32 v190, 0x3030303, v10
	v_add_u32_e32 v10, s20, v95
	v_dot4c_i32_i8_e32 v212, v197, v6
	v_dot4c_i32_i8_e32 v147, v184, v7
	s_waitcnt lgkmcnt(0)
	v_ashrrev_i32_e32 v8, s16, v148
	v_and_b32_e32 v191, 0x3030303, v8
	v_ashrrev_i32_e32 v8, s16, v149
	v_and_b32_e32 v192, 0x3030303, v8
	v_add3_u32 v8, v141, s18, v136
	ds_read_b32 v10, v10
	ds_read_u16 v8, v8
	v_dot4c_i32_i8_e32 v211, v202, v3
	v_dot4c_i32_i8_e32 v212, v198, v7
	v_mov_b32_e32 v220, 0
	s_waitcnt lgkmcnt(1)
	v_cvt_f32_f16_e32 v140, v10
	s_waitcnt lgkmcnt(0)
	v_bfe_u32 v15, v8, 4, 4
	v_mul_lo_u32 v201, v15, s1
	v_and_b32_e32 v207, 15, v8
	v_lshrrev_b32_sdwa v15, v167, v8 dst_sel:DWORD dst_unused:UNUSED_PAD src0_sel:DWORD src1_sel:BYTE_1
	v_and_b32_sdwa v210, v8, v168 dst_sel:DWORD dst_unused:UNUSED_PAD src0_sel:BYTE_1 src1_sel:DWORD
	v_add_u32_e32 v8, s19, v97
	ds_read2_b32 v[150:151], v8 offset1:1
	ds_read2_b32 v[152:153], v8 offset0:6 offset1:7
	v_cvt_f32_f16_sdwa v142, v10 dst_sel:DWORD dst_unused:UNUSED_PAD src0_sel:WORD_1
	v_mul_lo_u32 v209, v15, s1
	v_mov_b32_e32 v15, 0
	s_waitcnt lgkmcnt(1)
	v_ashrrev_i32_e32 v10, s16, v150
	v_and_b32_e32 v208, 0x3030303, v10
	v_ashrrev_i32_e32 v10, s16, v151
	ds_read2_b32 v[150:151], v8 offset0:2 offset1:3
	v_and_b32_e32 v154, 0x3030303, v10
	v_dot4c_i32_i8_e32 v15, v189, v0
	v_dot4c_i32_i8_e32 v15, v190, v1
	;; [unrolled: 1-line block ×3, first 2 shown]
	s_waitcnt lgkmcnt(0)
	v_ashrrev_i32_e32 v10, s16, v150
	v_and_b32_e32 v155, 0x3030303, v10
	v_ashrrev_i32_e32 v10, s16, v151
	ds_read2_b32 v[150:151], v8 offset0:4 offset1:5
	v_dot4c_i32_i8_e32 v15, v192, v3
	v_and_b32_e32 v169, 0x3030303, v10
	v_ashrrev_i32_e32 v8, s16, v152
	v_dot4c_i32_i8_e32 v213, v201, v4
	s_waitcnt lgkmcnt(0)
	v_ashrrev_i32_e32 v10, s16, v150
	v_mul_lo_u32 v148, v210, v15
	v_and_b32_e32 v15, 0x3030303, v10
	v_ashrrev_i32_e32 v10, s16, v151
	v_and_b32_e32 v151, 0x3030303, v8
	v_ashrrev_i32_e32 v8, s16, v153
	v_and_b32_e32 v149, 0x3030303, v10
	v_and_b32_e32 v153, 0x3030303, v8
	v_add3_u32 v8, v139, s18, v136
	v_add_u32_e32 v10, s20, v99
	ds_read_b32 v10, v10
	ds_read_u16 v8, v8
	v_add3_u32 v136, v137, s18, v136
	v_dot4c_i32_i8_e32 v213, v201, v5
	v_dot4c_i32_i8_e32 v214, v208, v4
	;; [unrolled: 1-line block ×3, first 2 shown]
	s_waitcnt lgkmcnt(0)
	v_bfe_u32 v138, v8, 4, 4
	v_mul_lo_u32 v174, v138, s1
	v_lshrrev_b32_sdwa v138, v167, v8 dst_sel:DWORD dst_unused:UNUSED_PAD src0_sel:DWORD src1_sel:BYTE_1
	v_mul_lo_u32 v193, v138, s1
	v_mov_b32_e32 v138, 0
	v_dot4c_i32_i8_e32 v138, v15, v0
	v_dot4c_i32_i8_e32 v138, v149, v1
	;; [unrolled: 1-line block ×4, first 2 shown]
	v_and_b32_sdwa v195, v8, v168 dst_sel:DWORD dst_unused:UNUSED_PAD src0_sel:BYTE_1 src1_sel:DWORD
	v_dot4c_i32_i8_e32 v215, v174, v4
	v_dot4c_i32_i8_e32 v215, v174, v5
	v_mul_lo_u32 v150, v195, v138
	v_add_u32_e32 v138, s19, v101
	ds_read2_b32 v[170:171], v138 offset1:1
	ds_read2_b32 v[172:173], v138 offset0:6 offset1:7
	v_dot4c_i32_i8_e32 v215, v174, v6
	v_dot4c_i32_i8_e32 v213, v201, v7
	v_dot4c_i32_i8_e32 v215, v174, v7
	s_waitcnt lgkmcnt(1)
	v_ashrrev_i32_e32 v152, s16, v170
	v_and_b32_e32 v187, 0x3030303, v152
	v_ashrrev_i32_e32 v152, s16, v171
	ds_read2_b32 v[170:171], v138 offset0:2 offset1:3
	v_and_b32_e32 v179, 0x3030303, v152
	v_dot4c_i32_i8_e32 v218, v187, v4
	v_dot4c_i32_i8_e32 v213, v209, v0
	;; [unrolled: 1-line block ×3, first 2 shown]
	s_waitcnt lgkmcnt(0)
	v_ashrrev_i32_e32 v152, s16, v170
	v_and_b32_e32 v180, 0x3030303, v152
	v_ashrrev_i32_e32 v152, s16, v171
	ds_read2_b32 v[170:171], v138 offset0:4 offset1:5
	v_ashrrev_i32_e32 v138, s16, v172
	v_and_b32_e32 v172, 0x3030303, v138
	v_ashrrev_i32_e32 v138, s16, v173
	v_and_b32_e32 v173, 0x3030303, v138
	v_add_u32_e32 v138, s20, v105
	ds_read_b32 v138, v138
	ds_read_u16 v136, v136
	v_and_b32_e32 v181, 0x3030303, v152
	s_waitcnt lgkmcnt(2)
	v_ashrrev_i32_e32 v152, s16, v170
	v_and_b32_e32 v170, 0x3030303, v152
	v_ashrrev_i32_e32 v152, s16, v171
	v_and_b32_e32 v171, 0x3030303, v152
	s_waitcnt lgkmcnt(0)
	v_bfe_u32 v152, v136, 4, 4
	v_mul_lo_u32 v188, v152, s1
	v_dot4c_i32_i8_e32 v219, v188, v4
	v_dot4c_i32_i8_e32 v219, v188, v5
	v_lshrrev_b32_sdwa v4, v167, v136 dst_sel:DWORD dst_unused:UNUSED_PAD src0_sel:DWORD src1_sel:BYTE_1
	v_dot4c_i32_i8_e32 v219, v188, v6
	v_mul_lo_u32 v205, v4, s1
	v_mov_b32_e32 v4, 0
	v_dot4c_i32_i8_e32 v219, v188, v7
	v_dot4c_i32_i8_e32 v4, v170, v0
	;; [unrolled: 1-line block ×16, first 2 shown]
	v_and_b32_sdwa v206, v136, v168 dst_sel:DWORD dst_unused:UNUSED_PAD src0_sel:BYTE_1 src1_sel:DWORD
	v_dot4c_i32_i8_e32 v213, v209, v3
	v_dot4c_i32_i8_e32 v214, v169, v7
	;; [unrolled: 1-line block ×5, first 2 shown]
	v_mul_lo_u32 v152, v206, v4
	ds_read_b128 v[4:7], v11 offset:1024
	ds_read_b128 v[0:3], v11 offset:1040
	v_mov_b32_e32 v216, 0
	v_mov_b32_e32 v217, 0
	v_mad_u64_u32 v[146:147], s[18:19], v194, v147, v[146:147]
	s_waitcnt lgkmcnt(1)
	v_dot4c_i32_i8_e32 v220, v203, v4
	v_dot4c_i32_i8_e32 v220, v203, v5
	;; [unrolled: 1-line block ×6, first 2 shown]
	s_waitcnt lgkmcnt(0)
	v_dot4c_i32_i8_e32 v217, v175, v0
	v_dot4c_i32_i8_e32 v216, v183, v6
	;; [unrolled: 1-line block ×8, first 2 shown]
	v_mul_lo_u32 v216, v216, v194
	v_dot4c_i32_i8_e32 v217, v178, v3
	v_dot4c_i32_i8_e32 v220, v202, v3
	v_cvt_f32_i32_e32 v147, v146
	v_cvt_f32_i32_e32 v213, v213
	v_mad_u64_u32 v[216:217], s[18:19], v217, v204, v[216:217]
	v_cvt_f32_i32_e32 v146, v216
	v_cvt_f32_i32_e32 v217, v211
	v_cvt_f32_i32_e32 v216, v220
	v_mov_b32_e32 v211, 0
	v_dot4c_i32_i8_e32 v211, v201, v4
	v_dot4c_i32_i8_e32 v211, v201, v5
	v_pk_mul_f32 v[216:217], v[14:15], v[216:217] op_sel_hi:[0,1]
	v_pk_fma_f32 v[216:217], v[12:13], v[146:147], v[216:217] op_sel_hi:[0,1,1] neg_lo:[0,0,1] neg_hi:[0,0,1]
	v_mov_b32_e32 v147, v144
	v_mov_b32_e32 v144, 0
	v_dot4c_i32_i8_e32 v211, v201, v6
	v_mov_b32_e32 v146, v145
	v_dot4c_i32_i8_e32 v144, v199, v4
	v_dot4c_i32_i8_e32 v211, v201, v7
	v_mov_b32_e32 v145, 0
	v_dot4c_i32_i8_e32 v144, v196, v5
	v_dot4c_i32_i8_e32 v145, v189, v0
	v_dot4c_i32_i8_e32 v211, v209, v0
	v_dot4c_i32_i8_e32 v144, v197, v6
	v_dot4c_i32_i8_e32 v145, v190, v1
	v_dot4c_i32_i8_e32 v211, v209, v1
	v_dot4c_i32_i8_e32 v144, v198, v7
	v_dot4c_i32_i8_e32 v145, v191, v2
	v_dot4c_i32_i8_e32 v211, v209, v2
	v_dot4c_i32_i8_e32 v145, v192, v3
	v_mul_lo_u32 v144, v144, v207
	v_dot4c_i32_i8_e32 v211, v209, v3
	v_pk_fma_f32 v[118:119], v[146:147], v[216:217], v[118:119]
	v_mad_u64_u32 v[144:145], s[18:19], v145, v210, v[144:145]
	v_mad_u64_u32 v[216:217], s[18:19], v207, v212, v[148:149]
	v_cvt_f32_i32_e32 v212, v211
	v_cvt_f32_i32_e32 v145, v216
	v_cvt_f32_i32_e32 v144, v144
	v_mov_b32_e32 v148, 0
	v_pk_mul_f32 v[212:213], v[142:143], v[212:213] op_sel_hi:[0,1]
	v_dot4c_i32_i8_e32 v148, v174, v4
	v_pk_fma_f32 v[144:145], v[140:141], v[144:145], v[212:213] op_sel_hi:[0,1,1] neg_lo:[0,0,1] neg_hi:[0,0,1]
	v_pk_fma_f32 v[116:117], v[146:147], v[144:145], v[116:117]
	v_mov_b32_e32 v144, 0
	v_dot4c_i32_i8_e32 v148, v174, v5
	v_dot4c_i32_i8_e32 v144, v208, v4
	;; [unrolled: 1-line block ×3, first 2 shown]
	v_mov_b32_e32 v145, 0
	v_dot4c_i32_i8_e32 v144, v154, v5
	v_dot4c_i32_i8_e32 v148, v174, v7
	;; [unrolled: 1-line block ×6, first 2 shown]
	v_and_b32_e32 v186, 15, v8
	v_dot4c_i32_i8_e32 v144, v169, v7
	v_dot4c_i32_i8_e32 v148, v193, v1
	v_dot4c_i32_i8_e32 v145, v151, v2
	v_dot4c_i32_i8_e32 v148, v193, v2
	v_mul_lo_u32 v144, v144, v186
	v_dot4c_i32_i8_e32 v145, v153, v3
	v_dot4c_i32_i8_e32 v148, v193, v3
	v_mad_u64_u32 v[212:213], s[18:19], v186, v214, v[150:151]
	s_nop 0
	v_mad_u64_u32 v[144:145], s[18:19], v145, v195, v[144:145]
	v_cvt_f32_f16_e32 v8, v10
	v_cvt_f32_f16_sdwa v10, v10 dst_sel:DWORD dst_unused:UNUSED_PAD src0_sel:WORD_1
	v_cvt_f32_i32_e32 v145, v212
	v_cvt_f32_i32_e32 v213, v215
	;; [unrolled: 1-line block ×4, first 2 shown]
	v_and_b32_e32 v200, 15, v136
	v_cvt_f32_f16_e32 v136, v138
	v_pk_mul_f32 v[212:213], v[10:11], v[212:213] op_sel_hi:[0,1]
	v_pk_fma_f32 v[144:145], v[8:9], v[144:145], v[212:213] op_sel_hi:[0,1,1] neg_lo:[0,0,1] neg_hi:[0,0,1]
	v_pk_fma_f32 v[102:103], v[146:147], v[144:145], v[102:103]
	v_mov_b32_e32 v145, 0
	v_mov_b32_e32 v144, 0
	v_dot4c_i32_i8_e32 v145, v188, v4
	v_dot4c_i32_i8_e32 v144, v187, v4
	;; [unrolled: 1-line block ×5, first 2 shown]
	v_mov_b32_e32 v5, 0
	v_dot4c_i32_i8_e32 v145, v188, v7
	v_dot4c_i32_i8_e32 v5, v170, v0
	;; [unrolled: 1-line block ×9, first 2 shown]
	v_mul_lo_u32 v4, v144, v200
	v_dot4c_i32_i8_e32 v5, v173, v3
	v_dot4c_i32_i8_e32 v145, v205, v3
	v_mad_u64_u32 v[2:3], s[18:19], v200, v218, v[152:153]
	s_nop 0
	v_mad_u64_u32 v[0:1], s[18:19], v5, v206, v[4:5]
	v_cvt_f32_f16_sdwa v138, v138 dst_sel:DWORD dst_unused:UNUSED_PAD src0_sel:WORD_1
	v_cvt_f32_i32_e32 v1, v2
	v_cvt_f32_i32_e32 v3, v219
	;; [unrolled: 1-line block ×4, first 2 shown]
	v_mov_b32_e32 v211, 0
	v_mov_b32_e32 v217, 0
	v_pk_mul_f32 v[2:3], v[138:139], v[2:3] op_sel_hi:[0,1]
	v_pk_fma_f32 v[0:1], v[136:137], v[0:1], v[2:3] op_sel_hi:[0,1,1] neg_lo:[0,0,1] neg_hi:[0,0,1]
	v_pk_fma_f32 v[82:83], v[146:147], v[0:1], v[82:83]
	ds_read2_b32 v[144:145], v13 offset0:64 offset1:96
	ds_read_b128 v[0:3], v11 offset:2048
	ds_read_b128 v[4:7], v11 offset:2064
	v_mov_b32_e32 v146, 0
	v_mov_b32_e32 v219, 0
	;; [unrolled: 1-line block ×3, first 2 shown]
	s_waitcnt lgkmcnt(1)
	v_dot4c_i32_i8_e32 v211, v203, v0
	s_waitcnt lgkmcnt(0)
	v_dot4c_i32_i8_e32 v146, v175, v4
	v_dot4c_i32_i8_e32 v146, v176, v5
	;; [unrolled: 1-line block ×7, first 2 shown]
	v_mul_lo_u32 v152, v146, v204
	v_mov_b32_e32 v146, 0
	v_dot4c_i32_i8_e32 v146, v189, v4
	v_dot4c_i32_i8_e32 v146, v190, v5
	;; [unrolled: 1-line block ×3, first 2 shown]
	v_mov_b32_e32 v147, 0
	v_dot4c_i32_i8_e32 v211, v203, v1
	v_mov_b32_e32 v216, 0
	v_dot4c_i32_i8_e32 v217, v201, v1
	v_dot4c_i32_i8_e32 v146, v192, v7
	v_mov_b32_e32 v218, 0
	v_dot4c_i32_i8_e32 v219, v174, v1
	v_mov_b32_e32 v220, 0
	v_dot4c_i32_i8_e32 v221, v188, v1
	v_dot4c_i32_i8_e32 v147, v185, v0
	;; [unrolled: 1-line block ×5, first 2 shown]
	v_mul_lo_u32 v150, v146, v210
	v_dot4c_i32_i8_e32 v218, v208, v0
	v_dot4c_i32_i8_e32 v219, v174, v2
	v_mov_b32_e32 v146, 0
	v_dot4c_i32_i8_e32 v220, v187, v0
	v_dot4c_i32_i8_e32 v221, v188, v2
	v_mov_b32_e32 v0, 0
	v_dot4c_i32_i8_e32 v211, v203, v3
	v_dot4c_i32_i8_e32 v217, v201, v3
	;; [unrolled: 1-line block ×38, first 2 shown]
	v_mul_lo_u32 v148, v146, v195
	v_dot4c_i32_i8_e32 v220, v181, v3
	v_dot4c_i32_i8_e32 v221, v205, v7
	v_mul_lo_u32 v146, v0, v206
	ds_read_b128 v[4:7], v11 offset:3072
	ds_read_b128 v[0:3], v11 offset:3088
	v_mov_b32_e32 v222, 0
	v_mov_b32_e32 v212, 0
	;; [unrolled: 1-line block ×3, first 2 shown]
	s_waitcnt lgkmcnt(1)
	v_dot4c_i32_i8_e32 v222, v203, v4
	v_dot4c_i32_i8_e32 v212, v185, v4
	v_dot4c_i32_i8_e32 v222, v203, v5
	v_dot4c_i32_i8_e32 v212, v182, v5
	v_dot4c_i32_i8_e32 v222, v203, v6
	s_waitcnt lgkmcnt(0)
	v_dot4c_i32_i8_e32 v213, v175, v0
	v_dot4c_i32_i8_e32 v212, v183, v6
	;; [unrolled: 1-line block ×4, first 2 shown]
	v_mad_u64_u32 v[214:215], s[18:19], v147, v194, v[152:153]
	v_mov_b32_e32 v147, 0
	v_dot4c_i32_i8_e32 v212, v184, v7
	v_dot4c_i32_i8_e32 v222, v202, v0
	;; [unrolled: 1-line block ×4, first 2 shown]
	v_mul_lo_u32 v212, v212, v194
	v_dot4c_i32_i8_e32 v222, v202, v1
	v_dot4c_i32_i8_e32 v213, v178, v3
	;; [unrolled: 1-line block ×5, first 2 shown]
	v_mad_u64_u32 v[212:213], s[18:19], v213, v204, v[212:213]
	v_dot4c_i32_i8_e32 v222, v202, v3
	v_cvt_f32_i32_e32 v213, v212
	v_cvt_f32_i32_e32 v212, v214
	;; [unrolled: 1-line block ×3, first 2 shown]
	v_mov_b32_e32 v211, 0
	v_dot4c_i32_i8_e32 v147, v198, v7
	v_cvt_f32_i32_e32 v215, v222
	v_dot4c_i32_i8_e32 v211, v201, v4
	v_dot4c_i32_i8_e32 v211, v201, v5
	v_mul_lo_u32 v152, v147, v207
	v_mov_b32_e32 v147, 0
	v_dot4c_i32_i8_e32 v147, v189, v0
	v_dot4c_i32_i8_e32 v211, v201, v6
	;; [unrolled: 1-line block ×5, first 2 shown]
	v_pk_mul_f32 v[214:215], v[14:15], v[214:215] op_sel_hi:[0,1]
	v_dot4c_i32_i8_e32 v211, v209, v0
	v_dot4c_i32_i8_e32 v147, v192, v3
	v_pk_fma_f32 v[212:213], v[12:13], v[212:213], v[214:215] op_sel_hi:[0,1,1] neg_lo:[0,0,1] neg_hi:[0,0,1]
	v_dot4c_i32_i8_e32 v211, v209, v1
	v_dot4c_i32_i8_e32 v211, v209, v2
	v_mad_u64_u32 v[214:215], s[18:19], v147, v210, v[152:153]
	v_mov_b32_e32 v147, 0
	v_dot4c_i32_i8_e32 v147, v208, v4
	v_pk_fma_f32 v[38:39], v[144:145], v[212:213], v[38:39]
	v_dot4c_i32_i8_e32 v211, v209, v3
	v_mad_u64_u32 v[212:213], s[18:19], v216, v207, v[150:151]
	v_dot4c_i32_i8_e32 v147, v154, v5
	v_cvt_f32_i32_e32 v213, v214
	v_cvt_f32_i32_e32 v215, v211
	;; [unrolled: 1-line block ×3, first 2 shown]
	v_dot4c_i32_i8_e32 v147, v155, v6
	v_cvt_f32_i32_e32 v212, v212
	v_dot4c_i32_i8_e32 v147, v169, v7
	v_pk_mul_f32 v[214:215], v[142:143], v[214:215] op_sel_hi:[0,1]
	v_mov_b32_e32 v152, 0
	v_pk_fma_f32 v[212:213], v[140:141], v[212:213], v[214:215] op_sel_hi:[0,1,1] neg_lo:[0,0,1] neg_hi:[0,0,1]
	v_mul_lo_u32 v150, v147, v186
	v_mov_b32_e32 v147, 0
	v_dot4c_i32_i8_e32 v147, v15, v0
	v_dot4c_i32_i8_e32 v147, v149, v1
	v_dot4c_i32_i8_e32 v147, v151, v2
	v_pk_fma_f32 v[36:37], v[144:145], v[212:213], v[36:37]
	v_dot4c_i32_i8_e32 v147, v153, v3
	v_mad_u64_u32 v[212:213], s[18:19], v218, v186, v[148:149]
	v_mov_b32_e32 v148, 0
	v_dot4c_i32_i8_e32 v152, v174, v4
	v_mad_u64_u32 v[214:215], s[18:19], v147, v195, v[150:151]
	v_mov_b32_e32 v147, 0
	v_dot4c_i32_i8_e32 v148, v188, v4
	v_dot4c_i32_i8_e32 v152, v174, v5
	;; [unrolled: 1-line block ×7, first 2 shown]
	v_mov_b32_e32 v5, 0
	v_dot4c_i32_i8_e32 v152, v174, v7
	v_dot4c_i32_i8_e32 v148, v188, v7
	;; [unrolled: 1-line block ×12, first 2 shown]
	v_mul_lo_u32 v4, v147, v200
	v_dot4c_i32_i8_e32 v148, v205, v2
	v_dot4c_i32_i8_e32 v5, v173, v3
	;; [unrolled: 1-line block ×4, first 2 shown]
	v_mad_u64_u32 v[0:1], s[18:19], v220, v200, v[146:147]
	v_mad_u64_u32 v[2:3], s[18:19], v5, v206, v[4:5]
	v_cvt_f32_i32_e32 v213, v214
	v_cvt_f32_i32_e32 v215, v152
	;; [unrolled: 1-line block ×8, first 2 shown]
	v_pk_mul_f32 v[214:215], v[10:11], v[214:215] op_sel_hi:[0,1]
	v_pk_mul_f32 v[2:3], v[138:139], v[2:3] op_sel_hi:[0,1]
	v_pk_fma_f32 v[212:213], v[8:9], v[212:213], v[214:215] op_sel_hi:[0,1,1] neg_lo:[0,0,1] neg_hi:[0,0,1]
	v_pk_fma_f32 v[0:1], v[136:137], v[0:1], v[2:3] op_sel_hi:[0,1,1] neg_lo:[0,0,1] neg_hi:[0,0,1]
	v_pk_fma_f32 v[34:35], v[144:145], v[212:213], v[34:35]
	v_pk_fma_f32 v[32:33], v[144:145], v[0:1], v[32:33]
	ds_read2_b32 v[144:145], v13 offset0:128 offset1:160
	ds_read_b128 v[0:3], v11 offset:4096
	ds_read_b128 v[4:7], v11 offset:4112
	v_mov_b32_e32 v146, 0
	v_mov_b32_e32 v211, 0
	;; [unrolled: 1-line block ×4, first 2 shown]
	s_waitcnt lgkmcnt(0)
	v_dot4c_i32_i8_e32 v146, v175, v4
	v_dot4c_i32_i8_e32 v146, v176, v5
	;; [unrolled: 1-line block ×4, first 2 shown]
	v_mov_b32_e32 v221, 0
	v_dot4c_i32_i8_e32 v211, v203, v0
	v_dot4c_i32_i8_e32 v217, v201, v0
	v_mul_lo_u32 v152, v146, v204
	v_mov_b32_e32 v146, 0
	v_dot4c_i32_i8_e32 v146, v189, v4
	v_dot4c_i32_i8_e32 v146, v190, v5
	;; [unrolled: 1-line block ×5, first 2 shown]
	v_mov_b32_e32 v147, 0
	v_dot4c_i32_i8_e32 v211, v203, v1
	v_mov_b32_e32 v216, 0
	v_dot4c_i32_i8_e32 v217, v201, v1
	v_dot4c_i32_i8_e32 v146, v192, v7
	v_mov_b32_e32 v218, 0
	v_dot4c_i32_i8_e32 v219, v174, v1
	v_mov_b32_e32 v220, 0
	v_dot4c_i32_i8_e32 v221, v188, v1
	v_dot4c_i32_i8_e32 v147, v185, v0
	;; [unrolled: 1-line block ×5, first 2 shown]
	v_mul_lo_u32 v150, v146, v210
	v_dot4c_i32_i8_e32 v218, v208, v0
	v_dot4c_i32_i8_e32 v219, v174, v2
	v_mov_b32_e32 v146, 0
	v_dot4c_i32_i8_e32 v220, v187, v0
	v_dot4c_i32_i8_e32 v221, v188, v2
	v_mov_b32_e32 v0, 0
	v_dot4c_i32_i8_e32 v211, v203, v3
	v_dot4c_i32_i8_e32 v217, v201, v3
	v_dot4c_i32_i8_e32 v219, v174, v3
	v_dot4c_i32_i8_e32 v146, v15, v4
	v_dot4c_i32_i8_e32 v221, v188, v3
	v_dot4c_i32_i8_e32 v0, v170, v4
	v_dot4c_i32_i8_e32 v211, v202, v4
	v_dot4c_i32_i8_e32 v217, v209, v4
	v_dot4c_i32_i8_e32 v219, v193, v4
	v_dot4c_i32_i8_e32 v146, v149, v5
	v_dot4c_i32_i8_e32 v221, v205, v4
	v_dot4c_i32_i8_e32 v0, v171, v5
	v_dot4c_i32_i8_e32 v147, v182, v1
	v_dot4c_i32_i8_e32 v211, v202, v5
	v_dot4c_i32_i8_e32 v216, v196, v1
	v_dot4c_i32_i8_e32 v217, v209, v5
	v_dot4c_i32_i8_e32 v218, v154, v1
	v_dot4c_i32_i8_e32 v219, v193, v5
	v_dot4c_i32_i8_e32 v146, v151, v6
	v_dot4c_i32_i8_e32 v220, v179, v1
	v_dot4c_i32_i8_e32 v221, v205, v5
	v_dot4c_i32_i8_e32 v0, v172, v6
	v_dot4c_i32_i8_e32 v147, v183, v2
	v_dot4c_i32_i8_e32 v211, v202, v6
	v_dot4c_i32_i8_e32 v216, v197, v2
	v_dot4c_i32_i8_e32 v217, v209, v6
	v_dot4c_i32_i8_e32 v218, v155, v2
	v_dot4c_i32_i8_e32 v219, v193, v6
	v_dot4c_i32_i8_e32 v146, v153, v7
	v_dot4c_i32_i8_e32 v220, v180, v2
	v_dot4c_i32_i8_e32 v221, v205, v6
	v_dot4c_i32_i8_e32 v0, v173, v7
	v_dot4c_i32_i8_e32 v147, v184, v3
	v_dot4c_i32_i8_e32 v211, v202, v7
	v_dot4c_i32_i8_e32 v216, v198, v3
	v_dot4c_i32_i8_e32 v217, v209, v7
	v_dot4c_i32_i8_e32 v218, v169, v3
	v_dot4c_i32_i8_e32 v219, v193, v7
	v_mul_lo_u32 v148, v146, v195
	v_dot4c_i32_i8_e32 v220, v181, v3
	v_dot4c_i32_i8_e32 v221, v205, v7
	v_mul_lo_u32 v146, v0, v206
	ds_read_b128 v[4:7], v11 offset:5120
	ds_read_b128 v[0:3], v11 offset:5136
	v_mov_b32_e32 v222, 0
	v_mov_b32_e32 v212, 0
	v_mov_b32_e32 v213, 0
	s_waitcnt lgkmcnt(1)
	v_dot4c_i32_i8_e32 v222, v203, v4
	v_dot4c_i32_i8_e32 v212, v185, v4
	;; [unrolled: 1-line block ×5, first 2 shown]
	s_waitcnt lgkmcnt(0)
	v_dot4c_i32_i8_e32 v213, v175, v0
	v_dot4c_i32_i8_e32 v212, v183, v6
	;; [unrolled: 1-line block ×4, first 2 shown]
	v_mad_u64_u32 v[214:215], s[18:19], v147, v194, v[152:153]
	v_mov_b32_e32 v147, 0
	v_dot4c_i32_i8_e32 v212, v184, v7
	v_dot4c_i32_i8_e32 v222, v202, v0
	;; [unrolled: 1-line block ×4, first 2 shown]
	v_mul_lo_u32 v212, v212, v194
	v_dot4c_i32_i8_e32 v222, v202, v1
	v_dot4c_i32_i8_e32 v213, v178, v3
	;; [unrolled: 1-line block ×5, first 2 shown]
	v_mad_u64_u32 v[212:213], s[18:19], v213, v204, v[212:213]
	v_dot4c_i32_i8_e32 v222, v202, v3
	v_cvt_f32_i32_e32 v213, v212
	v_cvt_f32_i32_e32 v212, v214
	v_cvt_f32_i32_e32 v214, v211
	v_mov_b32_e32 v211, 0
	v_dot4c_i32_i8_e32 v147, v198, v7
	v_cvt_f32_i32_e32 v215, v222
	v_dot4c_i32_i8_e32 v211, v201, v4
	v_dot4c_i32_i8_e32 v211, v201, v5
	v_mul_lo_u32 v152, v147, v207
	v_mov_b32_e32 v147, 0
	v_dot4c_i32_i8_e32 v147, v189, v0
	v_dot4c_i32_i8_e32 v211, v201, v6
	v_dot4c_i32_i8_e32 v147, v190, v1
	v_dot4c_i32_i8_e32 v211, v201, v7
	v_dot4c_i32_i8_e32 v147, v191, v2
	v_pk_mul_f32 v[214:215], v[14:15], v[214:215] op_sel_hi:[0,1]
	v_dot4c_i32_i8_e32 v211, v209, v0
	v_dot4c_i32_i8_e32 v147, v192, v3
	v_pk_fma_f32 v[212:213], v[12:13], v[212:213], v[214:215] op_sel_hi:[0,1,1] neg_lo:[0,0,1] neg_hi:[0,0,1]
	v_dot4c_i32_i8_e32 v211, v209, v1
	v_dot4c_i32_i8_e32 v211, v209, v2
	v_mad_u64_u32 v[214:215], s[18:19], v147, v210, v[152:153]
	v_mov_b32_e32 v147, 0
	v_dot4c_i32_i8_e32 v147, v208, v4
	v_pk_fma_f32 v[30:31], v[144:145], v[212:213], v[30:31]
	v_dot4c_i32_i8_e32 v211, v209, v3
	v_mad_u64_u32 v[212:213], s[18:19], v216, v207, v[150:151]
	v_dot4c_i32_i8_e32 v147, v154, v5
	v_cvt_f32_i32_e32 v213, v214
	v_cvt_f32_i32_e32 v215, v211
	;; [unrolled: 1-line block ×3, first 2 shown]
	v_dot4c_i32_i8_e32 v147, v155, v6
	v_cvt_f32_i32_e32 v212, v212
	v_dot4c_i32_i8_e32 v147, v169, v7
	v_pk_mul_f32 v[214:215], v[142:143], v[214:215] op_sel_hi:[0,1]
	v_mov_b32_e32 v152, 0
	v_pk_fma_f32 v[212:213], v[140:141], v[212:213], v[214:215] op_sel_hi:[0,1,1] neg_lo:[0,0,1] neg_hi:[0,0,1]
	v_mul_lo_u32 v150, v147, v186
	v_mov_b32_e32 v147, 0
	v_dot4c_i32_i8_e32 v147, v15, v0
	v_dot4c_i32_i8_e32 v147, v149, v1
	v_dot4c_i32_i8_e32 v147, v151, v2
	v_pk_fma_f32 v[28:29], v[144:145], v[212:213], v[28:29]
	v_dot4c_i32_i8_e32 v147, v153, v3
	v_mad_u64_u32 v[212:213], s[18:19], v218, v186, v[148:149]
	v_mov_b32_e32 v148, 0
	v_dot4c_i32_i8_e32 v152, v174, v4
	v_mad_u64_u32 v[214:215], s[18:19], v147, v195, v[150:151]
	v_mov_b32_e32 v147, 0
	v_dot4c_i32_i8_e32 v148, v188, v4
	v_dot4c_i32_i8_e32 v152, v174, v5
	;; [unrolled: 1-line block ×7, first 2 shown]
	v_mov_b32_e32 v5, 0
	v_dot4c_i32_i8_e32 v152, v174, v7
	v_dot4c_i32_i8_e32 v148, v188, v7
	;; [unrolled: 1-line block ×12, first 2 shown]
	v_mul_lo_u32 v4, v147, v200
	v_dot4c_i32_i8_e32 v148, v205, v2
	v_dot4c_i32_i8_e32 v5, v173, v3
	;; [unrolled: 1-line block ×4, first 2 shown]
	v_mad_u64_u32 v[0:1], s[18:19], v220, v200, v[146:147]
	v_mad_u64_u32 v[2:3], s[18:19], v5, v206, v[4:5]
	v_cvt_f32_i32_e32 v213, v214
	v_cvt_f32_i32_e32 v215, v152
	;; [unrolled: 1-line block ×8, first 2 shown]
	v_pk_mul_f32 v[214:215], v[10:11], v[214:215] op_sel_hi:[0,1]
	v_pk_mul_f32 v[2:3], v[138:139], v[2:3] op_sel_hi:[0,1]
	v_pk_fma_f32 v[212:213], v[8:9], v[212:213], v[214:215] op_sel_hi:[0,1,1] neg_lo:[0,0,1] neg_hi:[0,0,1]
	v_pk_fma_f32 v[0:1], v[136:137], v[0:1], v[2:3] op_sel_hi:[0,1,1] neg_lo:[0,0,1] neg_hi:[0,0,1]
	v_pk_fma_f32 v[26:27], v[144:145], v[212:213], v[26:27]
	v_pk_fma_f32 v[24:25], v[144:145], v[0:1], v[24:25]
	ds_read2_b32 v[144:145], v13 offset0:192 offset1:224
	ds_read_b128 v[0:3], v11 offset:6144
	ds_read_b128 v[4:7], v11 offset:6160
	v_mov_b32_e32 v146, 0
	v_mov_b32_e32 v215, 0
	v_mov_b32_e32 v217, 0
	v_mov_b32_e32 v212, 0
	s_waitcnt lgkmcnt(0)
	v_dot4c_i32_i8_e32 v146, v175, v4
	v_dot4c_i32_i8_e32 v146, v176, v5
	;; [unrolled: 1-line block ×4, first 2 shown]
	v_mov_b32_e32 v147, 0
	v_dot4c_i32_i8_e32 v215, v203, v0
	v_dot4c_i32_i8_e32 v217, v201, v0
	v_mul_lo_u32 v152, v146, v204
	v_mov_b32_e32 v146, 0
	v_dot4c_i32_i8_e32 v146, v189, v4
	v_dot4c_i32_i8_e32 v146, v190, v5
	;; [unrolled: 1-line block ×5, first 2 shown]
	v_mov_b32_e32 v214, 0
	v_dot4c_i32_i8_e32 v215, v203, v1
	v_mov_b32_e32 v216, 0
	v_dot4c_i32_i8_e32 v217, v201, v1
	v_dot4c_i32_i8_e32 v146, v192, v7
	v_mov_b32_e32 v213, 0
	v_dot4c_i32_i8_e32 v212, v174, v1
	v_mov_b32_e32 v211, 0
	v_dot4c_i32_i8_e32 v147, v188, v1
	v_dot4c_i32_i8_e32 v214, v185, v0
	;; [unrolled: 1-line block ×5, first 2 shown]
	v_mul_lo_u32 v150, v146, v210
	v_dot4c_i32_i8_e32 v213, v208, v0
	v_dot4c_i32_i8_e32 v212, v174, v2
	v_mov_b32_e32 v146, 0
	v_dot4c_i32_i8_e32 v211, v187, v0
	v_dot4c_i32_i8_e32 v147, v188, v2
	v_mov_b32_e32 v0, 0
	v_dot4c_i32_i8_e32 v215, v203, v3
	v_dot4c_i32_i8_e32 v217, v201, v3
	;; [unrolled: 1-line block ×38, first 2 shown]
	v_mul_lo_u32 v148, v146, v195
	v_dot4c_i32_i8_e32 v211, v181, v3
	v_dot4c_i32_i8_e32 v147, v205, v7
	v_mul_lo_u32 v146, v0, v206
	ds_read_b128 v[4:7], v11 offset:7168
	ds_read_b128 v[0:3], v11 offset:7184
	v_mov_b32_e32 v218, 0
	s_add_i32 s11, s11, 2
	s_add_i32 s16, s16, 2
	s_waitcnt lgkmcnt(1)
	v_dot4c_i32_i8_e32 v218, v185, v4
	v_mov_b32_e32 v185, 0
	v_dot4c_i32_i8_e32 v185, v203, v4
	v_dot4c_i32_i8_e32 v218, v182, v5
	;; [unrolled: 1-line block ×5, first 2 shown]
	v_mov_b32_e32 v183, 0
	v_dot4c_i32_i8_e32 v185, v203, v7
	s_waitcnt lgkmcnt(0)
	v_dot4c_i32_i8_e32 v183, v175, v0
	v_dot4c_i32_i8_e32 v185, v202, v0
	;; [unrolled: 1-line block ×7, first 2 shown]
	v_mul_lo_u32 v182, v218, v194
	v_dot4c_i32_i8_e32 v183, v178, v3
	v_dot4c_i32_i8_e32 v185, v202, v3
	v_mad_u64_u32 v[176:177], s[18:19], v214, v194, v[152:153]
	s_nop 0
	v_mad_u64_u32 v[182:183], s[18:19], v183, v204, v[182:183]
	v_cvt_f32_i32_e32 v177, v182
	v_cvt_f32_i32_e32 v183, v185
	;; [unrolled: 1-line block ×4, first 2 shown]
	v_mov_b32_e32 v152, 0
	v_dot4c_i32_i8_e32 v152, v189, v0
	v_pk_mul_f32 v[182:183], v[14:15], v[182:183] op_sel_hi:[0,1]
	v_mov_b32_e32 v14, 0
	v_dot4c_i32_i8_e32 v14, v201, v4
	v_pk_fma_f32 v[176:177], v[12:13], v[176:177], v[182:183] op_sel_hi:[0,1,1] neg_lo:[0,0,1] neg_hi:[0,0,1]
	v_mov_b32_e32 v12, 0
	v_dot4c_i32_i8_e32 v14, v201, v5
	v_dot4c_i32_i8_e32 v12, v199, v4
	;; [unrolled: 1-line block ×12, first 2 shown]
	v_mul_lo_u32 v12, v12, v207
	v_dot4c_i32_i8_e32 v152, v192, v3
	v_pk_fma_f32 v[22:23], v[144:145], v[176:177], v[22:23]
	v_dot4c_i32_i8_e32 v14, v209, v3
	v_mad_u64_u32 v[176:177], s[18:19], v216, v207, v[150:151]
	v_mad_u64_u32 v[182:183], s[18:19], v152, v210, v[12:13]
	v_cvt_f32_i32_e32 v177, v182
	v_cvt_f32_i32_e32 v183, v14
	v_cvt_f32_i32_e32 v182, v217
	v_cvt_f32_i32_e32 v176, v176
	v_mov_b32_e32 v12, 0
	v_dot4c_i32_i8_e32 v12, v208, v4
	v_pk_mul_f32 v[182:183], v[142:143], v[182:183] op_sel_hi:[0,1]
	v_pk_fma_f32 v[176:177], v[140:141], v[176:177], v[182:183] op_sel_hi:[0,1,1] neg_lo:[0,0,1] neg_hi:[0,0,1]
	v_mov_b32_e32 v140, 0
	v_dot4c_i32_i8_e32 v140, v174, v4
	v_dot4c_i32_i8_e32 v140, v174, v5
	;; [unrolled: 1-line block ×3, first 2 shown]
	v_mov_b32_e32 v142, 0
	v_dot4c_i32_i8_e32 v12, v154, v5
	v_dot4c_i32_i8_e32 v140, v174, v7
	;; [unrolled: 1-line block ×10, first 2 shown]
	v_mul_lo_u32 v12, v12, v186
	v_dot4c_i32_i8_e32 v142, v153, v3
	v_dot4c_i32_i8_e32 v140, v193, v3
	v_mad_u64_u32 v[14:15], s[18:19], v213, v186, v[148:149]
	s_nop 0
	v_mad_u64_u32 v[148:149], s[18:19], v142, v195, v[12:13]
	v_cvt_f32_i32_e32 v15, v148
	v_cvt_f32_i32_e32 v149, v140
	;; [unrolled: 1-line block ×4, first 2 shown]
	v_pk_fma_f32 v[20:21], v[144:145], v[176:177], v[20:21]
	v_add_u32_e32 v13, 4, v13
	v_pk_mul_f32 v[148:149], v[10:11], v[148:149] op_sel_hi:[0,1]
	v_mov_b32_e32 v10, 0
	v_pk_fma_f32 v[14:15], v[8:9], v[14:15], v[148:149] op_sel_hi:[0,1,1] neg_lo:[0,0,1] neg_hi:[0,0,1]
	v_mov_b32_e32 v8, 0
	v_dot4c_i32_i8_e32 v10, v188, v4
	v_dot4c_i32_i8_e32 v8, v187, v4
	;; [unrolled: 1-line block ×5, first 2 shown]
	v_mov_b32_e32 v5, 0
	v_dot4c_i32_i8_e32 v10, v188, v7
	v_dot4c_i32_i8_e32 v5, v170, v0
	;; [unrolled: 1-line block ×9, first 2 shown]
	v_mul_lo_u32 v4, v8, v200
	v_dot4c_i32_i8_e32 v5, v173, v3
	v_dot4c_i32_i8_e32 v10, v205, v3
	v_mad_u64_u32 v[0:1], s[18:19], v211, v200, v[146:147]
	s_nop 0
	v_mad_u64_u32 v[2:3], s[18:19], v5, v206, v[4:5]
	v_cvt_f32_i32_e32 v1, v2
	v_cvt_f32_i32_e32 v3, v10
	;; [unrolled: 1-line block ×4, first 2 shown]
	v_pk_fma_f32 v[18:19], v[144:145], v[14:15], v[18:19]
	v_add_u32_e32 v11, 32, v11
	v_pk_mul_f32 v[2:3], v[138:139], v[2:3] op_sel_hi:[0,1]
	v_pk_fma_f32 v[0:1], v[136:137], v[0:1], v[2:3] op_sel_hi:[0,1,1] neg_lo:[0,0,1] neg_hi:[0,0,1]
	v_pk_fma_f32 v[16:17], v[144:145], v[0:1], v[16:17]
	s_cmp_lt_u32 s17, 14
	s_cbranch_scc1 .LBB148_9
; %bb.10:                               ;   in Loop: Header=BB148_6 Depth=1
	s_or_b32 s11, s0, 1
	s_cmp_ge_i32 s11, s4
	s_barrier
	s_cbranch_scc1 .LBB148_5
; %bb.11:                               ;   in Loop: Header=BB148_6 Depth=1
	v_add_u32_e32 v8, s9, v109
	v_add_u32_e32 v0, v8, v53
	;; [unrolled: 1-line block ×9, first 2 shown]
	v_mad_i64_i32 v[144:145], s[16:17], v8, 36, v[132:133]
	v_add_u32_e32 v8, 8, v9
	v_mad_i64_i32 v[0:1], s[16:17], v0, 36, v[132:133]
	v_mad_i64_i32 v[2:3], s[16:17], v2, 36, v[132:133]
	;; [unrolled: 1-line block ×4, first 2 shown]
	v_mad_u64_u32 v[146:147], s[16:17], v8, 36, s[2:3]
	v_mad_i64_i32 v[10:11], s[16:17], v10, 36, v[132:133]
	v_mad_i64_i32 v[12:13], s[16:17], v12, 36, v[132:133]
	;; [unrolled: 1-line block ×3, first 2 shown]
	global_load_dword v8, v[146:147], off
	s_nop 0
	global_load_dword v0, v[0:1], off offset:4
	s_nop 0
	global_load_dword v1, v[2:3], off offset:4
	;; [unrolled: 2-line block ×3, first 2 shown]
	global_load_dword v3, v[6:7], off offset:4
	s_nop 0
	global_load_dword v4, v[10:11], off offset:4
	global_load_dword v5, v[12:13], off offset:4
	global_load_dword v6, v[14:15], off offset:4
	global_load_dword v7, v[144:145], off offset:4
	s_mov_b32 s11, 16
	s_mov_b32 s17, 14
	v_mov_b32_e32 v11, v157
	v_mov_b32_e32 v13, v156
	s_waitcnt vmcnt(8)
	v_cvt_f32_f16_e32 v8, v8
	s_waitcnt vmcnt(7)
	ds_write_b32 v57, v0
	s_waitcnt vmcnt(6)
	ds_write_b32 v61, v1
	;; [unrolled: 2-line block ×8, first 2 shown]
	ds_write_b32 v51, v8
	s_waitcnt lgkmcnt(0)
	s_barrier
.LBB148_12:                             ;   Parent Loop BB148_6 Depth=1
                                        ; =>  This Inner Loop Header: Depth=2
	s_add_i32 s16, s17, 2
	s_and_b32 s19, s16, 0x3ffffff8
	s_lshl_b32 s19, s19, 2
	v_add_u32_e32 v8, s19, v89
	ds_read2_b32 v[144:145], v13 offset1:32
	ds_read_b128 v[4:7], v11
	ds_read_b128 v[0:3], v11 offset:16
	ds_read2_b32 v[14:15], v8 offset1:1
	s_and_b32 s18, s11, -16
	v_add_u32_e32 v12, s18, v121
	s_add_i32 s18, s17, -14
	s_lshr_b32 s20, s16, 2
	s_waitcnt lgkmcnt(0)
	v_ashrrev_i32_e32 v10, s18, v14
	v_and_b32_e32 v184, 0x3030303, v10
	v_ashrrev_i32_e32 v10, s18, v15
	ds_read2_b32 v[14:15], v8 offset0:2 offset1:3
	v_and_b32_e32 v181, 0x3030303, v10
	s_and_b32 s20, s20, 0x3ffffffc
	v_mov_b32_e32 v201, 0
	v_mov_b32_e32 v203, 0
	s_waitcnt lgkmcnt(0)
	v_ashrrev_i32_e32 v10, s18, v14
	v_and_b32_e32 v182, 0x3030303, v10
	v_ashrrev_i32_e32 v10, s18, v15
	ds_read2_b32 v[14:15], v8 offset0:4 offset1:5
	v_and_b32_e32 v183, 0x3030303, v10
	v_mov_b32_e32 v211, 0
	v_mov_b32_e32 v215, 0
	;; [unrolled: 1-line block ×3, first 2 shown]
	s_waitcnt lgkmcnt(0)
	v_ashrrev_i32_e32 v10, s18, v14
	v_and_b32_e32 v177, 0x3030303, v10
	v_ashrrev_i32_e32 v10, s18, v15
	ds_read2_b32 v[14:15], v8 offset0:6 offset1:7
	v_and_b32_e32 v178, 0x3030303, v10
	v_add_u32_e32 v10, s20, v91
	v_mov_b32_e32 v202, 0
	v_mov_b32_e32 v209, 0
	s_waitcnt lgkmcnt(0)
	v_ashrrev_i32_e32 v8, s18, v14
	v_and_b32_e32 v179, 0x3030303, v8
	v_ashrrev_i32_e32 v8, s18, v15
	v_and_b32_e32 v180, 0x3030303, v8
	v_add3_u32 v8, v131, s17, v12
	ds_read_b32 v10, v10
	ds_read_u16 v146, v8 offset:25074
	v_mov_b32_e32 v214, 0
	v_dot4c_i32_i8_e32 v147, v184, v4
	v_mov_b32_e32 v206, 0
	s_waitcnt lgkmcnt(1)
	v_cvt_f32_f16_e32 v136, v10
	s_waitcnt lgkmcnt(0)
	v_bfe_u32 v8, v146, 4, 4
	v_mul_lo_u32 v190, v8, s1
	v_lshrrev_b32_sdwa v8, v167, v146 dst_sel:DWORD dst_unused:UNUSED_PAD src0_sel:DWORD src1_sel:BYTE_1
	v_mul_lo_u32 v197, v8, s1
	v_add_u32_e32 v8, s19, v93
	ds_read2_b32 v[14:15], v8 offset1:1
	v_cvt_f32_f16_sdwa v138, v10 dst_sel:DWORD dst_unused:UNUSED_PAD src0_sel:WORD_1
	v_dot4c_i32_i8_e32 v201, v190, v4
	v_dot4c_i32_i8_e32 v201, v190, v5
	;; [unrolled: 1-line block ×3, first 2 shown]
	s_waitcnt lgkmcnt(0)
	v_ashrrev_i32_e32 v10, s18, v14
	v_and_b32_e32 v194, 0x3030303, v10
	v_ashrrev_i32_e32 v10, s18, v15
	ds_read2_b32 v[14:15], v8 offset0:2 offset1:3
	v_and_b32_e32 v191, 0x3030303, v10
	v_dot4c_i32_i8_e32 v202, v194, v4
	v_dot4c_i32_i8_e32 v201, v190, v7
	v_mov_b32_e32 v212, 0
	s_waitcnt lgkmcnt(0)
	v_ashrrev_i32_e32 v10, s18, v14
	v_and_b32_e32 v192, 0x3030303, v10
	v_ashrrev_i32_e32 v10, s18, v15
	ds_read2_b32 v[14:15], v8 offset0:4 offset1:5
	v_and_b32_e32 v193, 0x3030303, v10
	v_mov_b32_e32 v213, 0
	v_mov_b32_e32 v216, 0
	v_dot4c_i32_i8_e32 v206, v177, v0
	s_waitcnt lgkmcnt(0)
	v_ashrrev_i32_e32 v10, s18, v14
	v_and_b32_e32 v186, 0x3030303, v10
	v_ashrrev_i32_e32 v10, s18, v15
	ds_read2_b32 v[14:15], v8 offset0:6 offset1:7
	v_and_b32_e32 v187, 0x3030303, v10
	v_add_u32_e32 v10, s20, v95
	v_dot4c_i32_i8_e32 v201, v197, v0
	v_dot4c_i32_i8_e32 v212, v186, v0
	s_waitcnt lgkmcnt(0)
	v_ashrrev_i32_e32 v8, s18, v14
	v_and_b32_e32 v188, 0x3030303, v8
	v_ashrrev_i32_e32 v8, s18, v15
	v_and_b32_e32 v189, 0x3030303, v8
	v_add3_u32 v8, v127, s17, v12
	ds_read_b32 v10, v10
	ds_read_u16 v200, v8 offset:26098
	v_dot4c_i32_i8_e32 v147, v181, v5
	v_dot4c_i32_i8_e32 v206, v178, v1
	;; [unrolled: 1-line block ×3, first 2 shown]
	s_waitcnt lgkmcnt(1)
	v_cvt_f32_f16_e32 v140, v10
	s_waitcnt lgkmcnt(0)
	v_bfe_u32 v8, v200, 4, 4
	v_mul_lo_u32 v196, v8, s1
	v_lshrrev_b32_sdwa v8, v167, v200 dst_sel:DWORD dst_unused:UNUSED_PAD src0_sel:DWORD src1_sel:BYTE_1
	v_mul_lo_u32 v199, v8, s1
	v_add_u32_e32 v8, s19, v97
	ds_read2_b32 v[14:15], v8 offset1:1
	ds_read2_b32 v[148:149], v8 offset0:4 offset1:5
	v_cvt_f32_f16_sdwa v142, v10 dst_sel:DWORD dst_unused:UNUSED_PAD src0_sel:WORD_1
	ds_read2_b32 v[154:155], v8 offset0:6 offset1:7
	v_dot4c_i32_i8_e32 v203, v196, v4
	s_waitcnt lgkmcnt(2)
	v_ashrrev_i32_e32 v10, s18, v14
	v_and_b32_e32 v198, 0x3030303, v10
	v_ashrrev_i32_e32 v10, s18, v15
	ds_read2_b32 v[14:15], v8 offset0:2 offset1:3
	v_and_b32_e32 v151, 0x3030303, v10
	s_waitcnt lgkmcnt(1)
	v_ashrrev_i32_e32 v8, s18, v154
	v_dot4c_i32_i8_e32 v203, v196, v5
	v_dot4c_i32_i8_e32 v203, v196, v6
	s_waitcnt lgkmcnt(0)
	v_ashrrev_i32_e32 v10, s18, v14
	v_and_b32_e32 v152, 0x3030303, v10
	v_ashrrev_i32_e32 v10, s18, v15
	v_and_b32_e32 v153, 0x3030303, v10
	;; [unrolled: 2-line block ×4, first 2 shown]
	v_and_b32_e32 v149, 0x3030303, v8
	v_ashrrev_i32_e32 v8, s18, v155
	v_add_u32_e32 v10, s20, v99
	v_add_u32_e32 v14, s19, v101
	v_and_b32_e32 v150, 0x3030303, v8
	v_add3_u32 v8, v123, s17, v12
	ds_read_b32 v10, v10
	ds_read_u16 v208, v8 offset:27122
	ds_read2_b32 v[154:155], v14 offset1:1
	ds_read2_b32 v[204:205], v14 offset0:6 offset1:7
	v_add3_u32 v12, v113, s17, v12
	v_dot4c_i32_i8_e32 v209, v198, v4
	s_waitcnt lgkmcnt(2)
	v_bfe_u32 v8, v208, 4, 4
	s_waitcnt lgkmcnt(1)
	v_ashrrev_i32_e32 v154, s18, v154
	v_and_b32_e32 v175, 0x3030303, v154
	v_ashrrev_i32_e32 v154, s18, v155
	v_and_b32_e32 v172, 0x3030303, v154
	ds_read2_b32 v[154:155], v14 offset0:2 offset1:3
	v_mul_lo_u32 v171, v8, s1
	v_dot4c_i32_i8_e32 v211, v171, v4
	v_dot4c_i32_i8_e32 v211, v171, v5
	;; [unrolled: 1-line block ×3, first 2 shown]
	s_waitcnt lgkmcnt(0)
	v_ashrrev_i32_e32 v154, s18, v154
	v_and_b32_e32 v173, 0x3030303, v154
	v_ashrrev_i32_e32 v154, s18, v155
	v_and_b32_e32 v174, 0x3030303, v154
	ds_read2_b32 v[154:155], v14 offset0:4 offset1:5
	v_ashrrev_i32_e32 v14, s18, v204
	v_and_b32_e32 v169, 0x3030303, v14
	v_ashrrev_i32_e32 v14, s18, v205
	v_and_b32_e32 v170, 0x3030303, v14
	v_add_u32_e32 v14, s20, v105
	ds_read_b32 v14, v14
	ds_read_u16 v210, v12 offset:28146
	v_lshrrev_b32_sdwa v8, v167, v208 dst_sel:DWORD dst_unused:UNUSED_PAD src0_sel:DWORD src1_sel:BYTE_1
	s_waitcnt lgkmcnt(2)
	v_ashrrev_i32_e32 v154, s18, v154
	v_dot4c_i32_i8_e32 v214, v175, v4
	v_dot4c_i32_i8_e32 v203, v196, v7
	s_waitcnt lgkmcnt(0)
	v_bfe_u32 v12, v210, 4, 4
	v_mul_lo_u32 v176, v12, s1
	v_dot4c_i32_i8_e32 v215, v176, v4
	v_dot4c_i32_i8_e32 v215, v176, v5
	;; [unrolled: 1-line block ×3, first 2 shown]
	v_lshrrev_b32_sdwa v4, v167, v210 dst_sel:DWORD dst_unused:UNUSED_PAD src0_sel:DWORD src1_sel:BYTE_1
	v_dot4c_i32_i8_e32 v211, v171, v7
	v_mul_lo_u32 v185, v8, s1
	v_and_b32_e32 v154, 0x3030303, v154
	v_ashrrev_i32_e32 v155, s18, v155
	v_dot4c_i32_i8_e32 v215, v176, v7
	v_mul_lo_u32 v195, v4, s1
	v_dot4c_i32_i8_e32 v203, v199, v0
	v_dot4c_i32_i8_e32 v213, v15, v0
	;; [unrolled: 1-line block ×3, first 2 shown]
	v_and_b32_e32 v155, 0x3030303, v155
	v_dot4c_i32_i8_e32 v216, v154, v0
	v_dot4c_i32_i8_e32 v215, v195, v0
	;; [unrolled: 1-line block ×35, first 2 shown]
	ds_read_b128 v[4:7], v11 offset:1024
	ds_read_b128 v[0:3], v11 offset:1040
	v_mov_b32_e32 v217, 0
	v_mov_b32_e32 v207, 0
	;; [unrolled: 1-line block ×3, first 2 shown]
	s_waitcnt lgkmcnt(1)
	v_dot4c_i32_i8_e32 v217, v190, v4
	v_dot4c_i32_i8_e32 v217, v190, v5
	;; [unrolled: 1-line block ×6, first 2 shown]
	s_waitcnt lgkmcnt(0)
	v_dot4c_i32_i8_e32 v218, v177, v0
	v_dot4c_i32_i8_e32 v207, v182, v6
	;; [unrolled: 1-line block ×7, first 2 shown]
	v_and_b32_e32 v205, 15, v146
	v_and_b32_sdwa v204, v146, v168 dst_sel:DWORD dst_unused:UNUSED_PAD src0_sel:BYTE_1 src1_sel:DWORD
	v_dot4c_i32_i8_e32 v217, v197, v2
	v_dot4c_i32_i8_e32 v218, v180, v3
	v_mul_lo_u32 v146, v204, v206
	v_mul_lo_u32 v206, v205, v207
                                        ; kill: def $vgpr207 killed $sgpr0 killed $exec
	v_dot4c_i32_i8_e32 v217, v197, v3
	v_mad_u64_u32 v[206:207], s[18:19], v204, v218, v[206:207]
	v_mad_u64_u32 v[146:147], s[18:19], v205, v147, v[146:147]
	v_cvt_f32_i32_e32 v147, v146
	v_cvt_f32_i32_e32 v146, v206
	;; [unrolled: 1-line block ×4, first 2 shown]
	v_mov_b32_e32 v217, 0
	v_dot4c_i32_i8_e32 v217, v196, v4
	v_dot4c_i32_i8_e32 v217, v196, v5
	v_pk_mul_f32 v[206:207], v[138:139], v[206:207] op_sel_hi:[0,1]
	v_pk_fma_f32 v[206:207], v[136:137], v[146:147], v[206:207] op_sel_hi:[0,1,1] neg_lo:[0,0,1] neg_hi:[0,0,1]
	v_mov_b32_e32 v146, v145
	v_mov_b32_e32 v145, 0
	v_dot4c_i32_i8_e32 v145, v194, v4
	v_dot4c_i32_i8_e32 v217, v196, v6
	v_mov_b32_e32 v201, 0
	v_dot4c_i32_i8_e32 v145, v191, v5
	v_dot4c_i32_i8_e32 v217, v196, v7
	;; [unrolled: 1-line block ×3, first 2 shown]
	v_mov_b32_e32 v147, v144
	v_dot4c_i32_i8_e32 v145, v192, v6
	v_dot4c_i32_i8_e32 v217, v199, v0
	;; [unrolled: 1-line block ×3, first 2 shown]
	v_pk_fma_f32 v[118:119], v[146:147], v[206:207], v[118:119]
	v_dot4c_i32_i8_e32 v145, v193, v7
	v_dot4c_i32_i8_e32 v217, v199, v1
	;; [unrolled: 1-line block ×3, first 2 shown]
	v_and_b32_e32 v207, 15, v200
	v_and_b32_sdwa v206, v200, v168 dst_sel:DWORD dst_unused:UNUSED_PAD src0_sel:BYTE_1 src1_sel:DWORD
	v_dot4c_i32_i8_e32 v217, v199, v2
	v_dot4c_i32_i8_e32 v201, v189, v3
	v_mul_lo_u32 v144, v206, v212
	v_mul_lo_u32 v200, v207, v145
                                        ; kill: def $vgpr145 killed $sgpr0 killed $exec
	v_dot4c_i32_i8_e32 v217, v199, v3
	v_mad_u64_u32 v[200:201], s[18:19], v206, v201, v[200:201]
	v_mad_u64_u32 v[144:145], s[18:19], v207, v202, v[144:145]
	v_cvt_f32_i32_e32 v145, v144
	v_cvt_f32_i32_e32 v144, v200
	;; [unrolled: 1-line block ×4, first 2 shown]
	v_mov_b32_e32 v212, 0
	v_dot4c_i32_i8_e32 v212, v171, v4
	v_dot4c_i32_i8_e32 v212, v171, v5
	v_pk_mul_f32 v[200:201], v[142:143], v[200:201] op_sel_hi:[0,1]
	v_pk_fma_f32 v[144:145], v[140:141], v[144:145], v[200:201] op_sel_hi:[0,1,1] neg_lo:[0,0,1] neg_hi:[0,0,1]
	v_pk_fma_f32 v[116:117], v[146:147], v[144:145], v[116:117]
	v_mov_b32_e32 v145, 0
	v_dot4c_i32_i8_e32 v145, v198, v4
	v_dot4c_i32_i8_e32 v212, v171, v6
	v_mov_b32_e32 v201, 0
	v_dot4c_i32_i8_e32 v145, v151, v5
	v_dot4c_i32_i8_e32 v212, v171, v7
	;; [unrolled: 1-line block ×9, first 2 shown]
	v_and_b32_e32 v203, 15, v208
	v_and_b32_sdwa v202, v208, v168 dst_sel:DWORD dst_unused:UNUSED_PAD src0_sel:BYTE_1 src1_sel:DWORD
	v_dot4c_i32_i8_e32 v212, v185, v2
	v_dot4c_i32_i8_e32 v201, v150, v3
	v_mul_lo_u32 v144, v202, v213
	v_mul_lo_u32 v200, v203, v145
                                        ; kill: def $vgpr145 killed $sgpr0 killed $exec
	v_dot4c_i32_i8_e32 v212, v185, v3
	v_mad_u64_u32 v[200:201], s[18:19], v202, v201, v[200:201]
	v_mad_u64_u32 v[144:145], s[18:19], v203, v209, v[144:145]
	v_cvt_f32_f16_e32 v8, v10
	v_cvt_f32_f16_sdwa v10, v10 dst_sel:DWORD dst_unused:UNUSED_PAD src0_sel:WORD_1
	v_cvt_f32_i32_e32 v145, v144
	v_cvt_f32_i32_e32 v144, v200
	;; [unrolled: 1-line block ×4, first 2 shown]
	v_cvt_f32_f16_e32 v12, v14
	v_cvt_f32_f16_sdwa v14, v14 dst_sel:DWORD dst_unused:UNUSED_PAD src0_sel:WORD_1
	v_mov_b32_e32 v212, 0
	v_pk_mul_f32 v[200:201], v[10:11], v[200:201] op_sel_hi:[0,1]
	v_pk_fma_f32 v[144:145], v[8:9], v[144:145], v[200:201] op_sel_hi:[0,1,1] neg_lo:[0,0,1] neg_hi:[0,0,1]
	v_pk_fma_f32 v[102:103], v[146:147], v[144:145], v[102:103]
	v_mov_b32_e32 v145, 0
	v_dot4c_i32_i8_e32 v145, v176, v4
	v_mov_b32_e32 v144, 0
	v_dot4c_i32_i8_e32 v145, v176, v5
	v_dot4c_i32_i8_e32 v144, v175, v4
	;; [unrolled: 1-line block ×3, first 2 shown]
	v_mov_b32_e32 v4, 0
	v_dot4c_i32_i8_e32 v144, v172, v5
	v_dot4c_i32_i8_e32 v145, v176, v7
	;; [unrolled: 1-line block ×9, first 2 shown]
	v_and_b32_e32 v201, 15, v210
	v_and_b32_sdwa v200, v210, v168 dst_sel:DWORD dst_unused:UNUSED_PAD src0_sel:BYTE_1 src1_sel:DWORD
	v_dot4c_i32_i8_e32 v145, v195, v2
	v_dot4c_i32_i8_e32 v4, v170, v3
	v_mul_lo_u32 v0, v200, v216
	v_mul_lo_u32 v2, v201, v144
                                        ; kill: def $vgpr1 killed $sgpr0 killed $exec
	v_dot4c_i32_i8_e32 v145, v195, v3
	v_mad_u64_u32 v[2:3], s[18:19], v200, v4, v[2:3]
	v_mad_u64_u32 v[0:1], s[18:19], v201, v214, v[0:1]
	v_cvt_f32_i32_e32 v1, v0
	v_cvt_f32_i32_e32 v0, v2
	;; [unrolled: 1-line block ×4, first 2 shown]
	v_mov_b32_e32 v210, 0
	v_mov_b32_e32 v215, 0
	;; [unrolled: 1-line block ×3, first 2 shown]
	v_pk_mul_f32 v[2:3], v[14:15], v[2:3] op_sel_hi:[0,1]
	v_pk_fma_f32 v[0:1], v[12:13], v[0:1], v[2:3] op_sel_hi:[0,1,1] neg_lo:[0,0,1] neg_hi:[0,0,1]
	v_pk_fma_f32 v[82:83], v[146:147], v[0:1], v[82:83]
	ds_read2_b32 v[144:145], v13 offset0:64 offset1:96
	ds_read_b128 v[0:3], v11 offset:2048
	ds_read_b128 v[4:7], v11 offset:2064
	v_mov_b32_e32 v147, 0
	v_mov_b32_e32 v208, 0
	;; [unrolled: 1-line block ×3, first 2 shown]
	s_waitcnt lgkmcnt(1)
	v_dot4c_i32_i8_e32 v210, v190, v0
	v_dot4c_i32_i8_e32 v212, v196, v0
	;; [unrolled: 1-line block ×14, first 2 shown]
	v_mov_b32_e32 v213, 0
	v_mov_b32_e32 v214, 0
	v_dot4c_i32_i8_e32 v215, v171, v3
	v_mov_b32_e32 v216, 0
	v_mov_b32_e32 v217, 0
	v_dot4c_i32_i8_e32 v218, v176, v3
	v_mov_b32_e32 v219, 0
	v_dot4c_i32_i8_e32 v147, v184, v0
	s_waitcnt lgkmcnt(0)
	v_dot4c_i32_i8_e32 v208, v177, v4
	v_dot4c_i32_i8_e32 v210, v197, v4
	v_dot4c_i32_i8_e32 v211, v194, v0
	v_dot4c_i32_i8_e32 v213, v186, v4
	v_dot4c_i32_i8_e32 v212, v199, v4
	v_dot4c_i32_i8_e32 v214, v198, v0
	v_dot4c_i32_i8_e32 v216, v15, v4
	v_dot4c_i32_i8_e32 v215, v185, v4
	v_dot4c_i32_i8_e32 v217, v175, v0
	v_dot4c_i32_i8_e32 v219, v154, v4
	v_dot4c_i32_i8_e32 v218, v195, v4
	v_dot4c_i32_i8_e32 v147, v181, v1
	v_dot4c_i32_i8_e32 v208, v178, v5
	v_dot4c_i32_i8_e32 v210, v197, v5
	v_dot4c_i32_i8_e32 v211, v191, v1
	v_dot4c_i32_i8_e32 v213, v187, v5
	v_dot4c_i32_i8_e32 v212, v199, v5
	v_dot4c_i32_i8_e32 v214, v151, v1
	v_dot4c_i32_i8_e32 v216, v148, v5
	v_dot4c_i32_i8_e32 v215, v185, v5
	v_dot4c_i32_i8_e32 v217, v172, v1
	v_dot4c_i32_i8_e32 v219, v155, v5
	v_dot4c_i32_i8_e32 v218, v195, v5
	v_dot4c_i32_i8_e32 v147, v182, v2
	v_dot4c_i32_i8_e32 v208, v179, v6
	v_dot4c_i32_i8_e32 v210, v197, v6
	v_dot4c_i32_i8_e32 v211, v192, v2
	v_dot4c_i32_i8_e32 v213, v188, v6
	v_dot4c_i32_i8_e32 v212, v199, v6
	v_dot4c_i32_i8_e32 v214, v152, v2
	v_dot4c_i32_i8_e32 v216, v149, v6
	v_dot4c_i32_i8_e32 v215, v185, v6
	v_dot4c_i32_i8_e32 v217, v173, v2
	v_dot4c_i32_i8_e32 v219, v169, v6
	v_dot4c_i32_i8_e32 v218, v195, v6
	v_dot4c_i32_i8_e32 v147, v183, v3
	v_dot4c_i32_i8_e32 v208, v180, v7
	v_dot4c_i32_i8_e32 v210, v197, v7
	v_dot4c_i32_i8_e32 v211, v193, v3
	v_dot4c_i32_i8_e32 v213, v189, v7
	v_dot4c_i32_i8_e32 v212, v199, v7
	v_dot4c_i32_i8_e32 v214, v153, v3
	v_dot4c_i32_i8_e32 v216, v150, v7
	v_dot4c_i32_i8_e32 v215, v185, v7
	v_dot4c_i32_i8_e32 v217, v174, v3
	v_dot4c_i32_i8_e32 v219, v170, v7
	v_dot4c_i32_i8_e32 v218, v195, v7
	ds_read_b128 v[4:7], v11 offset:3072
	ds_read_b128 v[0:3], v11 offset:3088
	v_mov_b32_e32 v220, 0
	v_mov_b32_e32 v146, 0
	;; [unrolled: 1-line block ×3, first 2 shown]
	s_waitcnt lgkmcnt(1)
	v_dot4c_i32_i8_e32 v220, v190, v4
	v_dot4c_i32_i8_e32 v220, v190, v5
	;; [unrolled: 1-line block ×6, first 2 shown]
	s_waitcnt lgkmcnt(0)
	v_dot4c_i32_i8_e32 v221, v177, v0
	v_dot4c_i32_i8_e32 v146, v182, v6
	;; [unrolled: 1-line block ×7, first 2 shown]
	v_mul_lo_u32 v208, v208, v204
                                        ; kill: def $vgpr209 killed $sgpr0 killed $exec
	v_dot4c_i32_i8_e32 v220, v197, v2
	v_dot4c_i32_i8_e32 v221, v180, v3
	v_mul_lo_u32 v146, v146, v205
	v_mad_u64_u32 v[208:209], s[18:19], v147, v205, v[208:209]
                                        ; kill: def $vgpr147 killed $sgpr0 killed $exec
	v_dot4c_i32_i8_e32 v220, v197, v3
	v_mad_u64_u32 v[146:147], s[18:19], v221, v204, v[146:147]
	v_cvt_f32_i32_e32 v147, v146
	v_cvt_f32_i32_e32 v146, v208
	;; [unrolled: 1-line block ×4, first 2 shown]
	v_mov_b32_e32 v210, 0
	v_dot4c_i32_i8_e32 v210, v196, v4
	v_dot4c_i32_i8_e32 v210, v196, v5
	v_pk_mul_f32 v[208:209], v[138:139], v[208:209] op_sel_hi:[0,1]
	v_pk_fma_f32 v[146:147], v[136:137], v[146:147], v[208:209] op_sel_hi:[0,1,1] neg_lo:[0,0,1] neg_hi:[0,0,1]
	v_pk_fma_f32 v[38:39], v[144:145], v[146:147], v[38:39]
	v_mov_b32_e32 v146, 0
	v_dot4c_i32_i8_e32 v146, v194, v4
	v_dot4c_i32_i8_e32 v210, v196, v6
	v_mov_b32_e32 v147, 0
	v_dot4c_i32_i8_e32 v146, v191, v5
	v_dot4c_i32_i8_e32 v210, v196, v7
	;; [unrolled: 1-line block ×11, first 2 shown]
	v_mul_lo_u32 v146, v146, v207
	v_mul_lo_u32 v208, v213, v206
                                        ; kill: def $vgpr209 killed $sgpr0 killed $exec
	v_dot4c_i32_i8_e32 v210, v199, v3
	v_mad_u64_u32 v[208:209], s[18:19], v211, v207, v[208:209]
	v_mad_u64_u32 v[146:147], s[18:19], v147, v206, v[146:147]
	v_cvt_f32_i32_e32 v147, v146
	v_cvt_f32_i32_e32 v146, v208
	;; [unrolled: 1-line block ×4, first 2 shown]
	v_mov_b32_e32 v210, 0
	v_dot4c_i32_i8_e32 v210, v171, v4
	v_dot4c_i32_i8_e32 v210, v171, v5
	v_pk_mul_f32 v[208:209], v[142:143], v[208:209] op_sel_hi:[0,1]
	v_pk_fma_f32 v[146:147], v[140:141], v[146:147], v[208:209] op_sel_hi:[0,1,1] neg_lo:[0,0,1] neg_hi:[0,0,1]
	v_pk_fma_f32 v[36:37], v[144:145], v[146:147], v[36:37]
	v_mov_b32_e32 v146, 0
	v_dot4c_i32_i8_e32 v146, v198, v4
	v_dot4c_i32_i8_e32 v210, v171, v6
	v_mov_b32_e32 v147, 0
	v_dot4c_i32_i8_e32 v146, v151, v5
	v_dot4c_i32_i8_e32 v210, v171, v7
	v_dot4c_i32_i8_e32 v147, v15, v0
	v_dot4c_i32_i8_e32 v146, v152, v6
	v_dot4c_i32_i8_e32 v210, v185, v0
	v_dot4c_i32_i8_e32 v147, v148, v1
	v_dot4c_i32_i8_e32 v146, v153, v7
	v_dot4c_i32_i8_e32 v210, v185, v1
	v_dot4c_i32_i8_e32 v147, v149, v2
	v_dot4c_i32_i8_e32 v210, v185, v2
	v_dot4c_i32_i8_e32 v147, v150, v3
	v_mul_lo_u32 v146, v146, v203
	v_mul_lo_u32 v208, v216, v202
                                        ; kill: def $vgpr209 killed $sgpr0 killed $exec
	v_dot4c_i32_i8_e32 v210, v185, v3
	v_mad_u64_u32 v[208:209], s[18:19], v214, v203, v[208:209]
	v_mad_u64_u32 v[146:147], s[18:19], v147, v202, v[146:147]
	v_cvt_f32_i32_e32 v147, v146
	v_cvt_f32_i32_e32 v146, v208
	;; [unrolled: 1-line block ×4, first 2 shown]
	v_mov_b32_e32 v210, 0
	v_mov_b32_e32 v212, 0
	;; [unrolled: 1-line block ×3, first 2 shown]
	v_pk_mul_f32 v[208:209], v[10:11], v[208:209] op_sel_hi:[0,1]
	v_pk_fma_f32 v[146:147], v[8:9], v[146:147], v[208:209] op_sel_hi:[0,1,1] neg_lo:[0,0,1] neg_hi:[0,0,1]
	v_pk_fma_f32 v[34:35], v[144:145], v[146:147], v[34:35]
	v_mov_b32_e32 v147, 0
	v_dot4c_i32_i8_e32 v147, v176, v4
	v_mov_b32_e32 v146, 0
	v_dot4c_i32_i8_e32 v147, v176, v5
	v_dot4c_i32_i8_e32 v146, v175, v4
	;; [unrolled: 1-line block ×3, first 2 shown]
	v_mov_b32_e32 v4, 0
	v_dot4c_i32_i8_e32 v146, v172, v5
	v_dot4c_i32_i8_e32 v147, v176, v7
	;; [unrolled: 1-line block ×11, first 2 shown]
	v_mul_lo_u32 v0, v146, v201
	v_mul_lo_u32 v2, v219, v200
                                        ; kill: def $vgpr1 killed $sgpr0 killed $exec
	v_dot4c_i32_i8_e32 v147, v195, v3
	v_mad_u64_u32 v[2:3], s[18:19], v217, v201, v[2:3]
	v_mad_u64_u32 v[0:1], s[18:19], v4, v200, v[0:1]
	v_cvt_f32_i32_e32 v1, v0
	v_cvt_f32_i32_e32 v0, v2
	;; [unrolled: 1-line block ×4, first 2 shown]
	v_mov_b32_e32 v218, 0
	v_mov_b32_e32 v147, 0
	;; [unrolled: 1-line block ×3, first 2 shown]
	v_pk_mul_f32 v[2:3], v[14:15], v[2:3] op_sel_hi:[0,1]
	v_pk_fma_f32 v[0:1], v[12:13], v[0:1], v[2:3] op_sel_hi:[0,1,1] neg_lo:[0,0,1] neg_hi:[0,0,1]
	v_pk_fma_f32 v[32:33], v[144:145], v[0:1], v[32:33]
	ds_read2_b32 v[144:145], v13 offset0:128 offset1:160
	ds_read_b128 v[0:3], v11 offset:4096
	ds_read_b128 v[4:7], v11 offset:4112
	v_mov_b32_e32 v211, 0
	v_mov_b32_e32 v213, 0
	v_mov_b32_e32 v214, 0
	s_waitcnt lgkmcnt(1)
	v_dot4c_i32_i8_e32 v210, v190, v0
	v_dot4c_i32_i8_e32 v212, v196, v0
	;; [unrolled: 1-line block ×15, first 2 shown]
	v_mov_b32_e32 v216, 0
	v_mov_b32_e32 v217, 0
	v_dot4c_i32_i8_e32 v218, v176, v3
	v_mov_b32_e32 v219, 0
	v_dot4c_i32_i8_e32 v147, v184, v0
	s_waitcnt lgkmcnt(0)
	v_dot4c_i32_i8_e32 v208, v177, v4
	v_dot4c_i32_i8_e32 v210, v197, v4
	v_dot4c_i32_i8_e32 v211, v194, v0
	v_dot4c_i32_i8_e32 v213, v186, v4
	v_dot4c_i32_i8_e32 v212, v199, v4
	v_dot4c_i32_i8_e32 v214, v198, v0
	v_dot4c_i32_i8_e32 v216, v15, v4
	v_dot4c_i32_i8_e32 v215, v185, v4
	v_dot4c_i32_i8_e32 v217, v175, v0
	v_dot4c_i32_i8_e32 v219, v154, v4
	v_dot4c_i32_i8_e32 v218, v195, v4
	v_dot4c_i32_i8_e32 v147, v181, v1
	v_dot4c_i32_i8_e32 v208, v178, v5
	v_dot4c_i32_i8_e32 v210, v197, v5
	v_dot4c_i32_i8_e32 v211, v191, v1
	v_dot4c_i32_i8_e32 v213, v187, v5
	v_dot4c_i32_i8_e32 v212, v199, v5
	v_dot4c_i32_i8_e32 v214, v151, v1
	v_dot4c_i32_i8_e32 v216, v148, v5
	v_dot4c_i32_i8_e32 v215, v185, v5
	v_dot4c_i32_i8_e32 v217, v172, v1
	v_dot4c_i32_i8_e32 v219, v155, v5
	v_dot4c_i32_i8_e32 v218, v195, v5
	v_dot4c_i32_i8_e32 v147, v182, v2
	v_dot4c_i32_i8_e32 v208, v179, v6
	v_dot4c_i32_i8_e32 v210, v197, v6
	v_dot4c_i32_i8_e32 v211, v192, v2
	v_dot4c_i32_i8_e32 v213, v188, v6
	v_dot4c_i32_i8_e32 v212, v199, v6
	v_dot4c_i32_i8_e32 v214, v152, v2
	v_dot4c_i32_i8_e32 v216, v149, v6
	v_dot4c_i32_i8_e32 v215, v185, v6
	v_dot4c_i32_i8_e32 v217, v173, v2
	v_dot4c_i32_i8_e32 v219, v169, v6
	v_dot4c_i32_i8_e32 v218, v195, v6
	v_dot4c_i32_i8_e32 v147, v183, v3
	v_dot4c_i32_i8_e32 v208, v180, v7
	v_dot4c_i32_i8_e32 v210, v197, v7
	v_dot4c_i32_i8_e32 v211, v193, v3
	v_dot4c_i32_i8_e32 v213, v189, v7
	v_dot4c_i32_i8_e32 v212, v199, v7
	v_dot4c_i32_i8_e32 v214, v153, v3
	v_dot4c_i32_i8_e32 v216, v150, v7
	v_dot4c_i32_i8_e32 v215, v185, v7
	v_dot4c_i32_i8_e32 v217, v174, v3
	v_dot4c_i32_i8_e32 v219, v170, v7
	v_dot4c_i32_i8_e32 v218, v195, v7
	ds_read_b128 v[4:7], v11 offset:5120
	ds_read_b128 v[0:3], v11 offset:5136
	v_mov_b32_e32 v220, 0
	v_mov_b32_e32 v146, 0
	;; [unrolled: 1-line block ×3, first 2 shown]
	s_waitcnt lgkmcnt(1)
	v_dot4c_i32_i8_e32 v220, v190, v4
	v_dot4c_i32_i8_e32 v220, v190, v5
	v_dot4c_i32_i8_e32 v146, v184, v4
	v_dot4c_i32_i8_e32 v220, v190, v6
	v_dot4c_i32_i8_e32 v146, v181, v5
	v_dot4c_i32_i8_e32 v220, v190, v7
	s_waitcnt lgkmcnt(0)
	v_dot4c_i32_i8_e32 v221, v177, v0
	v_dot4c_i32_i8_e32 v146, v182, v6
	;; [unrolled: 1-line block ×7, first 2 shown]
	v_mul_lo_u32 v208, v208, v204
                                        ; kill: def $vgpr209 killed $sgpr0 killed $exec
	v_dot4c_i32_i8_e32 v220, v197, v2
	v_dot4c_i32_i8_e32 v221, v180, v3
	v_mul_lo_u32 v146, v146, v205
	v_mad_u64_u32 v[208:209], s[18:19], v147, v205, v[208:209]
                                        ; kill: def $vgpr147 killed $sgpr0 killed $exec
	v_dot4c_i32_i8_e32 v220, v197, v3
	v_mad_u64_u32 v[146:147], s[18:19], v221, v204, v[146:147]
	v_cvt_f32_i32_e32 v147, v146
	v_cvt_f32_i32_e32 v146, v208
	;; [unrolled: 1-line block ×4, first 2 shown]
	v_mov_b32_e32 v210, 0
	v_dot4c_i32_i8_e32 v210, v196, v4
	v_dot4c_i32_i8_e32 v210, v196, v5
	v_pk_mul_f32 v[208:209], v[138:139], v[208:209] op_sel_hi:[0,1]
	v_pk_fma_f32 v[146:147], v[136:137], v[146:147], v[208:209] op_sel_hi:[0,1,1] neg_lo:[0,0,1] neg_hi:[0,0,1]
	v_pk_fma_f32 v[30:31], v[144:145], v[146:147], v[30:31]
	v_mov_b32_e32 v146, 0
	v_dot4c_i32_i8_e32 v146, v194, v4
	v_dot4c_i32_i8_e32 v210, v196, v6
	v_mov_b32_e32 v147, 0
	v_dot4c_i32_i8_e32 v146, v191, v5
	v_dot4c_i32_i8_e32 v210, v196, v7
	;; [unrolled: 1-line block ×11, first 2 shown]
	v_mul_lo_u32 v146, v146, v207
	v_mul_lo_u32 v208, v213, v206
                                        ; kill: def $vgpr209 killed $sgpr0 killed $exec
	v_dot4c_i32_i8_e32 v210, v199, v3
	v_mad_u64_u32 v[208:209], s[18:19], v211, v207, v[208:209]
	v_mad_u64_u32 v[146:147], s[18:19], v147, v206, v[146:147]
	v_cvt_f32_i32_e32 v147, v146
	v_cvt_f32_i32_e32 v146, v208
	;; [unrolled: 1-line block ×4, first 2 shown]
	v_mov_b32_e32 v210, 0
	v_dot4c_i32_i8_e32 v210, v171, v4
	v_dot4c_i32_i8_e32 v210, v171, v5
	v_pk_mul_f32 v[208:209], v[142:143], v[208:209] op_sel_hi:[0,1]
	v_pk_fma_f32 v[146:147], v[140:141], v[146:147], v[208:209] op_sel_hi:[0,1,1] neg_lo:[0,0,1] neg_hi:[0,0,1]
	v_pk_fma_f32 v[28:29], v[144:145], v[146:147], v[28:29]
	v_mov_b32_e32 v146, 0
	v_dot4c_i32_i8_e32 v146, v198, v4
	v_dot4c_i32_i8_e32 v210, v171, v6
	v_mov_b32_e32 v147, 0
	v_dot4c_i32_i8_e32 v146, v151, v5
	v_dot4c_i32_i8_e32 v210, v171, v7
	;; [unrolled: 1-line block ×11, first 2 shown]
	v_mul_lo_u32 v146, v146, v203
	v_mul_lo_u32 v208, v216, v202
                                        ; kill: def $vgpr209 killed $sgpr0 killed $exec
	v_dot4c_i32_i8_e32 v210, v185, v3
	v_mad_u64_u32 v[208:209], s[18:19], v214, v203, v[208:209]
	v_mad_u64_u32 v[146:147], s[18:19], v147, v202, v[146:147]
	v_cvt_f32_i32_e32 v147, v146
	v_cvt_f32_i32_e32 v146, v208
	;; [unrolled: 1-line block ×4, first 2 shown]
	v_mov_b32_e32 v212, 0
	v_mov_b32_e32 v215, 0
	;; [unrolled: 1-line block ×3, first 2 shown]
	v_pk_mul_f32 v[208:209], v[10:11], v[208:209] op_sel_hi:[0,1]
	v_pk_fma_f32 v[146:147], v[8:9], v[146:147], v[208:209] op_sel_hi:[0,1,1] neg_lo:[0,0,1] neg_hi:[0,0,1]
	v_pk_fma_f32 v[26:27], v[144:145], v[146:147], v[26:27]
	v_mov_b32_e32 v147, 0
	v_dot4c_i32_i8_e32 v147, v176, v4
	v_mov_b32_e32 v146, 0
	v_dot4c_i32_i8_e32 v147, v176, v5
	v_dot4c_i32_i8_e32 v146, v175, v4
	;; [unrolled: 1-line block ×3, first 2 shown]
	v_mov_b32_e32 v4, 0
	v_dot4c_i32_i8_e32 v146, v172, v5
	v_dot4c_i32_i8_e32 v147, v176, v7
	;; [unrolled: 1-line block ×11, first 2 shown]
	v_mul_lo_u32 v0, v146, v201
	v_mul_lo_u32 v2, v219, v200
                                        ; kill: def $vgpr1 killed $sgpr0 killed $exec
	v_dot4c_i32_i8_e32 v147, v195, v3
	v_mad_u64_u32 v[2:3], s[18:19], v217, v201, v[2:3]
	v_mad_u64_u32 v[0:1], s[18:19], v4, v200, v[0:1]
	v_cvt_f32_i32_e32 v1, v0
	v_cvt_f32_i32_e32 v0, v2
	;; [unrolled: 1-line block ×4, first 2 shown]
	v_mov_b32_e32 v208, 0
	v_mov_b32_e32 v146, 0
	;; [unrolled: 1-line block ×3, first 2 shown]
	v_pk_mul_f32 v[2:3], v[14:15], v[2:3] op_sel_hi:[0,1]
	v_pk_fma_f32 v[0:1], v[12:13], v[0:1], v[2:3] op_sel_hi:[0,1,1] neg_lo:[0,0,1] neg_hi:[0,0,1]
	v_pk_fma_f32 v[24:25], v[144:145], v[0:1], v[24:25]
	ds_read2_b32 v[144:145], v13 offset0:192 offset1:224
	ds_read_b128 v[0:3], v11 offset:6144
	ds_read_b128 v[4:7], v11 offset:6160
	v_mov_b32_e32 v214, 0
	v_mov_b32_e32 v216, 0
	;; [unrolled: 1-line block ×3, first 2 shown]
	s_waitcnt lgkmcnt(1)
	v_dot4c_i32_i8_e32 v212, v190, v0
	v_dot4c_i32_i8_e32 v215, v196, v0
	;; [unrolled: 1-line block ×15, first 2 shown]
	v_mov_b32_e32 v217, 0
	v_mov_b32_e32 v147, 0
	v_dot4c_i32_i8_e32 v146, v176, v3
	v_mov_b32_e32 v209, 0
	v_dot4c_i32_i8_e32 v211, v184, v0
	s_waitcnt lgkmcnt(0)
	v_dot4c_i32_i8_e32 v213, v177, v4
	v_dot4c_i32_i8_e32 v212, v197, v4
	v_dot4c_i32_i8_e32 v214, v194, v0
	v_dot4c_i32_i8_e32 v216, v186, v4
	v_dot4c_i32_i8_e32 v215, v199, v4
	v_dot4c_i32_i8_e32 v210, v198, v0
	v_dot4c_i32_i8_e32 v217, v15, v4
	v_dot4c_i32_i8_e32 v208, v185, v4
	v_dot4c_i32_i8_e32 v147, v175, v0
	v_dot4c_i32_i8_e32 v209, v154, v4
	v_dot4c_i32_i8_e32 v146, v195, v4
	v_dot4c_i32_i8_e32 v211, v181, v1
	v_dot4c_i32_i8_e32 v213, v178, v5
	v_dot4c_i32_i8_e32 v212, v197, v5
	v_dot4c_i32_i8_e32 v214, v191, v1
	v_dot4c_i32_i8_e32 v216, v187, v5
	v_dot4c_i32_i8_e32 v215, v199, v5
	v_dot4c_i32_i8_e32 v210, v151, v1
	v_dot4c_i32_i8_e32 v217, v148, v5
	v_dot4c_i32_i8_e32 v208, v185, v5
	v_dot4c_i32_i8_e32 v147, v172, v1
	v_dot4c_i32_i8_e32 v209, v155, v5
	v_dot4c_i32_i8_e32 v146, v195, v5
	v_dot4c_i32_i8_e32 v211, v182, v2
	v_dot4c_i32_i8_e32 v213, v179, v6
	v_dot4c_i32_i8_e32 v212, v197, v6
	v_dot4c_i32_i8_e32 v214, v192, v2
	v_dot4c_i32_i8_e32 v216, v188, v6
	v_dot4c_i32_i8_e32 v215, v199, v6
	v_dot4c_i32_i8_e32 v210, v152, v2
	v_dot4c_i32_i8_e32 v217, v149, v6
	v_dot4c_i32_i8_e32 v208, v185, v6
	v_dot4c_i32_i8_e32 v147, v173, v2
	v_dot4c_i32_i8_e32 v209, v169, v6
	v_dot4c_i32_i8_e32 v146, v195, v6
	v_dot4c_i32_i8_e32 v211, v183, v3
	v_dot4c_i32_i8_e32 v213, v180, v7
	v_dot4c_i32_i8_e32 v212, v197, v7
	v_dot4c_i32_i8_e32 v214, v193, v3
	v_dot4c_i32_i8_e32 v216, v189, v7
	v_dot4c_i32_i8_e32 v215, v199, v7
	v_dot4c_i32_i8_e32 v210, v153, v3
	v_dot4c_i32_i8_e32 v217, v150, v7
	v_dot4c_i32_i8_e32 v208, v185, v7
	v_dot4c_i32_i8_e32 v147, v174, v3
	v_dot4c_i32_i8_e32 v209, v170, v7
	v_dot4c_i32_i8_e32 v146, v195, v7
	ds_read_b128 v[4:7], v11 offset:7168
	ds_read_b128 v[0:3], v11 offset:7184
	v_mov_b32_e32 v218, 0
	s_add_i32 s11, s11, 2
	s_cmp_lt_u32 s16, 22
	s_waitcnt lgkmcnt(1)
	v_dot4c_i32_i8_e32 v218, v184, v4
	v_mov_b32_e32 v184, 0
	v_dot4c_i32_i8_e32 v184, v190, v4
	v_dot4c_i32_i8_e32 v218, v181, v5
	;; [unrolled: 1-line block ×5, first 2 shown]
	v_mov_b32_e32 v182, 0
	v_dot4c_i32_i8_e32 v184, v190, v7
	s_waitcnt lgkmcnt(0)
	v_dot4c_i32_i8_e32 v182, v177, v0
	v_dot4c_i32_i8_e32 v184, v197, v0
	;; [unrolled: 1-line block ×8, first 2 shown]
	v_mul_lo_u32 v178, v218, v205
	v_mul_lo_u32 v180, v213, v204
	v_dot4c_i32_i8_e32 v184, v197, v3
	v_mad_u64_u32 v[180:181], s[18:19], v211, v205, v[180:181]
	v_mad_u64_u32 v[178:179], s[18:19], v182, v204, v[178:179]
	v_cvt_f32_i32_e32 v179, v178
	v_cvt_f32_i32_e32 v178, v180
	v_cvt_f32_i32_e32 v181, v184
	v_cvt_f32_i32_e32 v180, v212
	v_mov_b32_e32 v177, 0
	v_dot4c_i32_i8_e32 v177, v196, v4
	v_dot4c_i32_i8_e32 v177, v196, v5
	v_pk_mul_f32 v[180:181], v[138:139], v[180:181] op_sel_hi:[0,1]
	v_pk_fma_f32 v[178:179], v[136:137], v[178:179], v[180:181] op_sel_hi:[0,1,1] neg_lo:[0,0,1] neg_hi:[0,0,1]
	v_mov_b32_e32 v136, 0
	v_dot4c_i32_i8_e32 v136, v194, v4
	v_dot4c_i32_i8_e32 v177, v196, v6
	v_mov_b32_e32 v180, 0
	v_dot4c_i32_i8_e32 v136, v191, v5
	v_dot4c_i32_i8_e32 v177, v196, v7
	;; [unrolled: 1-line block ×11, first 2 shown]
	v_mul_lo_u32 v136, v136, v207
	v_mul_lo_u32 v138, v216, v206
	v_pk_fma_f32 v[22:23], v[144:145], v[178:179], v[22:23]
	v_dot4c_i32_i8_e32 v177, v199, v3
	v_mad_u64_u32 v[178:179], s[18:19], v214, v207, v[138:139]
	v_mad_u64_u32 v[180:181], s[18:19], v180, v206, v[136:137]
	v_cvt_f32_i32_e32 v179, v180
	v_cvt_f32_i32_e32 v181, v177
	;; [unrolled: 1-line block ×4, first 2 shown]
	v_mov_b32_e32 v136, 0
	v_dot4c_i32_i8_e32 v136, v198, v4
	v_pk_mul_f32 v[180:181], v[142:143], v[180:181] op_sel_hi:[0,1]
	v_pk_fma_f32 v[178:179], v[140:141], v[178:179], v[180:181] op_sel_hi:[0,1,1] neg_lo:[0,0,1] neg_hi:[0,0,1]
	v_mov_b32_e32 v140, 0
	v_dot4c_i32_i8_e32 v140, v171, v4
	v_dot4c_i32_i8_e32 v140, v171, v5
	;; [unrolled: 1-line block ×3, first 2 shown]
	v_mov_b32_e32 v142, 0
	v_dot4c_i32_i8_e32 v136, v151, v5
	v_dot4c_i32_i8_e32 v140, v171, v7
	;; [unrolled: 1-line block ×11, first 2 shown]
	v_mul_lo_u32 v136, v136, v203
	v_mul_lo_u32 v138, v217, v202
	v_dot4c_i32_i8_e32 v140, v185, v3
	v_mad_u64_u32 v[148:149], s[18:19], v210, v203, v[138:139]
	v_mad_u64_u32 v[150:151], s[18:19], v142, v202, v[136:137]
	v_cvt_f32_i32_e32 v149, v150
	v_cvt_f32_i32_e32 v151, v140
	;; [unrolled: 1-line block ×4, first 2 shown]
                                        ; kill: def $vgpr15 killed $sgpr0 killed $exec
	v_pk_fma_f32 v[20:21], v[144:145], v[178:179], v[20:21]
	s_mov_b32 s17, s16
	v_pk_mul_f32 v[150:151], v[10:11], v[150:151] op_sel_hi:[0,1]
	v_mov_b32_e32 v10, 0
	v_dot4c_i32_i8_e32 v10, v176, v4
	v_pk_fma_f32 v[148:149], v[8:9], v[148:149], v[150:151] op_sel_hi:[0,1,1] neg_lo:[0,0,1] neg_hi:[0,0,1]
	v_mov_b32_e32 v8, 0
	v_dot4c_i32_i8_e32 v10, v176, v5
	v_dot4c_i32_i8_e32 v8, v175, v4
	;; [unrolled: 1-line block ×3, first 2 shown]
	v_mov_b32_e32 v4, 0
	v_dot4c_i32_i8_e32 v8, v172, v5
	v_dot4c_i32_i8_e32 v10, v176, v7
	;; [unrolled: 1-line block ×11, first 2 shown]
	v_mul_lo_u32 v0, v8, v201
	v_mul_lo_u32 v2, v209, v200
                                        ; kill: def $vgpr1 killed $sgpr0 killed $exec
	v_dot4c_i32_i8_e32 v10, v195, v3
	v_mad_u64_u32 v[2:3], s[18:19], v147, v201, v[2:3]
	v_mad_u64_u32 v[0:1], s[18:19], v4, v200, v[0:1]
	v_cvt_f32_i32_e32 v1, v0
	v_cvt_f32_i32_e32 v0, v2
	v_cvt_f32_i32_e32 v3, v10
	v_cvt_f32_i32_e32 v2, v146
	v_pk_fma_f32 v[18:19], v[144:145], v[148:149], v[18:19]
	v_add_u32_e32 v11, 32, v11
	v_pk_mul_f32 v[2:3], v[14:15], v[2:3] op_sel_hi:[0,1]
	v_pk_fma_f32 v[0:1], v[12:13], v[0:1], v[2:3] op_sel_hi:[0,1,1] neg_lo:[0,0,1] neg_hi:[0,0,1]
	v_pk_fma_f32 v[16:17], v[144:145], v[0:1], v[16:17]
	v_add_u32_e32 v13, 4, v13
	s_cbranch_scc1 .LBB148_12
; %bb.13:                               ;   in Loop: Header=BB148_6 Depth=1
	v_add_u32_e32 v8, s9, v111
	v_add_u32_e32 v0, v8, v53
	;; [unrolled: 1-line block ×9, first 2 shown]
	v_mad_i64_i32 v[144:145], s[16:17], v8, 36, v[132:133]
	v_add_u32_e32 v8, 12, v9
	v_mad_i64_i32 v[0:1], s[16:17], v0, 36, v[132:133]
	v_mad_i64_i32 v[2:3], s[16:17], v2, 36, v[132:133]
	;; [unrolled: 1-line block ×4, first 2 shown]
	v_mad_u64_u32 v[8:9], s[16:17], v8, 36, s[2:3]
	s_barrier
	v_mad_i64_i32 v[10:11], s[16:17], v10, 36, v[132:133]
	v_mad_i64_i32 v[12:13], s[16:17], v12, 36, v[132:133]
	;; [unrolled: 1-line block ×3, first 2 shown]
	global_load_dword v8, v[8:9], off
	s_nop 0
	global_load_dword v0, v[0:1], off offset:4
	s_nop 0
	global_load_dword v1, v[2:3], off offset:4
	;; [unrolled: 2-line block ×3, first 2 shown]
	global_load_dword v3, v[6:7], off offset:4
	s_nop 0
	global_load_dword v4, v[10:11], off offset:4
	global_load_dword v5, v[12:13], off offset:4
	;; [unrolled: 1-line block ×4, first 2 shown]
	s_mov_b32 s9, 24
	s_mov_b32 s16, 22
	v_mov_b32_e32 v145, v157
	v_mov_b32_e32 v147, v156
	s_waitcnt vmcnt(8)
	v_cvt_f32_f16_e32 v8, v8
	s_waitcnt vmcnt(7)
	ds_write_b32 v57, v0
	s_waitcnt vmcnt(6)
	ds_write_b32 v61, v1
	;; [unrolled: 2-line block ×8, first 2 shown]
	ds_write_b32 v51, v8
	s_waitcnt lgkmcnt(0)
	s_barrier
.LBB148_14:                             ;   Parent Loop BB148_6 Depth=1
                                        ; =>  This Inner Loop Header: Depth=2
	s_add_i32 s11, s16, 2
	s_and_b32 s18, s11, 0x3ffffff8
	s_lshl_b32 s18, s18, 2
	v_add_u32_e32 v10, s18, v89
	ds_read2_b32 v[152:153], v147 offset1:32
	ds_read_b128 v[4:7], v145
	ds_read_b128 v[0:3], v145 offset:16
	ds_read2_b32 v[8:9], v10 offset1:1
	s_sub_i32 s17, s16, 22
	s_and_b32 s19, s9, -16
	s_add_i32 s16, s16, s19
	s_lshr_b32 s19, s11, 2
	s_waitcnt lgkmcnt(0)
	v_ashrrev_i32_e32 v8, s17, v8
	v_and_b32_e32 v194, 0x3030303, v8
	v_ashrrev_i32_e32 v8, s17, v9
	v_and_b32_e32 v188, 0x3030303, v8
	ds_read2_b32 v[8:9], v10 offset0:2 offset1:3
	s_and_b32 s19, s19, 0x3ffffffc
	v_add_u32_e32 v154, s16, v161
	v_add_u32_e32 v202, s16, v160
	v_mov_b32_e32 v208, 0
	s_waitcnt lgkmcnt(0)
	v_ashrrev_i32_e32 v8, s17, v8
	v_and_b32_e32 v191, 0x3030303, v8
	v_ashrrev_i32_e32 v8, s17, v9
	v_and_b32_e32 v192, 0x3030303, v8
	ds_read2_b32 v[8:9], v10 offset0:4 offset1:5
	v_mov_b32_e32 v209, 0
	v_mov_b32_e32 v211, 0
	;; [unrolled: 1-line block ×4, first 2 shown]
	s_waitcnt lgkmcnt(0)
	v_ashrrev_i32_e32 v8, s17, v8
	v_and_b32_e32 v181, 0x3030303, v8
	v_ashrrev_i32_e32 v8, s17, v9
	v_and_b32_e32 v182, 0x3030303, v8
	ds_read2_b32 v[8:9], v10 offset0:6 offset1:7
	v_add_u32_e32 v10, s18, v93
	v_dot4c_i32_i8_e32 v208, v181, v0
	v_dot4c_i32_i8_e32 v155, v194, v4
	;; [unrolled: 1-line block ×3, first 2 shown]
	s_waitcnt lgkmcnt(0)
	v_ashrrev_i32_e32 v8, s17, v8
	v_and_b32_e32 v185, 0x3030303, v8
	v_ashrrev_i32_e32 v8, s17, v9
	v_and_b32_e32 v186, 0x3030303, v8
	v_add_u32_e32 v8, s19, v91
	ds_read_b32 v8, v8
	v_mov_b32_e32 v210, 0
	v_dot4c_i32_i8_e32 v155, v188, v5
	v_dot4c_i32_i8_e32 v208, v185, v2
	;; [unrolled: 1-line block ×3, first 2 shown]
	s_waitcnt lgkmcnt(0)
	v_cvt_f32_f16_e32 v144, v8
	v_cvt_f32_f16_sdwa v146, v8 dst_sel:DWORD dst_unused:UNUSED_PAD src0_sel:WORD_1
	ds_read2_b32 v[8:9], v10 offset1:1
	v_dot4c_i32_i8_e32 v208, v186, v3
	v_dot4c_i32_i8_e32 v155, v192, v7
	v_add_u32_e32 v200, s16, v159
	v_add_u32_e32 v199, s16, v158
	s_waitcnt lgkmcnt(0)
	v_ashrrev_i32_e32 v8, s17, v8
	v_and_b32_e32 v193, 0x3030303, v8
	v_ashrrev_i32_e32 v8, s17, v9
	v_and_b32_e32 v187, 0x3030303, v8
	ds_read2_b32 v[8:9], v10 offset0:2 offset1:3
	v_mov_b32_e32 v218, 0
	v_mov_b32_e32 v219, 0
	;; [unrolled: 1-line block ×4, first 2 shown]
	s_waitcnt lgkmcnt(0)
	v_ashrrev_i32_e32 v8, s17, v8
	v_and_b32_e32 v189, 0x3030303, v8
	v_ashrrev_i32_e32 v8, s17, v9
	v_and_b32_e32 v190, 0x3030303, v8
	ds_read2_b32 v[8:9], v10 offset0:4 offset1:5
	v_dot4c_i32_i8_e32 v201, v193, v4
	v_dot4c_i32_i8_e32 v201, v187, v5
	;; [unrolled: 1-line block ×4, first 2 shown]
	s_waitcnt lgkmcnt(0)
	v_ashrrev_i32_e32 v8, s17, v8
	v_and_b32_e32 v179, 0x3030303, v8
	v_ashrrev_i32_e32 v8, s17, v9
	v_and_b32_e32 v180, 0x3030303, v8
	ds_read2_b32 v[8:9], v10 offset0:6 offset1:7
	v_add_u32_e32 v10, s18, v97
	v_dot4c_i32_i8_e32 v212, v179, v0
	v_dot4c_i32_i8_e32 v212, v180, v1
	v_mov_b32_e32 v215, 0
	s_waitcnt lgkmcnt(0)
	v_ashrrev_i32_e32 v8, s17, v8
	v_and_b32_e32 v183, 0x3030303, v8
	v_ashrrev_i32_e32 v8, s17, v9
	v_and_b32_e32 v184, 0x3030303, v8
	v_add_u32_e32 v8, s19, v95
	ds_read_b32 v8, v8
	v_dot4c_i32_i8_e32 v212, v183, v2
	v_dot4c_i32_i8_e32 v212, v184, v3
	v_mov_b32_e32 v207, 0
	v_mov_b32_e32 v213, 0
	s_waitcnt lgkmcnt(0)
	v_cvt_f32_f16_e32 v148, v8
	v_cvt_f32_f16_sdwa v150, v8 dst_sel:DWORD dst_unused:UNUSED_PAD src0_sel:WORD_1
	ds_read2_b32 v[8:9], v10 offset1:1
	v_mov_b32_e32 v214, 0
	v_mov_b32_e32 v220, 0
	s_add_i32 s9, s9, 2
	s_cmp_lt_u32 s11, 30
	s_waitcnt lgkmcnt(0)
	v_ashrrev_i32_e32 v8, s17, v8
	v_and_b32_e32 v198, 0x3030303, v8
	v_ashrrev_i32_e32 v8, s17, v9
	v_and_b32_e32 v195, 0x3030303, v8
	ds_read2_b32 v[8:9], v10 offset0:2 offset1:3
	v_dot4c_i32_i8_e32 v207, v198, v4
	v_dot4c_i32_i8_e32 v207, v195, v5
	s_waitcnt lgkmcnt(0)
	v_ashrrev_i32_e32 v8, s17, v8
	v_and_b32_e32 v196, 0x3030303, v8
	v_ashrrev_i32_e32 v8, s17, v9
	v_and_b32_e32 v197, 0x3030303, v8
	ds_read2_b32 v[8:9], v10 offset0:4 offset1:5
	v_dot4c_i32_i8_e32 v207, v196, v6
	v_dot4c_i32_i8_e32 v207, v197, v7
	s_waitcnt lgkmcnt(0)
	v_ashrrev_i32_e32 v8, s17, v8
	v_and_b32_e32 v171, 0x3030303, v8
	v_ashrrev_i32_e32 v8, s17, v9
	v_and_b32_e32 v172, 0x3030303, v8
	ds_read2_b32 v[8:9], v10 offset0:6 offset1:7
	v_add_u32_e32 v10, s18, v101
	v_dot4c_i32_i8_e32 v215, v171, v0
	v_dot4c_i32_i8_e32 v215, v172, v1
	s_waitcnt lgkmcnt(0)
	v_ashrrev_i32_e32 v8, s17, v8
	v_and_b32_e32 v173, 0x3030303, v8
	v_ashrrev_i32_e32 v8, s17, v9
	v_and_b32_e32 v174, 0x3030303, v8
	v_add_u32_e32 v8, s19, v99
	ds_read_b32 v8, v8
	v_dot4c_i32_i8_e32 v215, v173, v2
	v_dot4c_i32_i8_e32 v215, v174, v3
	s_waitcnt lgkmcnt(0)
	v_cvt_f32_f16_e32 v140, v8
	v_cvt_f32_f16_sdwa v142, v8 dst_sel:DWORD dst_unused:UNUSED_PAD src0_sel:WORD_1
	ds_read2_b32 v[8:9], v10 offset1:1
	s_waitcnt lgkmcnt(0)
	v_ashrrev_i32_e32 v8, s17, v8
	v_and_b32_e32 v178, 0x3030303, v8
	v_ashrrev_i32_e32 v8, s17, v9
	v_and_b32_e32 v175, 0x3030303, v8
	ds_read2_b32 v[8:9], v10 offset0:2 offset1:3
	v_dot4c_i32_i8_e32 v213, v178, v4
	v_dot4c_i32_i8_e32 v213, v175, v5
	s_waitcnt lgkmcnt(0)
	v_ashrrev_i32_e32 v8, s17, v8
	v_and_b32_e32 v176, 0x3030303, v8
	v_ashrrev_i32_e32 v8, s17, v9
	v_and_b32_e32 v177, 0x3030303, v8
	ds_read2_b32 v[8:9], v10 offset0:4 offset1:5
	v_dot4c_i32_i8_e32 v213, v176, v6
	v_dot4c_i32_i8_e32 v213, v177, v7
	;; [unrolled: 8-line block ×3, first 2 shown]
	s_waitcnt lgkmcnt(0)
	v_ashrrev_i32_e32 v8, s17, v8
	v_and_b32_e32 v169, 0x3030303, v8
	v_ashrrev_i32_e32 v8, s17, v9
	v_and_b32_e32 v170, 0x3030303, v8
	v_add_u32_e32 v8, s19, v105
	ds_read_b32 v8, v8
	v_dot4c_i32_i8_e32 v214, v169, v2
	v_dot4c_i32_i8_e32 v214, v170, v3
	s_waitcnt lgkmcnt(0)
	v_cvt_f32_f16_e32 v136, v8
	v_cvt_f32_f16_sdwa v138, v8 dst_sel:DWORD dst_unused:UNUSED_PAD src0_sel:WORD_1
	ds_read_b128 v[12:15], v145 offset:1024
	ds_read_b128 v[8:11], v145 offset:1040
	ds_read_u16 v154, v154 offset:25074
	ds_read_u16 v202, v202 offset:26098
	s_waitcnt lgkmcnt(3)
	v_dot4c_i32_i8_e32 v209, v194, v12
	v_dot4c_i32_i8_e32 v209, v188, v13
	s_waitcnt lgkmcnt(1)
	v_bfe_u32 v203, v154, 4, 4
	v_mul_lo_u32 v206, v203, s1
	v_dot4c_i32_i8_e32 v211, v206, v4
	v_dot4c_i32_i8_e32 v216, v206, v12
	;; [unrolled: 1-line block ×7, first 2 shown]
	v_lshrrev_b32_sdwa v203, v167, v154 dst_sel:DWORD dst_unused:UNUSED_PAD src0_sel:DWORD src1_sel:BYTE_1
	v_dot4c_i32_i8_e32 v216, v206, v14
	v_dot4c_i32_i8_e32 v209, v192, v15
	;; [unrolled: 1-line block ×4, first 2 shown]
	v_mul_lo_u32 v205, v203, s1
	v_and_b32_sdwa v203, v154, v168 dst_sel:DWORD dst_unused:UNUSED_PAD src0_sel:BYTE_1 src1_sel:DWORD
	v_and_b32_e32 v204, 15, v154
	v_dot4c_i32_i8_e32 v216, v206, v15
	v_dot4c_i32_i8_e32 v210, v185, v10
	;; [unrolled: 1-line block ×3, first 2 shown]
	v_mul_lo_u32 v154, v204, v209
	v_mul_lo_u32 v208, v203, v208
	v_dot4c_i32_i8_e32 v216, v205, v8
                                        ; kill: def $vgpr209 killed $sgpr0 killed $exec
	v_dot4c_i32_i8_e32 v210, v186, v11
	v_dot4c_i32_i8_e32 v211, v205, v1
	;; [unrolled: 1-line block ×3, first 2 shown]
	v_mad_u64_u32 v[208:209], s[16:17], v204, v155, v[208:209]
                                        ; kill: def $vgpr155 killed $sgpr0 killed $exec
	v_dot4c_i32_i8_e32 v211, v205, v2
	v_dot4c_i32_i8_e32 v216, v205, v10
	v_mad_u64_u32 v[154:155], s[16:17], v203, v210, v[154:155]
	v_dot4c_i32_i8_e32 v211, v205, v3
	v_dot4c_i32_i8_e32 v216, v205, v11
	v_cvt_f32_i32_e32 v155, v154
	v_cvt_f32_i32_e32 v154, v208
	;; [unrolled: 1-line block ×4, first 2 shown]
	v_pk_mul_f32 v[154:155], v[144:145], v[154:155] op_sel_hi:[0,1]
	v_pk_fma_f32 v[208:209], v[146:147], v[208:209], v[154:155] op_sel:[0,0,1] op_sel_hi:[0,1,0] neg_lo:[1,0,0] neg_hi:[1,0,0]
	v_mov_b32_e32 v154, v153
	v_mov_b32_e32 v155, v152
	v_pk_fma_f32 v[118:119], v[154:155], v[208:209], v[118:119]
	s_waitcnt lgkmcnt(0)
	v_bfe_u32 v208, v202, 4, 4
	v_mul_lo_u32 v211, v208, s1
	v_mov_b32_e32 v152, 0
	v_dot4c_i32_i8_e32 v218, v211, v4
	v_dot4c_i32_i8_e32 v219, v211, v12
	;; [unrolled: 1-line block ×3, first 2 shown]
	v_mov_b32_e32 v153, 0
	v_dot4c_i32_i8_e32 v218, v211, v5
	v_dot4c_i32_i8_e32 v219, v211, v13
	;; [unrolled: 1-line block ×5, first 2 shown]
	v_lshrrev_b32_sdwa v208, v167, v202 dst_sel:DWORD dst_unused:UNUSED_PAD src0_sel:DWORD src1_sel:BYTE_1
	v_dot4c_i32_i8_e32 v219, v211, v14
	v_dot4c_i32_i8_e32 v152, v189, v14
	;; [unrolled: 1-line block ×4, first 2 shown]
	v_mul_lo_u32 v210, v208, s1
	v_dot4c_i32_i8_e32 v219, v211, v15
	v_dot4c_i32_i8_e32 v152, v190, v15
	;; [unrolled: 1-line block ×4, first 2 shown]
	v_and_b32_sdwa v208, v202, v168 dst_sel:DWORD dst_unused:UNUSED_PAD src0_sel:BYTE_1 src1_sel:DWORD
	v_and_b32_e32 v209, 15, v202
	v_dot4c_i32_i8_e32 v219, v210, v8
	v_dot4c_i32_i8_e32 v153, v184, v11
	;; [unrolled: 1-line block ×3, first 2 shown]
	v_mul_lo_u32 v152, v209, v152
	v_mul_lo_u32 v202, v208, v212
	v_dot4c_i32_i8_e32 v219, v210, v9
	v_dot4c_i32_i8_e32 v218, v210, v2
	;; [unrolled: 1-line block ×3, first 2 shown]
	v_mad_u64_u32 v[216:217], s[16:17], v209, v201, v[202:203]
	v_mad_u64_u32 v[152:153], s[16:17], v208, v153, v[152:153]
	ds_read_u16 v201, v200 offset:27122
	v_dot4c_i32_i8_e32 v218, v210, v3
	v_dot4c_i32_i8_e32 v219, v210, v11
	v_cvt_f32_i32_e32 v153, v152
	v_cvt_f32_i32_e32 v152, v216
	;; [unrolled: 1-line block ×4, first 2 shown]
	s_waitcnt lgkmcnt(0)
	v_bfe_u32 v200, v201, 4, 4
	v_pk_mul_f32 v[152:153], v[148:149], v[152:153] op_sel_hi:[0,1]
	v_mul_lo_u32 v212, v200, s1
	v_pk_fma_f32 v[152:153], v[150:151], v[216:217], v[152:153] op_sel:[0,0,1] op_sel_hi:[0,1,0] neg_lo:[1,0,0] neg_hi:[1,0,0]
	v_mov_b32_e32 v218, 0
	v_mov_b32_e32 v219, 0
	v_pk_fma_f32 v[116:117], v[154:155], v[152:153], v[116:117]
	v_mov_b32_e32 v152, 0
	v_dot4c_i32_i8_e32 v218, v212, v4
	v_dot4c_i32_i8_e32 v219, v212, v12
	;; [unrolled: 1-line block ×3, first 2 shown]
	v_mov_b32_e32 v153, 0
	v_dot4c_i32_i8_e32 v218, v212, v5
	v_dot4c_i32_i8_e32 v219, v212, v13
	;; [unrolled: 1-line block ×5, first 2 shown]
	v_lshrrev_b32_sdwa v200, v167, v201 dst_sel:DWORD dst_unused:UNUSED_PAD src0_sel:DWORD src1_sel:BYTE_1
	v_dot4c_i32_i8_e32 v219, v212, v14
	v_dot4c_i32_i8_e32 v152, v196, v14
	;; [unrolled: 1-line block ×4, first 2 shown]
	v_mul_lo_u32 v202, v200, s1
	v_dot4c_i32_i8_e32 v219, v212, v15
	v_dot4c_i32_i8_e32 v152, v197, v15
	;; [unrolled: 1-line block ×4, first 2 shown]
	v_and_b32_sdwa v200, v201, v168 dst_sel:DWORD dst_unused:UNUSED_PAD src0_sel:BYTE_1 src1_sel:DWORD
	v_and_b32_e32 v201, 15, v201
	v_dot4c_i32_i8_e32 v219, v202, v8
	v_dot4c_i32_i8_e32 v153, v174, v11
	v_dot4c_i32_i8_e32 v218, v202, v1
	v_mul_lo_u32 v152, v201, v152
	v_mul_lo_u32 v216, v200, v215
	v_dot4c_i32_i8_e32 v219, v202, v9
	v_dot4c_i32_i8_e32 v218, v202, v2
	v_dot4c_i32_i8_e32 v219, v202, v10
	v_mad_u64_u32 v[216:217], s[16:17], v201, v207, v[216:217]
	v_mad_u64_u32 v[152:153], s[16:17], v200, v153, v[152:153]
	v_dot4c_i32_i8_e32 v218, v202, v3
	v_dot4c_i32_i8_e32 v219, v202, v11
	v_cvt_f32_i32_e32 v153, v152
	v_cvt_f32_i32_e32 v152, v216
	;; [unrolled: 1-line block ×4, first 2 shown]
	v_mov_b32_e32 v215, 0
	v_pk_mul_f32 v[152:153], v[140:141], v[152:153] op_sel_hi:[0,1]
	v_dot4c_i32_i8_e32 v215, v178, v12
	v_pk_fma_f32 v[152:153], v[142:143], v[216:217], v[152:153] op_sel:[0,0,1] op_sel_hi:[0,1,0] neg_lo:[1,0,0] neg_hi:[1,0,0]
	v_pk_fma_f32 v[102:103], v[154:155], v[152:153], v[102:103]
	ds_read_u16 v153, v199 offset:28146
	v_mov_b32_e32 v217, 0
	v_mov_b32_e32 v216, 0
	v_dot4c_i32_i8_e32 v215, v175, v13
	v_dot4c_i32_i8_e32 v216, v149, v8
	s_waitcnt lgkmcnt(0)
	v_bfe_u32 v152, v153, 4, 4
	v_mul_lo_u32 v207, v152, s1
	v_dot4c_i32_i8_e32 v217, v207, v4
	v_lshrrev_b32_sdwa v4, v167, v153 dst_sel:DWORD dst_unused:UNUSED_PAD src0_sel:DWORD src1_sel:BYTE_1
	v_mul_lo_u32 v199, v4, s1
	v_mov_b32_e32 v4, 0
	v_dot4c_i32_i8_e32 v217, v207, v5
	v_dot4c_i32_i8_e32 v4, v207, v12
	;; [unrolled: 1-line block ×13, first 2 shown]
	v_and_b32_sdwa v152, v153, v168 dst_sel:DWORD dst_unused:UNUSED_PAD src0_sel:BYTE_1 src1_sel:DWORD
	v_and_b32_e32 v153, 15, v153
	v_dot4c_i32_i8_e32 v4, v199, v8
	v_dot4c_i32_i8_e32 v216, v170, v11
	;; [unrolled: 1-line block ×3, first 2 shown]
	v_mul_lo_u32 v0, v153, v215
	v_mul_lo_u32 v2, v152, v214
	v_dot4c_i32_i8_e32 v4, v199, v9
                                        ; kill: def $vgpr1 killed $sgpr0 killed $exec
	v_dot4c_i32_i8_e32 v217, v199, v3
	v_dot4c_i32_i8_e32 v4, v199, v10
	v_mad_u64_u32 v[2:3], s[16:17], v153, v213, v[2:3]
	v_mad_u64_u32 v[0:1], s[16:17], v152, v216, v[0:1]
	v_dot4c_i32_i8_e32 v4, v199, v11
	v_cvt_f32_i32_e32 v1, v0
	v_cvt_f32_i32_e32 v0, v2
	v_cvt_f32_i32_e32 v3, v217
	v_cvt_f32_i32_e32 v2, v4
	v_mov_b32_e32 v14, 0
	v_pk_mul_f32 v[0:1], v[136:137], v[0:1] op_sel_hi:[0,1]
	v_mov_b32_e32 v214, 0
	v_pk_fma_f32 v[0:1], v[138:139], v[2:3], v[0:1] op_sel:[0,0,1] op_sel_hi:[0,1,0] neg_lo:[1,0,0] neg_hi:[1,0,0]
	v_pk_fma_f32 v[82:83], v[154:155], v[0:1], v[82:83]
	ds_read2_b32 v[8:9], v147 offset0:64 offset1:96
	ds_read_b128 v[0:3], v145 offset:2048
	ds_read_b128 v[4:7], v145 offset:2064
	v_mov_b32_e32 v154, 0
	v_mov_b32_e32 v217, 0
	;; [unrolled: 1-line block ×3, first 2 shown]
	s_waitcnt lgkmcnt(1)
	v_dot4c_i32_i8_e32 v14, v206, v0
	v_dot4c_i32_i8_e32 v154, v211, v0
	;; [unrolled: 1-line block ×13, first 2 shown]
	v_mov_b32_e32 v12, 0
	v_mov_b32_e32 v15, 0
	v_dot4c_i32_i8_e32 v154, v211, v3
	v_mov_b32_e32 v155, 0
	v_mov_b32_e32 v213, 0
	v_dot4c_i32_i8_e32 v214, v212, v3
	;; [unrolled: 3-line block ×3, first 2 shown]
	v_mov_b32_e32 v218, 0
	v_dot4c_i32_i8_e32 v11, v194, v0
	s_waitcnt lgkmcnt(0)
	v_dot4c_i32_i8_e32 v12, v181, v4
	v_dot4c_i32_i8_e32 v14, v205, v4
	;; [unrolled: 1-line block ×47, first 2 shown]
	ds_read_b128 v[4:7], v145 offset:3072
	ds_read_b128 v[0:3], v145 offset:3088
	v_mov_b32_e32 v219, 0
	v_mov_b32_e32 v10, 0
	v_mul_lo_u32 v12, v12, v203
	s_waitcnt lgkmcnt(1)
	v_dot4c_i32_i8_e32 v219, v206, v4
	v_dot4c_i32_i8_e32 v219, v206, v5
	;; [unrolled: 1-line block ×6, first 2 shown]
	s_waitcnt lgkmcnt(0)
	v_dot4c_i32_i8_e32 v220, v181, v0
	v_dot4c_i32_i8_e32 v10, v191, v6
	;; [unrolled: 1-line block ×7, first 2 shown]
                                        ; kill: def $vgpr13 killed $sgpr0 killed $exec
	v_dot4c_i32_i8_e32 v219, v205, v2
	v_dot4c_i32_i8_e32 v220, v186, v3
	v_mul_lo_u32 v10, v10, v204
	v_mad_u64_u32 v[12:13], s[16:17], v11, v204, v[12:13]
                                        ; kill: def $vgpr11 killed $sgpr0 killed $exec
	v_dot4c_i32_i8_e32 v219, v205, v3
	v_mad_u64_u32 v[10:11], s[16:17], v220, v203, v[10:11]
	v_cvt_f32_i32_e32 v11, v10
	v_cvt_f32_i32_e32 v10, v12
	;; [unrolled: 1-line block ×4, first 2 shown]
	v_mov_b32_e32 v14, 0
	v_dot4c_i32_i8_e32 v14, v211, v4
	v_dot4c_i32_i8_e32 v14, v211, v5
	v_pk_mul_f32 v[12:13], v[146:147], v[12:13] op_sel_hi:[0,1]
	v_pk_fma_f32 v[10:11], v[144:145], v[10:11], v[12:13] op_sel_hi:[0,1,1] neg_lo:[0,0,1] neg_hi:[0,0,1]
	v_pk_fma_f32 v[38:39], v[8:9], v[10:11], v[38:39]
	v_mov_b32_e32 v10, 0
	v_dot4c_i32_i8_e32 v10, v193, v4
	v_dot4c_i32_i8_e32 v14, v211, v6
	v_mov_b32_e32 v11, 0
	v_dot4c_i32_i8_e32 v10, v187, v5
	v_dot4c_i32_i8_e32 v14, v211, v7
	;; [unrolled: 1-line block ×11, first 2 shown]
	v_mul_lo_u32 v10, v10, v209
	v_mul_lo_u32 v12, v155, v208
                                        ; kill: def $vgpr13 killed $sgpr0 killed $exec
	v_dot4c_i32_i8_e32 v14, v210, v3
	v_mad_u64_u32 v[12:13], s[16:17], v15, v209, v[12:13]
	v_mad_u64_u32 v[10:11], s[16:17], v11, v208, v[10:11]
	v_cvt_f32_i32_e32 v11, v10
	v_cvt_f32_i32_e32 v10, v12
	;; [unrolled: 1-line block ×4, first 2 shown]
	v_mov_b32_e32 v14, 0
	v_dot4c_i32_i8_e32 v14, v212, v4
	v_dot4c_i32_i8_e32 v14, v212, v5
	v_pk_mul_f32 v[12:13], v[150:151], v[12:13] op_sel_hi:[0,1]
	v_pk_fma_f32 v[10:11], v[148:149], v[10:11], v[12:13] op_sel_hi:[0,1,1] neg_lo:[0,0,1] neg_hi:[0,0,1]
	v_pk_fma_f32 v[36:37], v[8:9], v[10:11], v[36:37]
	v_mov_b32_e32 v10, 0
	v_dot4c_i32_i8_e32 v10, v198, v4
	v_dot4c_i32_i8_e32 v14, v212, v6
	v_mov_b32_e32 v11, 0
	v_dot4c_i32_i8_e32 v10, v195, v5
	v_dot4c_i32_i8_e32 v14, v212, v7
	;; [unrolled: 1-line block ×11, first 2 shown]
	v_mul_lo_u32 v10, v10, v201
	v_mul_lo_u32 v12, v215, v200
                                        ; kill: def $vgpr13 killed $sgpr0 killed $exec
	v_dot4c_i32_i8_e32 v14, v202, v3
	v_mad_u64_u32 v[12:13], s[16:17], v213, v201, v[12:13]
	v_mad_u64_u32 v[10:11], s[16:17], v11, v200, v[10:11]
	v_cvt_f32_i32_e32 v11, v10
	v_cvt_f32_i32_e32 v10, v12
	;; [unrolled: 1-line block ×4, first 2 shown]
	v_mov_b32_e32 v14, 0
	v_mov_b32_e32 v154, 0
	;; [unrolled: 1-line block ×3, first 2 shown]
	v_pk_mul_f32 v[12:13], v[142:143], v[12:13] op_sel_hi:[0,1]
	v_pk_fma_f32 v[10:11], v[140:141], v[10:11], v[12:13] op_sel_hi:[0,1,1] neg_lo:[0,0,1] neg_hi:[0,0,1]
	v_pk_fma_f32 v[34:35], v[8:9], v[10:11], v[34:35]
	v_mov_b32_e32 v11, 0
	v_dot4c_i32_i8_e32 v11, v207, v4
	v_mov_b32_e32 v10, 0
	v_dot4c_i32_i8_e32 v11, v207, v5
	v_dot4c_i32_i8_e32 v10, v178, v4
	;; [unrolled: 1-line block ×3, first 2 shown]
	v_mov_b32_e32 v4, 0
	v_dot4c_i32_i8_e32 v10, v175, v5
	v_dot4c_i32_i8_e32 v11, v207, v7
	;; [unrolled: 1-line block ×11, first 2 shown]
	v_mul_lo_u32 v0, v10, v153
	v_mul_lo_u32 v2, v218, v152
                                        ; kill: def $vgpr1 killed $sgpr0 killed $exec
	v_dot4c_i32_i8_e32 v11, v199, v3
	v_mad_u64_u32 v[2:3], s[16:17], v216, v153, v[2:3]
	v_mad_u64_u32 v[0:1], s[16:17], v4, v152, v[0:1]
	v_cvt_f32_i32_e32 v1, v0
	v_cvt_f32_i32_e32 v0, v2
	;; [unrolled: 1-line block ×4, first 2 shown]
	v_mov_b32_e32 v217, 0
	v_mov_b32_e32 v11, 0
	;; [unrolled: 1-line block ×3, first 2 shown]
	v_pk_mul_f32 v[2:3], v[138:139], v[2:3] op_sel_hi:[0,1]
	v_pk_fma_f32 v[0:1], v[136:137], v[0:1], v[2:3] op_sel_hi:[0,1,1] neg_lo:[0,0,1] neg_hi:[0,0,1]
	v_pk_fma_f32 v[32:33], v[8:9], v[0:1], v[32:33]
	ds_read2_b32 v[8:9], v147 offset0:128 offset1:160
	ds_read_b128 v[0:3], v145 offset:4096
	ds_read_b128 v[4:7], v145 offset:4112
	v_mov_b32_e32 v15, 0
	v_mov_b32_e32 v155, 0
	;; [unrolled: 1-line block ×3, first 2 shown]
	s_waitcnt lgkmcnt(1)
	v_dot4c_i32_i8_e32 v14, v206, v0
	v_dot4c_i32_i8_e32 v154, v211, v0
	;; [unrolled: 1-line block ×15, first 2 shown]
	v_mov_b32_e32 v215, 0
	v_mov_b32_e32 v216, 0
	v_dot4c_i32_i8_e32 v217, v207, v3
	v_mov_b32_e32 v218, 0
	v_dot4c_i32_i8_e32 v11, v194, v0
	s_waitcnt lgkmcnt(0)
	v_dot4c_i32_i8_e32 v12, v181, v4
	v_dot4c_i32_i8_e32 v14, v205, v4
	v_dot4c_i32_i8_e32 v15, v193, v0
	v_dot4c_i32_i8_e32 v155, v179, v4
	v_dot4c_i32_i8_e32 v154, v210, v4
	v_dot4c_i32_i8_e32 v213, v198, v0
	v_dot4c_i32_i8_e32 v215, v171, v4
	v_dot4c_i32_i8_e32 v214, v202, v4
	v_dot4c_i32_i8_e32 v216, v178, v0
	v_dot4c_i32_i8_e32 v218, v149, v4
	v_dot4c_i32_i8_e32 v217, v199, v4
	v_dot4c_i32_i8_e32 v11, v188, v1
	v_dot4c_i32_i8_e32 v12, v182, v5
	v_dot4c_i32_i8_e32 v14, v205, v5
	v_dot4c_i32_i8_e32 v15, v187, v1
	v_dot4c_i32_i8_e32 v155, v180, v5
	v_dot4c_i32_i8_e32 v154, v210, v5
	v_dot4c_i32_i8_e32 v213, v195, v1
	v_dot4c_i32_i8_e32 v215, v172, v5
	v_dot4c_i32_i8_e32 v214, v202, v5
	v_dot4c_i32_i8_e32 v216, v175, v1
	v_dot4c_i32_i8_e32 v218, v151, v5
	v_dot4c_i32_i8_e32 v217, v199, v5
	v_dot4c_i32_i8_e32 v11, v191, v2
	v_dot4c_i32_i8_e32 v12, v185, v6
	v_dot4c_i32_i8_e32 v14, v205, v6
	v_dot4c_i32_i8_e32 v15, v189, v2
	v_dot4c_i32_i8_e32 v155, v183, v6
	v_dot4c_i32_i8_e32 v154, v210, v6
	v_dot4c_i32_i8_e32 v213, v196, v2
	v_dot4c_i32_i8_e32 v215, v173, v6
	v_dot4c_i32_i8_e32 v214, v202, v6
	v_dot4c_i32_i8_e32 v216, v176, v2
	v_dot4c_i32_i8_e32 v218, v169, v6
	v_dot4c_i32_i8_e32 v217, v199, v6
	v_dot4c_i32_i8_e32 v11, v192, v3
	v_dot4c_i32_i8_e32 v12, v186, v7
	v_dot4c_i32_i8_e32 v14, v205, v7
	v_dot4c_i32_i8_e32 v15, v190, v3
	v_dot4c_i32_i8_e32 v155, v184, v7
	v_dot4c_i32_i8_e32 v154, v210, v7
	v_dot4c_i32_i8_e32 v213, v197, v3
	v_dot4c_i32_i8_e32 v215, v174, v7
	v_dot4c_i32_i8_e32 v214, v202, v7
	v_dot4c_i32_i8_e32 v216, v177, v3
	v_dot4c_i32_i8_e32 v218, v170, v7
	v_dot4c_i32_i8_e32 v217, v199, v7
	ds_read_b128 v[4:7], v145 offset:5120
	ds_read_b128 v[0:3], v145 offset:5136
	v_mov_b32_e32 v219, 0
	v_mov_b32_e32 v10, 0
	;; [unrolled: 1-line block ×3, first 2 shown]
	s_waitcnt lgkmcnt(1)
	v_dot4c_i32_i8_e32 v219, v206, v4
	v_dot4c_i32_i8_e32 v219, v206, v5
	v_dot4c_i32_i8_e32 v10, v194, v4
	v_dot4c_i32_i8_e32 v219, v206, v6
	v_dot4c_i32_i8_e32 v10, v188, v5
	v_dot4c_i32_i8_e32 v219, v206, v7
	s_waitcnt lgkmcnt(0)
	v_dot4c_i32_i8_e32 v220, v181, v0
	v_dot4c_i32_i8_e32 v10, v191, v6
	;; [unrolled: 1-line block ×7, first 2 shown]
	v_mul_lo_u32 v12, v12, v203
                                        ; kill: def $vgpr13 killed $sgpr0 killed $exec
	v_dot4c_i32_i8_e32 v219, v205, v2
	v_dot4c_i32_i8_e32 v220, v186, v3
	v_mul_lo_u32 v10, v10, v204
	v_mad_u64_u32 v[12:13], s[16:17], v11, v204, v[12:13]
                                        ; kill: def $vgpr11 killed $sgpr0 killed $exec
	v_dot4c_i32_i8_e32 v219, v205, v3
	v_mad_u64_u32 v[10:11], s[16:17], v220, v203, v[10:11]
	v_cvt_f32_i32_e32 v11, v10
	v_cvt_f32_i32_e32 v10, v12
	;; [unrolled: 1-line block ×4, first 2 shown]
	v_mov_b32_e32 v14, 0
	v_dot4c_i32_i8_e32 v14, v211, v4
	v_dot4c_i32_i8_e32 v14, v211, v5
	v_pk_mul_f32 v[12:13], v[146:147], v[12:13] op_sel_hi:[0,1]
	v_pk_fma_f32 v[10:11], v[144:145], v[10:11], v[12:13] op_sel_hi:[0,1,1] neg_lo:[0,0,1] neg_hi:[0,0,1]
	v_pk_fma_f32 v[30:31], v[8:9], v[10:11], v[30:31]
	v_mov_b32_e32 v10, 0
	v_dot4c_i32_i8_e32 v10, v193, v4
	v_dot4c_i32_i8_e32 v14, v211, v6
	v_mov_b32_e32 v11, 0
	v_dot4c_i32_i8_e32 v10, v187, v5
	v_dot4c_i32_i8_e32 v14, v211, v7
	;; [unrolled: 1-line block ×11, first 2 shown]
	v_mul_lo_u32 v10, v10, v209
	v_mul_lo_u32 v12, v155, v208
                                        ; kill: def $vgpr13 killed $sgpr0 killed $exec
	v_dot4c_i32_i8_e32 v14, v210, v3
	v_mad_u64_u32 v[12:13], s[16:17], v15, v209, v[12:13]
	v_mad_u64_u32 v[10:11], s[16:17], v11, v208, v[10:11]
	v_cvt_f32_i32_e32 v11, v10
	v_cvt_f32_i32_e32 v10, v12
	;; [unrolled: 1-line block ×4, first 2 shown]
	v_mov_b32_e32 v14, 0
	v_dot4c_i32_i8_e32 v14, v212, v4
	v_dot4c_i32_i8_e32 v14, v212, v5
	v_pk_mul_f32 v[12:13], v[150:151], v[12:13] op_sel_hi:[0,1]
	v_pk_fma_f32 v[10:11], v[148:149], v[10:11], v[12:13] op_sel_hi:[0,1,1] neg_lo:[0,0,1] neg_hi:[0,0,1]
	v_pk_fma_f32 v[28:29], v[8:9], v[10:11], v[28:29]
	v_mov_b32_e32 v10, 0
	v_dot4c_i32_i8_e32 v10, v198, v4
	v_dot4c_i32_i8_e32 v14, v212, v6
	v_mov_b32_e32 v11, 0
	v_dot4c_i32_i8_e32 v10, v195, v5
	v_dot4c_i32_i8_e32 v14, v212, v7
	;; [unrolled: 1-line block ×11, first 2 shown]
	v_mul_lo_u32 v10, v10, v201
	v_mul_lo_u32 v12, v215, v200
                                        ; kill: def $vgpr13 killed $sgpr0 killed $exec
	v_dot4c_i32_i8_e32 v14, v202, v3
	v_mad_u64_u32 v[12:13], s[16:17], v213, v201, v[12:13]
	v_mad_u64_u32 v[10:11], s[16:17], v11, v200, v[10:11]
	v_cvt_f32_i32_e32 v11, v10
	v_cvt_f32_i32_e32 v10, v12
	;; [unrolled: 1-line block ×4, first 2 shown]
	v_mov_b32_e32 v213, 0
	v_mov_b32_e32 v215, 0
	v_mov_b32_e32 v15, 0
	v_pk_mul_f32 v[12:13], v[142:143], v[12:13] op_sel_hi:[0,1]
	v_pk_fma_f32 v[10:11], v[140:141], v[10:11], v[12:13] op_sel_hi:[0,1,1] neg_lo:[0,0,1] neg_hi:[0,0,1]
	v_pk_fma_f32 v[26:27], v[8:9], v[10:11], v[26:27]
	v_mov_b32_e32 v11, 0
	v_dot4c_i32_i8_e32 v11, v207, v4
	v_mov_b32_e32 v10, 0
	v_dot4c_i32_i8_e32 v11, v207, v5
	v_dot4c_i32_i8_e32 v10, v178, v4
	;; [unrolled: 1-line block ×3, first 2 shown]
	v_mov_b32_e32 v4, 0
	v_dot4c_i32_i8_e32 v10, v175, v5
	v_dot4c_i32_i8_e32 v11, v207, v7
	;; [unrolled: 1-line block ×11, first 2 shown]
	v_mul_lo_u32 v0, v10, v153
	v_mul_lo_u32 v2, v218, v152
                                        ; kill: def $vgpr1 killed $sgpr0 killed $exec
	v_dot4c_i32_i8_e32 v11, v199, v3
	v_mad_u64_u32 v[2:3], s[16:17], v216, v153, v[2:3]
	v_mad_u64_u32 v[0:1], s[16:17], v4, v152, v[0:1]
	v_cvt_f32_i32_e32 v1, v0
	v_cvt_f32_i32_e32 v0, v2
	;; [unrolled: 1-line block ×4, first 2 shown]
	v_mov_b32_e32 v13, 0
	v_mov_b32_e32 v10, 0
	;; [unrolled: 1-line block ×3, first 2 shown]
	v_pk_mul_f32 v[2:3], v[138:139], v[2:3] op_sel_hi:[0,1]
	v_pk_fma_f32 v[0:1], v[136:137], v[0:1], v[2:3] op_sel_hi:[0,1,1] neg_lo:[0,0,1] neg_hi:[0,0,1]
	v_pk_fma_f32 v[24:25], v[8:9], v[0:1], v[24:25]
	ds_read2_b32 v[8:9], v147 offset0:192 offset1:224
	ds_read_b128 v[0:3], v145 offset:6144
	ds_read_b128 v[4:7], v145 offset:6160
	v_mov_b32_e32 v214, 0
	v_mov_b32_e32 v216, 0
	v_mov_b32_e32 v14, 0
	s_waitcnt lgkmcnt(1)
	v_dot4c_i32_i8_e32 v213, v206, v0
	v_dot4c_i32_i8_e32 v215, v211, v0
	;; [unrolled: 1-line block ×15, first 2 shown]
	v_mov_b32_e32 v217, 0
	v_mov_b32_e32 v11, 0
	v_dot4c_i32_i8_e32 v10, v207, v3
	v_mov_b32_e32 v12, 0
	v_dot4c_i32_i8_e32 v15, v194, v0
	s_waitcnt lgkmcnt(0)
	v_dot4c_i32_i8_e32 v155, v181, v4
	v_dot4c_i32_i8_e32 v213, v205, v4
	;; [unrolled: 1-line block ×47, first 2 shown]
	ds_read_b128 v[4:7], v145 offset:7168
	ds_read_b128 v[0:3], v145 offset:7184
	v_mov_b32_e32 v154, 0
	s_waitcnt lgkmcnt(1)
	v_dot4c_i32_i8_e32 v154, v194, v4
	v_mov_b32_e32 v194, 0
	v_dot4c_i32_i8_e32 v194, v206, v4
	v_dot4c_i32_i8_e32 v194, v206, v5
	;; [unrolled: 1-line block ×5, first 2 shown]
	v_mov_b32_e32 v188, 0
	s_waitcnt lgkmcnt(0)
	v_dot4c_i32_i8_e32 v188, v181, v0
	v_dot4c_i32_i8_e32 v194, v205, v0
	;; [unrolled: 1-line block ×8, first 2 shown]
	v_mul_lo_u32 v182, v155, v203
	v_dot4c_i32_i8_e32 v188, v186, v3
	v_dot4c_i32_i8_e32 v194, v205, v3
	v_mul_lo_u32 v154, v154, v204
                                        ; kill: def $vgpr155 killed $sgpr0 killed $exec
	v_mad_u64_u32 v[204:205], s[16:17], v15, v204, v[182:183]
	v_mov_b32_e32 v182, 0
	v_mad_u64_u32 v[154:155], s[16:17], v188, v203, v[154:155]
	v_dot4c_i32_i8_e32 v182, v211, v4
	v_cvt_f32_i32_e32 v155, v154
	v_cvt_f32_i32_e32 v154, v204
	;; [unrolled: 1-line block ×4, first 2 shown]
	v_mov_b32_e32 v15, 0
	v_dot4c_i32_i8_e32 v182, v211, v5
	v_dot4c_i32_i8_e32 v15, v193, v4
	;; [unrolled: 1-line block ×3, first 2 shown]
	v_mov_b32_e32 v181, 0
	v_dot4c_i32_i8_e32 v15, v187, v5
	v_dot4c_i32_i8_e32 v182, v211, v7
	;; [unrolled: 1-line block ×6, first 2 shown]
	v_pk_mul_f32 v[204:205], v[146:147], v[204:205] op_sel_hi:[0,1]
	v_dot4c_i32_i8_e32 v15, v190, v7
	v_dot4c_i32_i8_e32 v182, v210, v1
	;; [unrolled: 1-line block ×3, first 2 shown]
	v_pk_fma_f32 v[154:155], v[144:145], v[154:155], v[204:205] op_sel_hi:[0,1,1] neg_lo:[0,0,1] neg_hi:[0,0,1]
	v_dot4c_i32_i8_e32 v182, v210, v2
	v_dot4c_i32_i8_e32 v181, v184, v3
	v_mul_lo_u32 v144, v15, v209
	v_mul_lo_u32 v146, v216, v208
	v_pk_fma_f32 v[22:23], v[8:9], v[154:155], v[22:23]
	v_dot4c_i32_i8_e32 v182, v210, v3
	v_mad_u64_u32 v[154:155], s[16:17], v214, v209, v[146:147]
	v_mad_u64_u32 v[180:181], s[16:17], v181, v208, v[144:145]
	v_cvt_f32_i32_e32 v155, v180
	v_cvt_f32_i32_e32 v181, v182
	v_cvt_f32_i32_e32 v180, v215
	v_cvt_f32_i32_e32 v154, v154
	v_mov_b32_e32 v15, 0
	v_dot4c_i32_i8_e32 v15, v198, v4
	v_pk_mul_f32 v[180:181], v[150:151], v[180:181] op_sel_hi:[0,1]
	v_pk_fma_f32 v[154:155], v[148:149], v[154:155], v[180:181] op_sel_hi:[0,1,1] neg_lo:[0,0,1] neg_hi:[0,0,1]
	v_mov_b32_e32 v148, 0
	v_dot4c_i32_i8_e32 v148, v212, v4
	v_dot4c_i32_i8_e32 v148, v212, v5
	;; [unrolled: 1-line block ×3, first 2 shown]
	v_mov_b32_e32 v150, 0
	v_dot4c_i32_i8_e32 v15, v195, v5
	v_dot4c_i32_i8_e32 v148, v212, v7
	;; [unrolled: 1-line block ×11, first 2 shown]
	v_mul_lo_u32 v144, v15, v201
	v_mul_lo_u32 v146, v217, v200
	v_pk_fma_f32 v[20:21], v[8:9], v[154:155], v[20:21]
	v_dot4c_i32_i8_e32 v148, v202, v3
	v_mad_u64_u32 v[14:15], s[16:17], v14, v201, v[146:147]
	v_mad_u64_u32 v[154:155], s[16:17], v150, v200, v[144:145]
	v_cvt_f32_i32_e32 v15, v154
	v_cvt_f32_i32_e32 v155, v148
	;; [unrolled: 1-line block ×4, first 2 shown]
	v_mov_b32_e32 v13, 0
	v_dot4c_i32_i8_e32 v13, v178, v4
	v_pk_mul_f32 v[154:155], v[142:143], v[154:155] op_sel_hi:[0,1]
	v_pk_fma_f32 v[14:15], v[140:141], v[14:15], v[154:155] op_sel_hi:[0,1,1] neg_lo:[0,0,1] neg_hi:[0,0,1]
	v_pk_fma_f32 v[18:19], v[8:9], v[14:15], v[18:19]
	v_mov_b32_e32 v14, 0
	v_dot4c_i32_i8_e32 v14, v207, v4
	v_dot4c_i32_i8_e32 v14, v207, v5
	;; [unrolled: 1-line block ×3, first 2 shown]
	v_mov_b32_e32 v4, 0
	v_dot4c_i32_i8_e32 v13, v175, v5
	v_dot4c_i32_i8_e32 v14, v207, v7
	;; [unrolled: 1-line block ×11, first 2 shown]
	v_mul_lo_u32 v0, v13, v153
	v_mul_lo_u32 v2, v12, v152
                                        ; kill: def $vgpr1 killed $sgpr0 killed $exec
	v_dot4c_i32_i8_e32 v14, v199, v3
	v_mad_u64_u32 v[2:3], s[16:17], v11, v153, v[2:3]
	v_mad_u64_u32 v[0:1], s[16:17], v4, v152, v[0:1]
	v_cvt_f32_i32_e32 v1, v0
	v_cvt_f32_i32_e32 v0, v2
	;; [unrolled: 1-line block ×4, first 2 shown]
	v_add_u32_e32 v147, 4, v147
	v_add_u32_e32 v145, 32, v145
	s_mov_b32 s16, s11
	v_pk_mul_f32 v[2:3], v[138:139], v[2:3] op_sel_hi:[0,1]
	v_pk_fma_f32 v[0:1], v[136:137], v[0:1], v[2:3] op_sel_hi:[0,1,1] neg_lo:[0,0,1] neg_hi:[0,0,1]
	v_pk_fma_f32 v[16:17], v[8:9], v[0:1], v[16:17]
	s_cbranch_scc1 .LBB148_14
; %bb.15:                               ;   in Loop: Header=BB148_6 Depth=1
	s_barrier
	s_branch .LBB148_5
.LBB148_16:
	v_mov_b32_e32 v1, v43
.LBB148_17:
	v_cmp_gt_u32_e32 vcc, s10, v45
	s_and_saveexec_b64 s[0:1], vcc
	s_cbranch_execz .LBB148_68
; %bb.18:
	v_add_u32_e32 v0, s6, v41
	v_mul_lo_u32 v5, v45, s14
	v_cmp_gt_u32_e32 vcc, s14, v0
	s_and_saveexec_b64 s[2:3], vcc
	s_cbranch_execz .LBB148_20
; %bb.19:
	v_add_u32_e32 v2, v0, v5
	v_mov_b32_e32 v3, 0
	v_cvt_f16_f32_e32 v6, v119
	v_lshlrev_b64 v[2:3], 1, v[2:3]
	s_waitcnt lgkmcnt(0)
	v_mov_b32_e32 v4, s13
	v_add_co_u32_e64 v2, s[0:1], s12, v2
	v_addc_co_u32_e64 v3, s[0:1], v4, v3, s[0:1]
	global_store_short v[2:3], v6, off
.LBB148_20:
	s_or_b64 exec, exec, s[2:3]
	v_add_u32_e32 v2, 32, v0
	v_cmp_gt_u32_e64 s[0:1], s14, v2
	s_and_saveexec_b64 s[4:5], s[0:1]
	s_cbranch_execz .LBB148_22
; %bb.21:
	v_add_u32_e32 v6, v2, v5
	v_mov_b32_e32 v7, 0
	v_cvt_f16_f32_e32 v4, v117
	v_lshlrev_b64 v[6:7], 1, v[6:7]
	s_waitcnt lgkmcnt(0)
	v_mov_b32_e32 v3, s13
	v_add_co_u32_e64 v6, s[2:3], s12, v6
	v_addc_co_u32_e64 v7, s[2:3], v3, v7, s[2:3]
	global_store_short v[6:7], v4, off
.LBB148_22:
	s_or_b64 exec, exec, s[4:5]
	v_add_u32_e32 v3, 64, v0
	v_cmp_gt_u32_e64 s[2:3], s14, v3
	s_and_saveexec_b64 s[6:7], s[2:3]
	;; [unrolled: 16-line block ×3, first 2 shown]
	s_cbranch_execz .LBB148_26
; %bb.25:
	v_add_u32_e32 v6, v4, v5
	v_mov_b32_e32 v7, 0
	v_cvt_f16_f32_e32 v8, v83
	v_lshlrev_b64 v[6:7], 1, v[6:7]
	s_waitcnt lgkmcnt(0)
	v_mov_b32_e32 v5, s13
	v_add_co_u32_e64 v6, s[6:7], s12, v6
	v_addc_co_u32_e64 v7, s[6:7], v5, v7, s[6:7]
	global_store_short v[6:7], v8, off
.LBB148_26:
	s_or_b64 exec, exec, s[8:9]
	v_add3_u32 v5, v1, s15, 8
	v_cmp_gt_u32_e64 s[6:7], s10, v5
	s_and_b64 exec, exec, s[6:7]
	s_cbranch_execz .LBB148_68
; %bb.27:
	v_mul_lo_u32 v5, v5, s14
	s_and_saveexec_b64 s[8:9], vcc
	s_cbranch_execnz .LBB148_69
; %bb.28:
	s_or_b64 exec, exec, s[8:9]
	s_and_saveexec_b64 s[8:9], s[0:1]
	s_cbranch_execnz .LBB148_70
.LBB148_29:
	s_or_b64 exec, exec, s[8:9]
	s_and_saveexec_b64 s[8:9], s[2:3]
	s_cbranch_execnz .LBB148_71
.LBB148_30:
	s_or_b64 exec, exec, s[8:9]
	s_and_saveexec_b64 s[8:9], s[4:5]
	s_cbranch_execz .LBB148_32
.LBB148_31:
	v_add_u32_e32 v6, v5, v4
	v_mov_b32_e32 v7, 0
	v_cvt_f16_f32_e32 v8, v82
	v_lshlrev_b64 v[6:7], 1, v[6:7]
	s_waitcnt lgkmcnt(0)
	v_mov_b32_e32 v5, s13
	v_add_co_u32_e64 v6, s[6:7], s12, v6
	v_addc_co_u32_e64 v7, s[6:7], v5, v7, s[6:7]
	global_store_short v[6:7], v8, off
.LBB148_32:
	s_or_b64 exec, exec, s[8:9]
	v_add3_u32 v5, v1, s15, 16
	v_cmp_gt_u32_e64 s[6:7], s10, v5
	s_and_b64 exec, exec, s[6:7]
	s_cbranch_execz .LBB148_68
; %bb.33:
	v_mul_lo_u32 v5, v5, s14
	s_and_saveexec_b64 s[8:9], vcc
	s_cbranch_execnz .LBB148_72
; %bb.34:
	s_or_b64 exec, exec, s[8:9]
	s_and_saveexec_b64 s[8:9], s[0:1]
	s_cbranch_execnz .LBB148_73
.LBB148_35:
	s_or_b64 exec, exec, s[8:9]
	s_and_saveexec_b64 s[8:9], s[2:3]
	s_cbranch_execnz .LBB148_74
.LBB148_36:
	s_or_b64 exec, exec, s[8:9]
	s_and_saveexec_b64 s[8:9], s[4:5]
	s_cbranch_execz .LBB148_38
.LBB148_37:
	v_add_u32_e32 v6, v5, v4
	v_mov_b32_e32 v7, 0
	v_cvt_f16_f32_e32 v8, v32
	v_lshlrev_b64 v[6:7], 1, v[6:7]
	s_waitcnt lgkmcnt(0)
	v_mov_b32_e32 v5, s13
	v_add_co_u32_e64 v6, s[6:7], s12, v6
	v_addc_co_u32_e64 v7, s[6:7], v5, v7, s[6:7]
	global_store_short v[6:7], v8, off
.LBB148_38:
	s_or_b64 exec, exec, s[8:9]
	v_add3_u32 v5, v1, s15, 24
	v_cmp_gt_u32_e64 s[6:7], s10, v5
	s_and_b64 exec, exec, s[6:7]
	s_cbranch_execz .LBB148_68
; %bb.39:
	v_mul_lo_u32 v5, v5, s14
	s_and_saveexec_b64 s[8:9], vcc
	s_cbranch_execnz .LBB148_75
; %bb.40:
	s_or_b64 exec, exec, s[8:9]
	s_and_saveexec_b64 s[8:9], s[0:1]
	s_cbranch_execnz .LBB148_76
.LBB148_41:
	s_or_b64 exec, exec, s[8:9]
	s_and_saveexec_b64 s[8:9], s[2:3]
	s_cbranch_execnz .LBB148_77
.LBB148_42:
	s_or_b64 exec, exec, s[8:9]
	s_and_saveexec_b64 s[8:9], s[4:5]
	s_cbranch_execz .LBB148_44
.LBB148_43:
	v_add_u32_e32 v6, v5, v4
	v_mov_b32_e32 v7, 0
	v_cvt_f16_f32_e32 v8, v33
	v_lshlrev_b64 v[6:7], 1, v[6:7]
	s_waitcnt lgkmcnt(0)
	v_mov_b32_e32 v5, s13
	v_add_co_u32_e64 v6, s[6:7], s12, v6
	v_addc_co_u32_e64 v7, s[6:7], v5, v7, s[6:7]
	global_store_short v[6:7], v8, off
.LBB148_44:
	s_or_b64 exec, exec, s[8:9]
	v_add3_u32 v5, v1, s15, 32
	v_cmp_gt_u32_e64 s[6:7], s10, v5
	s_and_b64 exec, exec, s[6:7]
	s_cbranch_execz .LBB148_68
; %bb.45:
	v_mul_lo_u32 v5, v5, s14
	s_and_saveexec_b64 s[8:9], vcc
	s_cbranch_execnz .LBB148_78
; %bb.46:
	s_or_b64 exec, exec, s[8:9]
	s_and_saveexec_b64 s[8:9], s[0:1]
	s_cbranch_execnz .LBB148_79
.LBB148_47:
	s_or_b64 exec, exec, s[8:9]
	s_and_saveexec_b64 s[8:9], s[2:3]
	s_cbranch_execnz .LBB148_80
.LBB148_48:
	s_or_b64 exec, exec, s[8:9]
	s_and_saveexec_b64 s[8:9], s[4:5]
	s_cbranch_execz .LBB148_50
.LBB148_49:
	v_add_u32_e32 v6, v5, v4
	v_mov_b32_e32 v7, 0
	v_cvt_f16_f32_e32 v8, v24
	v_lshlrev_b64 v[6:7], 1, v[6:7]
	s_waitcnt lgkmcnt(0)
	v_mov_b32_e32 v5, s13
	v_add_co_u32_e64 v6, s[6:7], s12, v6
	v_addc_co_u32_e64 v7, s[6:7], v5, v7, s[6:7]
	global_store_short v[6:7], v8, off
.LBB148_50:
	s_or_b64 exec, exec, s[8:9]
	v_add3_u32 v5, v1, s15, 40
	v_cmp_gt_u32_e64 s[6:7], s10, v5
	s_and_b64 exec, exec, s[6:7]
	s_cbranch_execz .LBB148_68
; %bb.51:
	v_mul_lo_u32 v5, v5, s14
	s_and_saveexec_b64 s[8:9], vcc
	s_cbranch_execnz .LBB148_81
; %bb.52:
	s_or_b64 exec, exec, s[8:9]
	s_and_saveexec_b64 s[8:9], s[0:1]
	s_cbranch_execnz .LBB148_82
.LBB148_53:
	s_or_b64 exec, exec, s[8:9]
	s_and_saveexec_b64 s[8:9], s[2:3]
	s_cbranch_execnz .LBB148_83
.LBB148_54:
	s_or_b64 exec, exec, s[8:9]
	s_and_saveexec_b64 s[8:9], s[4:5]
	s_cbranch_execz .LBB148_56
.LBB148_55:
	v_add_u32_e32 v6, v5, v4
	v_mov_b32_e32 v7, 0
	v_cvt_f16_f32_e32 v8, v25
	v_lshlrev_b64 v[6:7], 1, v[6:7]
	s_waitcnt lgkmcnt(0)
	v_mov_b32_e32 v5, s13
	v_add_co_u32_e64 v6, s[6:7], s12, v6
	v_addc_co_u32_e64 v7, s[6:7], v5, v7, s[6:7]
	global_store_short v[6:7], v8, off
.LBB148_56:
	s_or_b64 exec, exec, s[8:9]
	v_add3_u32 v5, v1, s15, 48
	v_cmp_gt_u32_e64 s[6:7], s10, v5
	s_and_b64 exec, exec, s[6:7]
	s_cbranch_execz .LBB148_68
; %bb.57:
	v_mul_lo_u32 v5, v5, s14
	s_and_saveexec_b64 s[8:9], vcc
	s_cbranch_execnz .LBB148_84
; %bb.58:
	s_or_b64 exec, exec, s[8:9]
	s_and_saveexec_b64 s[8:9], s[0:1]
	s_cbranch_execnz .LBB148_85
.LBB148_59:
	s_or_b64 exec, exec, s[8:9]
	s_and_saveexec_b64 s[8:9], s[2:3]
	s_cbranch_execnz .LBB148_86
.LBB148_60:
	s_or_b64 exec, exec, s[8:9]
	s_and_saveexec_b64 s[8:9], s[4:5]
	s_cbranch_execz .LBB148_62
.LBB148_61:
	v_add_u32_e32 v6, v5, v4
	v_mov_b32_e32 v7, 0
	v_cvt_f16_f32_e32 v8, v16
	v_lshlrev_b64 v[6:7], 1, v[6:7]
	s_waitcnt lgkmcnt(0)
	v_mov_b32_e32 v5, s13
	v_add_co_u32_e64 v6, s[6:7], s12, v6
	v_addc_co_u32_e64 v7, s[6:7], v5, v7, s[6:7]
	global_store_short v[6:7], v8, off
.LBB148_62:
	s_or_b64 exec, exec, s[8:9]
	v_add3_u32 v1, v1, s15, 56
	v_cmp_gt_u32_e64 s[6:7], s10, v1
	s_and_b64 exec, exec, s[6:7]
	s_cbranch_execz .LBB148_68
; %bb.63:
	v_mul_lo_u32 v1, v1, s14
	s_and_saveexec_b64 s[6:7], vcc
	s_cbranch_execnz .LBB148_87
; %bb.64:
	s_or_b64 exec, exec, s[6:7]
	s_and_saveexec_b64 s[6:7], s[0:1]
	s_cbranch_execnz .LBB148_88
.LBB148_65:
	s_or_b64 exec, exec, s[6:7]
	s_and_saveexec_b64 s[0:1], s[2:3]
	s_cbranch_execnz .LBB148_89
.LBB148_66:
	s_or_b64 exec, exec, s[0:1]
	s_and_b64 exec, exec, s[4:5]
	s_cbranch_execz .LBB148_68
.LBB148_67:
	v_add_u32_e32 v0, v1, v4
	v_mov_b32_e32 v1, 0
	v_cvt_f16_f32_e32 v3, v17
	v_lshlrev_b64 v[0:1], 1, v[0:1]
	s_waitcnt lgkmcnt(0)
	v_mov_b32_e32 v2, s13
	v_add_co_u32_e32 v0, vcc, s12, v0
	v_addc_co_u32_e32 v1, vcc, v2, v1, vcc
	global_store_short v[0:1], v3, off
.LBB148_68:
	s_endpgm
.LBB148_69:
	v_add_u32_e32 v6, v5, v0
	v_mov_b32_e32 v7, 0
	v_cvt_f16_f32_e32 v9, v118
	v_lshlrev_b64 v[6:7], 1, v[6:7]
	s_waitcnt lgkmcnt(0)
	v_mov_b32_e32 v8, s13
	v_add_co_u32_e64 v6, s[6:7], s12, v6
	v_addc_co_u32_e64 v7, s[6:7], v8, v7, s[6:7]
	global_store_short v[6:7], v9, off
	s_or_b64 exec, exec, s[8:9]
	s_and_saveexec_b64 s[8:9], s[0:1]
	s_cbranch_execz .LBB148_29
.LBB148_70:
	v_add_u32_e32 v6, v5, v2
	v_mov_b32_e32 v7, 0
	v_cvt_f16_f32_e32 v9, v116
	v_lshlrev_b64 v[6:7], 1, v[6:7]
	s_waitcnt lgkmcnt(0)
	v_mov_b32_e32 v8, s13
	v_add_co_u32_e64 v6, s[6:7], s12, v6
	v_addc_co_u32_e64 v7, s[6:7], v8, v7, s[6:7]
	global_store_short v[6:7], v9, off
	s_or_b64 exec, exec, s[8:9]
	s_and_saveexec_b64 s[8:9], s[2:3]
	s_cbranch_execz .LBB148_30
.LBB148_71:
	v_add_u32_e32 v6, v5, v3
	v_mov_b32_e32 v7, 0
	v_cvt_f16_f32_e32 v9, v102
	v_lshlrev_b64 v[6:7], 1, v[6:7]
	s_waitcnt lgkmcnt(0)
	v_mov_b32_e32 v8, s13
	v_add_co_u32_e64 v6, s[6:7], s12, v6
	v_addc_co_u32_e64 v7, s[6:7], v8, v7, s[6:7]
	global_store_short v[6:7], v9, off
	s_or_b64 exec, exec, s[8:9]
	s_and_saveexec_b64 s[8:9], s[4:5]
	s_cbranch_execnz .LBB148_31
	s_branch .LBB148_32
.LBB148_72:
	v_add_u32_e32 v6, v5, v0
	v_mov_b32_e32 v7, 0
	v_cvt_f16_f32_e32 v9, v38
	v_lshlrev_b64 v[6:7], 1, v[6:7]
	s_waitcnt lgkmcnt(0)
	v_mov_b32_e32 v8, s13
	v_add_co_u32_e64 v6, s[6:7], s12, v6
	v_addc_co_u32_e64 v7, s[6:7], v8, v7, s[6:7]
	global_store_short v[6:7], v9, off
	s_or_b64 exec, exec, s[8:9]
	s_and_saveexec_b64 s[8:9], s[0:1]
	s_cbranch_execz .LBB148_35
.LBB148_73:
	v_add_u32_e32 v6, v5, v2
	v_mov_b32_e32 v7, 0
	v_cvt_f16_f32_e32 v9, v36
	v_lshlrev_b64 v[6:7], 1, v[6:7]
	s_waitcnt lgkmcnt(0)
	v_mov_b32_e32 v8, s13
	v_add_co_u32_e64 v6, s[6:7], s12, v6
	v_addc_co_u32_e64 v7, s[6:7], v8, v7, s[6:7]
	global_store_short v[6:7], v9, off
	s_or_b64 exec, exec, s[8:9]
	s_and_saveexec_b64 s[8:9], s[2:3]
	s_cbranch_execz .LBB148_36
.LBB148_74:
	v_add_u32_e32 v6, v5, v3
	v_mov_b32_e32 v7, 0
	v_cvt_f16_f32_e32 v9, v34
	v_lshlrev_b64 v[6:7], 1, v[6:7]
	s_waitcnt lgkmcnt(0)
	v_mov_b32_e32 v8, s13
	v_add_co_u32_e64 v6, s[6:7], s12, v6
	v_addc_co_u32_e64 v7, s[6:7], v8, v7, s[6:7]
	global_store_short v[6:7], v9, off
	s_or_b64 exec, exec, s[8:9]
	s_and_saveexec_b64 s[8:9], s[4:5]
	s_cbranch_execnz .LBB148_37
	s_branch .LBB148_38
.LBB148_75:
	v_add_u32_e32 v6, v5, v0
	v_mov_b32_e32 v7, 0
	v_cvt_f16_f32_e32 v9, v39
	v_lshlrev_b64 v[6:7], 1, v[6:7]
	s_waitcnt lgkmcnt(0)
	v_mov_b32_e32 v8, s13
	v_add_co_u32_e64 v6, s[6:7], s12, v6
	v_addc_co_u32_e64 v7, s[6:7], v8, v7, s[6:7]
	global_store_short v[6:7], v9, off
	s_or_b64 exec, exec, s[8:9]
	s_and_saveexec_b64 s[8:9], s[0:1]
	s_cbranch_execz .LBB148_41
.LBB148_76:
	v_add_u32_e32 v6, v5, v2
	v_mov_b32_e32 v7, 0
	v_cvt_f16_f32_e32 v9, v37
	v_lshlrev_b64 v[6:7], 1, v[6:7]
	s_waitcnt lgkmcnt(0)
	v_mov_b32_e32 v8, s13
	v_add_co_u32_e64 v6, s[6:7], s12, v6
	v_addc_co_u32_e64 v7, s[6:7], v8, v7, s[6:7]
	global_store_short v[6:7], v9, off
	s_or_b64 exec, exec, s[8:9]
	s_and_saveexec_b64 s[8:9], s[2:3]
	s_cbranch_execz .LBB148_42
.LBB148_77:
	v_add_u32_e32 v6, v5, v3
	v_mov_b32_e32 v7, 0
	v_cvt_f16_f32_e32 v9, v35
	v_lshlrev_b64 v[6:7], 1, v[6:7]
	s_waitcnt lgkmcnt(0)
	v_mov_b32_e32 v8, s13
	v_add_co_u32_e64 v6, s[6:7], s12, v6
	v_addc_co_u32_e64 v7, s[6:7], v8, v7, s[6:7]
	global_store_short v[6:7], v9, off
	s_or_b64 exec, exec, s[8:9]
	s_and_saveexec_b64 s[8:9], s[4:5]
	s_cbranch_execnz .LBB148_43
	s_branch .LBB148_44
.LBB148_78:
	v_add_u32_e32 v6, v5, v0
	v_mov_b32_e32 v7, 0
	v_cvt_f16_f32_e32 v9, v30
	v_lshlrev_b64 v[6:7], 1, v[6:7]
	s_waitcnt lgkmcnt(0)
	v_mov_b32_e32 v8, s13
	v_add_co_u32_e64 v6, s[6:7], s12, v6
	v_addc_co_u32_e64 v7, s[6:7], v8, v7, s[6:7]
	global_store_short v[6:7], v9, off
	s_or_b64 exec, exec, s[8:9]
	s_and_saveexec_b64 s[8:9], s[0:1]
	s_cbranch_execz .LBB148_47
.LBB148_79:
	v_add_u32_e32 v6, v5, v2
	v_mov_b32_e32 v7, 0
	v_cvt_f16_f32_e32 v9, v28
	v_lshlrev_b64 v[6:7], 1, v[6:7]
	s_waitcnt lgkmcnt(0)
	v_mov_b32_e32 v8, s13
	v_add_co_u32_e64 v6, s[6:7], s12, v6
	v_addc_co_u32_e64 v7, s[6:7], v8, v7, s[6:7]
	global_store_short v[6:7], v9, off
	s_or_b64 exec, exec, s[8:9]
	s_and_saveexec_b64 s[8:9], s[2:3]
	s_cbranch_execz .LBB148_48
.LBB148_80:
	v_add_u32_e32 v6, v5, v3
	v_mov_b32_e32 v7, 0
	v_cvt_f16_f32_e32 v9, v26
	v_lshlrev_b64 v[6:7], 1, v[6:7]
	s_waitcnt lgkmcnt(0)
	v_mov_b32_e32 v8, s13
	v_add_co_u32_e64 v6, s[6:7], s12, v6
	v_addc_co_u32_e64 v7, s[6:7], v8, v7, s[6:7]
	global_store_short v[6:7], v9, off
	s_or_b64 exec, exec, s[8:9]
	s_and_saveexec_b64 s[8:9], s[4:5]
	s_cbranch_execnz .LBB148_49
	s_branch .LBB148_50
.LBB148_81:
	v_add_u32_e32 v6, v5, v0
	v_mov_b32_e32 v7, 0
	v_cvt_f16_f32_e32 v9, v31
	v_lshlrev_b64 v[6:7], 1, v[6:7]
	s_waitcnt lgkmcnt(0)
	v_mov_b32_e32 v8, s13
	v_add_co_u32_e64 v6, s[6:7], s12, v6
	v_addc_co_u32_e64 v7, s[6:7], v8, v7, s[6:7]
	global_store_short v[6:7], v9, off
	s_or_b64 exec, exec, s[8:9]
	s_and_saveexec_b64 s[8:9], s[0:1]
	s_cbranch_execz .LBB148_53
.LBB148_82:
	v_add_u32_e32 v6, v5, v2
	v_mov_b32_e32 v7, 0
	v_cvt_f16_f32_e32 v9, v29
	v_lshlrev_b64 v[6:7], 1, v[6:7]
	s_waitcnt lgkmcnt(0)
	v_mov_b32_e32 v8, s13
	v_add_co_u32_e64 v6, s[6:7], s12, v6
	v_addc_co_u32_e64 v7, s[6:7], v8, v7, s[6:7]
	global_store_short v[6:7], v9, off
	s_or_b64 exec, exec, s[8:9]
	s_and_saveexec_b64 s[8:9], s[2:3]
	s_cbranch_execz .LBB148_54
.LBB148_83:
	v_add_u32_e32 v6, v5, v3
	v_mov_b32_e32 v7, 0
	v_cvt_f16_f32_e32 v9, v27
	v_lshlrev_b64 v[6:7], 1, v[6:7]
	s_waitcnt lgkmcnt(0)
	v_mov_b32_e32 v8, s13
	v_add_co_u32_e64 v6, s[6:7], s12, v6
	v_addc_co_u32_e64 v7, s[6:7], v8, v7, s[6:7]
	global_store_short v[6:7], v9, off
	s_or_b64 exec, exec, s[8:9]
	s_and_saveexec_b64 s[8:9], s[4:5]
	s_cbranch_execnz .LBB148_55
	s_branch .LBB148_56
.LBB148_84:
	v_add_u32_e32 v6, v5, v0
	v_mov_b32_e32 v7, 0
	v_cvt_f16_f32_e32 v9, v22
	v_lshlrev_b64 v[6:7], 1, v[6:7]
	s_waitcnt lgkmcnt(0)
	v_mov_b32_e32 v8, s13
	v_add_co_u32_e64 v6, s[6:7], s12, v6
	v_addc_co_u32_e64 v7, s[6:7], v8, v7, s[6:7]
	global_store_short v[6:7], v9, off
	s_or_b64 exec, exec, s[8:9]
	s_and_saveexec_b64 s[8:9], s[0:1]
	s_cbranch_execz .LBB148_59
.LBB148_85:
	v_add_u32_e32 v6, v5, v2
	v_mov_b32_e32 v7, 0
	v_cvt_f16_f32_e32 v9, v20
	v_lshlrev_b64 v[6:7], 1, v[6:7]
	s_waitcnt lgkmcnt(0)
	v_mov_b32_e32 v8, s13
	v_add_co_u32_e64 v6, s[6:7], s12, v6
	v_addc_co_u32_e64 v7, s[6:7], v8, v7, s[6:7]
	global_store_short v[6:7], v9, off
	s_or_b64 exec, exec, s[8:9]
	s_and_saveexec_b64 s[8:9], s[2:3]
	s_cbranch_execz .LBB148_60
.LBB148_86:
	v_add_u32_e32 v6, v5, v3
	v_mov_b32_e32 v7, 0
	v_cvt_f16_f32_e32 v9, v18
	v_lshlrev_b64 v[6:7], 1, v[6:7]
	s_waitcnt lgkmcnt(0)
	v_mov_b32_e32 v8, s13
	v_add_co_u32_e64 v6, s[6:7], s12, v6
	v_addc_co_u32_e64 v7, s[6:7], v8, v7, s[6:7]
	global_store_short v[6:7], v9, off
	s_or_b64 exec, exec, s[8:9]
	s_and_saveexec_b64 s[8:9], s[4:5]
	s_cbranch_execnz .LBB148_61
	s_branch .LBB148_62
.LBB148_87:
	v_add_u32_e32 v6, v1, v0
	v_mov_b32_e32 v7, 0
	v_cvt_f16_f32_e32 v5, v23
	v_lshlrev_b64 v[6:7], 1, v[6:7]
	s_waitcnt lgkmcnt(0)
	v_mov_b32_e32 v0, s13
	v_add_co_u32_e32 v6, vcc, s12, v6
	v_addc_co_u32_e32 v7, vcc, v0, v7, vcc
	global_store_short v[6:7], v5, off
	s_or_b64 exec, exec, s[6:7]
	s_and_saveexec_b64 s[6:7], s[0:1]
	s_cbranch_execz .LBB148_65
.LBB148_88:
	v_add_u32_e32 v6, v1, v2
	v_mov_b32_e32 v7, 0
	v_cvt_f16_f32_e32 v2, v21
	v_lshlrev_b64 v[6:7], 1, v[6:7]
	s_waitcnt lgkmcnt(0)
	v_mov_b32_e32 v0, s13
	v_add_co_u32_e32 v6, vcc, s12, v6
	v_addc_co_u32_e32 v7, vcc, v0, v7, vcc
	global_store_short v[6:7], v2, off
	s_or_b64 exec, exec, s[6:7]
	s_and_saveexec_b64 s[0:1], s[2:3]
	s_cbranch_execz .LBB148_66
.LBB148_89:
	v_add_u32_e32 v2, v1, v3
	v_mov_b32_e32 v3, 0
	v_cvt_f16_f32_e32 v5, v19
	v_lshlrev_b64 v[2:3], 1, v[2:3]
	s_waitcnt lgkmcnt(0)
	v_mov_b32_e32 v0, s13
	v_add_co_u32_e32 v2, vcc, s12, v2
	v_addc_co_u32_e32 v3, vcc, v0, v3, vcc
	global_store_short v[2:3], v5, off
	s_or_b64 exec, exec, s[0:1]
	s_and_b64 exec, exec, s[4:5]
	s_cbranch_execnz .LBB148_67
	s_branch .LBB148_68
	.section	.rodata,"a",@progbits
	.p2align	6, 0x0
	.amdhsa_kernel _ZL12mul_mat_q2_KIN3c104HalfELb1EEvPKvS3_PT_iiiii
		.amdhsa_group_segment_fixed_size 31392
		.amdhsa_private_segment_fixed_size 0
		.amdhsa_kernarg_size 44
		.amdhsa_user_sgpr_count 6
		.amdhsa_user_sgpr_private_segment_buffer 1
		.amdhsa_user_sgpr_dispatch_ptr 0
		.amdhsa_user_sgpr_queue_ptr 0
		.amdhsa_user_sgpr_kernarg_segment_ptr 1
		.amdhsa_user_sgpr_dispatch_id 0
		.amdhsa_user_sgpr_flat_scratch_init 0
		.amdhsa_user_sgpr_kernarg_preload_length 0
		.amdhsa_user_sgpr_kernarg_preload_offset 0
		.amdhsa_user_sgpr_private_segment_size 0
		.amdhsa_uses_dynamic_stack 0
		.amdhsa_system_sgpr_private_segment_wavefront_offset 0
		.amdhsa_system_sgpr_workgroup_id_x 1
		.amdhsa_system_sgpr_workgroup_id_y 1
		.amdhsa_system_sgpr_workgroup_id_z 0
		.amdhsa_system_sgpr_workgroup_info 0
		.amdhsa_system_vgpr_workitem_id 1
		.amdhsa_next_free_vgpr 223
		.amdhsa_next_free_sgpr 22
		.amdhsa_accum_offset 224
		.amdhsa_reserve_vcc 1
		.amdhsa_reserve_flat_scratch 0
		.amdhsa_float_round_mode_32 0
		.amdhsa_float_round_mode_16_64 0
		.amdhsa_float_denorm_mode_32 3
		.amdhsa_float_denorm_mode_16_64 3
		.amdhsa_dx10_clamp 1
		.amdhsa_ieee_mode 1
		.amdhsa_fp16_overflow 0
		.amdhsa_tg_split 0
		.amdhsa_exception_fp_ieee_invalid_op 0
		.amdhsa_exception_fp_denorm_src 0
		.amdhsa_exception_fp_ieee_div_zero 0
		.amdhsa_exception_fp_ieee_overflow 0
		.amdhsa_exception_fp_ieee_underflow 0
		.amdhsa_exception_fp_ieee_inexact 0
		.amdhsa_exception_int_div_zero 0
	.end_amdhsa_kernel
	.section	.text._ZL12mul_mat_q2_KIN3c104HalfELb1EEvPKvS3_PT_iiiii,"axG",@progbits,_ZL12mul_mat_q2_KIN3c104HalfELb1EEvPKvS3_PT_iiiii,comdat
.Lfunc_end148:
	.size	_ZL12mul_mat_q2_KIN3c104HalfELb1EEvPKvS3_PT_iiiii, .Lfunc_end148-_ZL12mul_mat_q2_KIN3c104HalfELb1EEvPKvS3_PT_iiiii
                                        ; -- End function
	.section	.AMDGPU.csdata,"",@progbits
; Kernel info:
; codeLenInByte = 25936
; NumSgprs: 26
; NumVgprs: 223
; NumAgprs: 0
; TotalNumVgprs: 223
; ScratchSize: 0
; MemoryBound: 0
; FloatMode: 240
; IeeeMode: 1
; LDSByteSize: 31392 bytes/workgroup (compile time only)
; SGPRBlocks: 3
; VGPRBlocks: 27
; NumSGPRsForWavesPerEU: 26
; NumVGPRsForWavesPerEU: 223
; AccumOffset: 224
; Occupancy: 2
; WaveLimiterHint : 0
; COMPUTE_PGM_RSRC2:SCRATCH_EN: 0
; COMPUTE_PGM_RSRC2:USER_SGPR: 6
; COMPUTE_PGM_RSRC2:TRAP_HANDLER: 0
; COMPUTE_PGM_RSRC2:TGID_X_EN: 1
; COMPUTE_PGM_RSRC2:TGID_Y_EN: 1
; COMPUTE_PGM_RSRC2:TGID_Z_EN: 0
; COMPUTE_PGM_RSRC2:TIDIG_COMP_CNT: 1
; COMPUTE_PGM_RSRC3_GFX90A:ACCUM_OFFSET: 55
; COMPUTE_PGM_RSRC3_GFX90A:TG_SPLIT: 0
	.section	.text._ZL12mul_mat_q3_KIN3c104HalfELb0EEvPKvS3_PT_iiiii,"axG",@progbits,_ZL12mul_mat_q3_KIN3c104HalfELb0EEvPKvS3_PT_iiiii,comdat
	.globl	_ZL12mul_mat_q3_KIN3c104HalfELb0EEvPKvS3_PT_iiiii ; -- Begin function _ZL12mul_mat_q3_KIN3c104HalfELb0EEvPKvS3_PT_iiiii
	.p2align	8
	.type	_ZL12mul_mat_q3_KIN3c104HalfELb0EEvPKvS3_PT_iiiii,@function
_ZL12mul_mat_q3_KIN3c104HalfELb0EEvPKvS3_PT_iiiii: ; @_ZL12mul_mat_q3_KIN3c104HalfELb0EEvPKvS3_PT_iiiii
; %bb.0:
	s_load_dword s14, s[4:5], 0x18
	s_load_dwordx4 s[8:11], s[4:5], 0x20
	s_waitcnt lgkmcnt(0)
	s_lshl_b32 s11, s7, 6
	v_bfe_u32 v45, v0, 10, 10
	s_cmpk_gt_i32 s14, 0xff
	s_cbranch_scc1 .LBB149_2
; %bb.1:
	v_bfe_u32 v1, v0, 10, 10
	v_and_b32_e32 v41, 0x3ff, v0
	v_add_u32_e32 v88, s11, v1
	s_mov_b64 s[0:1], 0
	s_mov_b32 s2, 0
	s_branch .LBB149_3
.LBB149_2:
	s_mov_b64 s[0:1], -1
                                        ; implicit-def: $sgpr2
                                        ; implicit-def: $vgpr1
                                        ; implicit-def: $vgpr41
                                        ; implicit-def: $vgpr88
.LBB149_3:
	s_load_dwordx2 s[12:13], s[4:5], 0x10
	s_lshl_b32 s6, s6, 7
	s_andn2_b64 vcc, exec, s[0:1]
	v_mov_b32_e32 v9, s2
	v_mov_b32_e32 v17, s2
	;; [unrolled: 1-line block ×32, first 2 shown]
	s_cbranch_vccnz .LBB149_17
; %bb.4:
	s_load_dwordx4 s[0:3], s[4:5], 0x0
	s_ashr_i32 s4, s14, 31
	s_lshr_b32 s4, s4, 24
	s_add_i32 s14, s14, s4
	s_ashr_i32 s5, s9, 31
	s_ashr_i32 s4, s14, 8
	s_lshr_b32 s5, s5, 27
	s_add_i32 s5, s9, s5
	s_mul_i32 s7, s4, s6
	s_ashr_i32 s15, s5, 5
	s_mul_hi_i32 s9, s7, 0x6e
	s_mulk_i32 s7, 0x6e
	s_waitcnt lgkmcnt(0)
	s_add_u32 s0, s0, s7
	s_addc_u32 s1, s1, s9
	v_and_b32_e32 v41, 0x3ff, v0
	s_lshl_b32 s9, s4, 3
	v_mov_b32_e32 v2, s9
	v_lshlrev_b32_e32 v95, 4, v45
	v_lshrrev_b32_e32 v4, 1, v41
	v_mad_i32_i24 v14, s4, v45, v2
	v_and_b32_e32 v44, 1, v41
	v_add_u32_e32 v2, v4, v95
	v_and_b32_e32 v3, 0x7f, v2
	v_lshlrev_b32_e32 v5, 2, v44
	v_lshrrev_b32_e32 v2, 2, v2
	v_mul_i32_i24_e32 v46, s4, v3
	v_lshl_or_b32 v3, v3, 3, v5
	v_and_b32_e32 v2, 28, v2
	s_mov_b32 s16, 0x9380
	v_lshrrev_b32_e32 v8, 4, v41
	v_add3_u32 v96, v3, v2, s16
	v_lshlrev_b32_e32 v2, 1, v45
	v_add_u32_e32 v3, v8, v2
	v_add_u16_e32 v2, v8, v2
	v_and_b32_e32 v0, 15, v41
	v_lshrrev_b16_e32 v2, 1, v2
	v_lshlrev_b32_e32 v10, 2, v0
	v_lshlrev_b32_e32 v2, 2, v2
	s_movk_i32 s17, 0x4200
	s_lshl_b32 s18, s4, 4
	v_add3_u32 v5, v2, v10, s17
	v_add_u32_e32 v2, 16, v3
	v_mov_b32_e32 v7, s18
	v_mad_i32_i24 v54, s4, v3, v7
	v_lshlrev_b32_e32 v7, 1, v2
	v_lshlrev_b32_e32 v9, 6, v2
	v_add_u32_e32 v2, 32, v3
	v_lshlrev_b32_e32 v11, 1, v2
	v_lshlrev_b32_e32 v13, 6, v2
	v_add_u32_e32 v2, 48, v3
	;; [unrolled: 3-line block ×6, first 2 shown]
	v_cmp_lt_u32_e32 vcc, 7, v0
	v_and_b32_e32 v0, 7, v41
	v_mul_i32_i24_e32 v52, s4, v3
	v_lshlrev_b32_e32 v6, 6, v3
	v_lshlrev_b32_e32 v3, 1, v2
	v_cndmask_b32_e64 v48, 0, 1, vcc
	v_lshlrev_b32_e32 v50, 2, v0
	v_add_u32_e32 v56, s18, v54
	v_and_b32_e32 v3, 0xffc, v3
	v_cmp_lt_u32_e32 vcc, 3, v0
	v_and_b32_e32 v0, 3, v41
	v_add_u32_e32 v58, s18, v56
	v_add3_u32 v31, v3, v10, s17
	v_cndmask_b32_e64 v68, 0, 1, vcc
	v_add_u16_e32 v3, -2, v0
	v_cmp_gt_u32_e32 vcc, 2, v0
	v_add_u32_e32 v60, s18, v58
	v_cndmask_b32_e32 v3, v3, v0, vcc
	v_cmp_lt_u32_e32 vcc, 1, v0
	v_add_u32_e32 v62, s18, v60
	v_lshrrev_b32_e32 v100, 3, v41
	v_cndmask_b32_e64 v35, 0, 1, vcc
	v_lshlrev_b32_e32 v1, 2, v41
	s_movk_i32 s14, 0x84
	v_and_b32_e32 v7, 0xffc, v7
	v_and_b32_e32 v11, 0xffc, v11
	;; [unrolled: 1-line block ×5, first 2 shown]
	v_add_u32_e32 v64, s18, v62
	v_and_b32_e32 v27, 0xffc, v27
	v_lshlrev_b32_e32 v33, 6, v2
	v_lshl_add_u32 v2, v45, 2, v100
	v_lshlrev_b32_e32 v101, 2, v35
	v_mov_b32_e32 v35, 2
	v_mad_u32_u24 v57, v45, s14, v1
	v_add3_u32 v7, v7, v10, s17
	v_add3_u32 v11, v11, v10, s17
	v_add3_u32 v15, v15, v10, s17
	v_add3_u32 v19, v19, v10, s17
	v_add3_u32 v23, v23, v10, s17
	v_add3_u32 v27, v27, v10, s17
	v_add_u32_e32 v66, s18, v64
	v_lshlrev_b32_sdwa v70, v35, v3 dst_sel:DWORD dst_unused:UNUSED_PAD src0_sel:DWORD src1_sel:BYTE_0
	v_and_b32_e32 v3, 0x7fc, v2
	s_mov_b32 s17, 0x8300
	s_lshl_b32 s18, s4, 5
	v_and_b32_e32 v1, 28, v1
	v_add3_u32 v35, v3, v50, s17
	v_add_u32_e32 v3, 32, v2
	v_mov_b32_e32 v39, s18
	v_add_co_u32_e32 v80, vcc, s2, v1
	v_lshrrev_b32_e32 v1, 2, v41
	v_mul_i32_i24_e32 v72, s4, v2
	v_lshlrev_b32_e32 v37, 5, v2
	v_mad_i32_i24 v74, s4, v2, v39
	v_and_b32_e32 v39, 0xffc, v3
	v_lshlrev_b32_e32 v43, 5, v3
	v_add_u32_e32 v3, 64, v2
	v_add_u32_e32 v2, 0x60, v2
	v_lshl_add_u32 v1, v45, 3, v1
	v_and_b32_e32 v47, 0xffc, v3
	v_lshlrev_b32_e32 v49, 5, v3
	v_and_b32_e32 v3, 0xffc, v2
	v_mov_b32_e32 v61, s3
	v_and_b32_e32 v1, 63, v1
	v_add3_u32 v39, v39, v50, s17
	v_add3_u32 v47, v47, v50, s17
	;; [unrolled: 1-line block ×3, first 2 shown]
	s_add_i32 s17, s8, -1
	v_addc_co_u32_e32 v81, vcc, 0, v61, vcc
	v_or_b32_e32 v61, s11, v1
	v_add_u32_e32 v76, s18, v74
	v_min_i32_e32 v61, s17, v61
	v_lshlrev_b32_e32 v102, 1, v0
	v_add_u32_e32 v78, s18, v76
	v_mad_u64_u32 v[82:83], s[18:19], v61, s15, v[0:1]
	v_lshlrev_b32_e32 v0, 2, v0
	v_add_u32_e32 v88, s11, v45
	v_lshl_or_b32 v0, v1, 4, v0
	v_lshlrev_b32_e32 v53, 5, v2
	v_cvt_f64_i32_e32 v[2:3], s17
	v_add_u32_e32 v105, 0x97a0, v0
	v_cvt_f64_u32_e32 v[0:1], v88
	v_min_f64 v[0:1], v[0:1], v[2:3]
	v_cvt_i32_f64_e32 v0, v[0:1]
	v_mul_lo_u32 v106, s15, v0
	v_add_u32_e32 v0, 8, v88
	v_cvt_f64_u32_e32 v[0:1], v0
	v_min_f64 v[0:1], v[0:1], v[2:3]
	v_cvt_i32_f64_e32 v0, v[0:1]
	v_mul_lo_u32 v110, s15, v0
	;; [unrolled: 5-line block ×7, first 2 shown]
	v_add_u32_e32 v0, 56, v88
	v_cvt_f64_u32_e32 v[0:1], v0
	v_add_u32_e32 v16, s9, v14
	v_min_f64 v[0:1], v[0:1], v[2:3]
	v_add_u32_e32 v18, s9, v16
	v_cvt_i32_f64_e32 v0, v[0:1]
	v_add_u32_e32 v20, s9, v18
	v_mul_lo_u32 v123, s15, v0
	v_add_u32_e32 v0, 32, v41
	v_add_u32_e32 v22, s9, v20
	v_lshrrev_b32_e32 v1, 1, v0
	v_add_u32_e32 v24, s9, v22
	v_lshl_add_u32 v129, v0, 4, v1
	v_mov_b32_e32 v1, 0x1080
	v_add_u32_e32 v26, s9, v24
	v_lshl_add_u32 v126, v41, 4, v4
	v_lshlrev_b32_e32 v4, 2, v8
	v_lshlrev_b32_e32 v77, 3, v41
	v_mad_u32_u24 v130, v41, s14, v1
	v_lshrrev_b32_e32 v1, 2, v0
	v_add_u32_e32 v28, s9, v26
	v_add3_u32 v128, v4, v77, s16
	v_and_b32_e32 v1, 0x7c, v1
	v_lshlrev_b32_e32 v4, 3, v0
	v_add_u32_e32 v30, s9, v28
	v_add_u32_e32 v2, 64, v41
	v_add3_u32 v131, v4, v1, s16
	v_mov_b32_e32 v1, 0x2100
	v_add_u32_e32 v32, s9, v30
	v_and_b32_e32 v55, 31, v41
	v_lshlrev_b32_e32 v107, 7, v45
	v_lshrrev_b32_e32 v3, 1, v2
	v_mad_u32_u24 v133, v41, s14, v1
	v_lshrrev_b32_e32 v1, 2, v2
	v_add_u32_e32 v34, s9, v32
	v_lshl_or_b32 v55, v55, 2, v107
	v_lshl_add_u32 v132, v2, 4, v3
	v_and_b32_e32 v1, 0x7c, v1
	v_lshlrev_b32_e32 v3, 3, v2
	v_add_u32_e32 v36, s9, v34
	v_add_u32_e32 v108, 0x6300, v55
	v_add_u32_e32 v111, 0x6700, v55
	v_add_u32_e32 v113, 0x6b00, v55
	v_add_u32_e32 v115, 0x6f00, v55
	v_add_u32_e32 v117, 0x7300, v55
	v_add_u32_e32 v120, 0x7700, v55
	v_add_u32_e32 v122, 0x7b00, v55
	v_add_u32_e32 v124, 0x7f00, v55
	v_add_u32_e32 v55, 0x60, v41
	v_add3_u32 v134, v3, v1, s16
	v_mov_b32_e32 v1, 0x3180
	v_add_u32_e32 v38, s9, v36
	v_mad_u32_u24 v136, v41, s14, v1
	v_lshrrev_b32_e32 v1, 2, v55
	v_add_u32_e32 v40, s9, v38
	v_lshrrev_b32_e32 v61, 1, v55
	v_and_b32_e32 v1, 0x7c, v1
	v_lshlrev_b32_e32 v3, 3, v55
	v_and_b32_e32 v141, 0xfc, v41
	v_and_b32_e32 v143, 0x1fc, v0
	;; [unrolled: 1-line block ×4, first 2 shown]
	s_movk_i32 s5, 0x6e
	s_mov_b32 s7, 0
	v_mul_i32_i24_e32 v12, s4, v45
	v_add_u32_e32 v59, 0x420, v57
	v_add_u32_e32 v63, 0x840, v57
	;; [unrolled: 1-line block ×16, first 2 shown]
	s_movk_i32 s9, 0x60
	v_lshlrev_b32_e32 v125, 5, v41
	v_mul_u32_u24_e32 v127, 0x84, v41
	v_lshl_add_u32 v135, v55, 4, v61
	v_add3_u32 v137, v3, v1, s16
	v_lshrrev_b32_e32 v138, 3, v0
	v_lshrrev_b32_e32 v139, 3, v2
	;; [unrolled: 1-line block ×3, first 2 shown]
	v_or_b32_e32 v142, 0x6300, v141
	v_add_u32_e32 v144, 0x6300, v143
	v_add_u32_e32 v146, 0x6300, v145
	;; [unrolled: 1-line block ×13, first 2 shown]
	s_mov_b32 s14, 0x30303030
	s_movk_i32 s15, 0x3f00
	s_movk_i32 s16, 0xe000
	v_add_u32_e32 v159, v35, v37
	v_add_u32_e32 v160, v39, v43
	;; [unrolled: 1-line block ×4, first 2 shown]
	v_mov_b32_e32 v163, 8
	v_mov_b32_e32 v119, 0
	;; [unrolled: 1-line block ×33, first 2 shown]
	s_branch .LBB149_6
.LBB149_5:                              ;   in Loop: Header=BB149_6 Depth=1
	s_add_i32 s7, s7, 2
	s_cmp_ge_i32 s7, s4
	s_cbranch_scc1 .LBB149_16
.LBB149_6:                              ; =>This Loop Header: Depth=1
                                        ;     Child Loop BB149_7 Depth 2
                                        ;     Child Loop BB149_9 Depth 2
	;; [unrolled: 1-line block ×4, first 2 shown]
	s_mul_i32 s18, s7, 0x6e
	s_mul_hi_u32 s17, s7, 0x6e
	s_add_u32 s18, s0, s18
	s_addc_u32 s19, s1, s17
	v_pk_mov_b32 v[0:1], s[18:19], s[18:19] op_sel:[0,1]
	v_mad_u64_u32 v[2:3], s[18:19], v8, s5, v[0:1]
	v_add_co_u32_e32 v2, vcc, v2, v10
	v_addc_co_u32_e32 v3, vcc, 0, v3, vcc
	v_add_co_u32_e32 v2, vcc, 32, v2
	v_addc_co_u32_e32 v3, vcc, 0, v3, vcc
	v_mad_u64_u32 v[4:5], s[18:19], v12, s5, v[2:3]
	v_mad_u64_u32 v[6:7], s[18:19], v14, s5, v[2:3]
	;; [unrolled: 1-line block ×8, first 2 shown]
	global_load_dword v172, v[4:5], off
	global_load_dword v173, v[6:7], off
	;; [unrolled: 1-line block ×7, first 2 shown]
	s_nop 0
	global_load_dword v170, v[170:171], off
	v_mad_u64_u32 v[4:5], s[18:19], v28, s5, v[2:3]
	v_mad_u64_u32 v[6:7], s[18:19], v30, s5, v[2:3]
	;; [unrolled: 1-line block ×8, first 2 shown]
	global_load_dword v171, v[4:5], off
	global_load_dword v179, v[6:7], off
	;; [unrolled: 1-line block ×4, first 2 shown]
	s_nop 0
	global_load_dword v164, v[164:165], off
	s_nop 0
	global_load_dword v165, v[166:167], off
	;; [unrolled: 2-line block ×3, first 2 shown]
	global_load_dword v167, v[2:3], off
	v_mad_u64_u32 v[2:3], s[18:19], v46, s5, v[0:1]
	v_mad_u64_u32 v[2:3], s[18:19], v44, s5, v[2:3]
	global_load_ushort v168, v[2:3], off offset:108
	v_mad_u64_u32 v[4:5], s[18:19], v48, s5, v[0:1]
	v_add_co_u32_e32 v4, vcc, v4, v50
	v_addc_co_u32_e32 v5, vcc, 0, v5, vcc
	v_mad_u64_u32 v[6:7], s[18:19], v52, s5, v[4:5]
	v_mad_u64_u32 v[84:85], s[18:19], v54, s5, v[4:5]
	global_load_dword v169, v[6:7], off
	global_load_dword v182, v[84:85], off
	v_mad_u64_u32 v[2:3], s[18:19], v56, s5, v[4:5]
	v_mad_u64_u32 v[86:87], s[18:19], v58, s5, v[4:5]
	global_load_dword v183, v[2:3], off
	global_load_dword v184, v[86:87], off
	;; [unrolled: 4-line block ×3, first 2 shown]
	v_mad_u64_u32 v[0:1], s[18:19], v68, s5, v[0:1]
	v_mad_u64_u32 v[2:3], s[18:19], v64, s5, v[4:5]
	v_add_co_u32_e32 v0, vcc, s9, v0
	global_load_dword v187, v[2:3], off
	v_mad_u64_u32 v[2:3], s[18:19], v66, s5, v[4:5]
	v_addc_co_u32_e32 v1, vcc, 0, v1, vcc
	global_load_dword v188, v[2:3], off
	v_mad_u64_u32 v[2:3], s[18:19], v72, s5, v[0:1]
	v_add_co_u32_e32 v4, vcc, v2, v70
	v_addc_co_u32_e32 v5, vcc, 0, v3, vcc
	global_load_dword v189, v[4:5], off
	v_mad_u64_u32 v[4:5], s[18:19], v74, s5, v[0:1]
	v_add_co_u32_e32 v6, vcc, v4, v70
	v_addc_co_u32_e32 v7, vcc, 0, v5, vcc
	v_mad_u64_u32 v[84:85], s[18:19], v76, s5, v[0:1]
	v_add_co_u32_e32 v86, vcc, v84, v70
	v_mad_u64_u32 v[0:1], s[18:19], v78, s5, v[0:1]
	v_addc_co_u32_e32 v87, vcc, 0, v85, vcc
	global_load_dword v190, v[0:1], off offset:8
	global_load_dword v191, v[86:87], off
	global_load_dword v192, v[84:85], off offset:8
	global_load_dword v193, v[6:7], off
	global_load_dword v194, v[4:5], off offset:8
	global_load_dword v195, v[2:3], off offset:8
	v_add_co_u32_e32 v0, vcc, v0, v70
	s_waitcnt vmcnt(31)
	ds_write_b32 v57, v172
	s_waitcnt vmcnt(30)
	ds_write_b32 v59, v173
	;; [unrolled: 2-line block ×13, first 2 shown]
	v_addc_co_u32_e32 v1, vcc, 0, v1, vcc
	s_lshl_b32 s17, s7, 3
	v_add_u32_e32 v164, s17, v82
	v_mad_u64_u32 v[170:171], s[18:19], v164, 36, s[2:3]
	s_mov_b32 s21, -2
	s_waitcnt vmcnt(15)
	v_cvt_f32_f16_e32 v2, v168
	ds_write_b32 v92, v165
	ds_write_b32 v93, v166
	;; [unrolled: 1-line block ×4, first 2 shown]
	global_load_dword v172, v[0:1], off
	v_add_u32_e32 v168, s17, v100
	v_add_u32_e32 v0, v168, v106
	;; [unrolled: 1-line block ×5, first 2 shown]
	v_mad_i64_i32 v[0:1], s[18:19], v0, 36, v[80:81]
	s_waitcnt vmcnt(15)
	v_not_b32_e32 v2, v169
	ds_write_b32 v151, v2
	s_waitcnt vmcnt(14)
	v_not_b32_e32 v2, v182
	ds_write_b32 v152, v2
	v_mad_i64_i32 v[4:5], s[18:19], v4, 36, v[80:81]
	s_waitcnt vmcnt(13)
	v_not_b32_e32 v2, v183
	ds_write_b32 v153, v2
	s_waitcnt vmcnt(12)
	v_not_b32_e32 v2, v184
	ds_write_b32 v154, v2
	s_waitcnt vmcnt(11)
	v_not_b32_e32 v2, v185
	ds_write_b32 v155, v2
	s_waitcnt vmcnt(10)
	v_not_b32_e32 v2, v186
	ds_write_b32 v156, v2
	v_add_u32_e32 v2, v168, v110
	v_mad_i64_i32 v[2:3], s[18:19], v2, 36, v[80:81]
	v_mad_i64_i32 v[6:7], s[18:19], v6, 36, v[80:81]
	;; [unrolled: 1-line block ×3, first 2 shown]
	v_add_u32_e32 v86, v168, v118
	v_add_u32_e32 v166, v168, v121
	;; [unrolled: 1-line block ×3, first 2 shown]
	v_mad_i64_i32 v[86:87], s[18:19], v86, 36, v[80:81]
	v_mad_i64_i32 v[166:167], s[18:19], v166, 36, v[80:81]
	v_mad_i64_i32 v[168:169], s[18:19], v168, 36, v[80:81]
	global_load_dword v0, v[0:1], off offset:4
	s_nop 0
	global_load_dword v1, v[2:3], off offset:4
	s_nop 0
	global_load_dword v2, v[4:5], off offset:4
	global_load_dword v3, v[6:7], off offset:4
	s_nop 0
	global_load_dword v4, v[84:85], off offset:4
	global_load_dword v5, v[170:171], off
	global_load_dword v6, v[86:87], off offset:4
	global_load_dword v7, v[166:167], off offset:4
	s_nop 0
	global_load_dword v84, v[168:169], off offset:4
	s_waitcnt vmcnt(18)
	v_not_b32_e32 v165, v187
	s_waitcnt vmcnt(17)
	v_not_b32_e32 v85, v188
	ds_write_b32 v157, v165
	ds_write_b32 v158, v85
	s_waitcnt vmcnt(16)
	v_ashrrev_i32_e32 v85, v101, v189
	v_and_b32_e32 v85, 0xf0f0f0f, v85
	v_mov_b32_e32 v165, v107
	v_mov_b32_e32 v166, v95
	s_mov_b32 s18, 0
	s_mov_b32 s19, 0
	s_waitcnt vmcnt(10)
	v_ashrrev_i32_e32 v86, v102, v195
	v_lshlrev_b32_e32 v86, 4, v86
	v_and_or_b32 v85, v86, s14, v85
	v_lshlrev_b16_e32 v87, 8, v85
	v_and_b32_e32 v86, 0x3f00, v85
	v_add_u16_e32 v87, 0xe000, v87
	v_or_b32_sdwa v86, v86, v87 dst_sel:DWORD dst_unused:UNUSED_PAD src0_sel:DWORD src1_sel:BYTE_1
	v_and_b32_sdwa v87, v85, s15 dst_sel:DWORD dst_unused:UNUSED_PAD src0_sel:WORD_1 src1_sel:DWORD
	v_lshlrev_b16_sdwa v85, v163, v85 dst_sel:DWORD dst_unused:UNUSED_PAD src0_sel:DWORD src1_sel:WORD_1
	v_add_u16_e32 v85, 0xe000, v85
	v_or_b32_sdwa v85, v87, v85 dst_sel:DWORD dst_unused:UNUSED_PAD src0_sel:DWORD src1_sel:BYTE_1
	v_add_u16_e32 v86, 0xe000, v86
	v_add_u16_sdwa v85, v85, s16 dst_sel:WORD_1 dst_unused:UNUSED_PAD src0_sel:DWORD src1_sel:DWORD
	v_or_b32_e32 v85, v86, v85
	ds_write_b32 v159, v85
	v_ashrrev_i32_e32 v85, v101, v193
	v_ashrrev_i32_e32 v86, v102, v194
	v_and_b32_e32 v85, 0xf0f0f0f, v85
	v_lshlrev_b32_e32 v86, 4, v86
	v_and_or_b32 v85, v86, s14, v85
	v_lshlrev_b16_e32 v87, 8, v85
	v_and_b32_e32 v86, 0x3f00, v85
	v_add_u16_e32 v87, 0xe000, v87
	v_or_b32_sdwa v86, v86, v87 dst_sel:DWORD dst_unused:UNUSED_PAD src0_sel:DWORD src1_sel:BYTE_1
	v_and_b32_sdwa v87, v85, s15 dst_sel:DWORD dst_unused:UNUSED_PAD src0_sel:WORD_1 src1_sel:DWORD
	v_lshlrev_b16_sdwa v85, v163, v85 dst_sel:DWORD dst_unused:UNUSED_PAD src0_sel:DWORD src1_sel:WORD_1
	v_add_u16_e32 v85, 0xe000, v85
	v_or_b32_sdwa v85, v87, v85 dst_sel:DWORD dst_unused:UNUSED_PAD src0_sel:DWORD src1_sel:BYTE_1
	v_add_u16_e32 v86, 0xe000, v86
	v_add_u16_sdwa v85, v85, s16 dst_sel:WORD_1 dst_unused:UNUSED_PAD src0_sel:DWORD src1_sel:DWORD
	v_or_b32_e32 v85, v86, v85
	ds_write_b32 v160, v85
	v_ashrrev_i32_e32 v85, v101, v191
	v_ashrrev_i32_e32 v86, v102, v192
	v_and_b32_e32 v85, 0xf0f0f0f, v85
	v_lshlrev_b32_e32 v86, 4, v86
	v_and_or_b32 v85, v86, s14, v85
	v_lshlrev_b16_e32 v87, 8, v85
	v_and_b32_e32 v86, 0x3f00, v85
	v_add_u16_e32 v87, 0xe000, v87
	v_or_b32_sdwa v86, v86, v87 dst_sel:DWORD dst_unused:UNUSED_PAD src0_sel:DWORD src1_sel:BYTE_1
	v_and_b32_sdwa v87, v85, s15 dst_sel:DWORD dst_unused:UNUSED_PAD src0_sel:WORD_1 src1_sel:DWORD
	v_lshlrev_b16_sdwa v85, v163, v85 dst_sel:DWORD dst_unused:UNUSED_PAD src0_sel:DWORD src1_sel:WORD_1
	v_add_u16_e32 v85, 0xe000, v85
	v_or_b32_sdwa v85, v87, v85 dst_sel:DWORD dst_unused:UNUSED_PAD src0_sel:DWORD src1_sel:BYTE_1
	v_add_u16_e32 v86, 0xe000, v86
	v_add_u16_sdwa v85, v85, s16 dst_sel:WORD_1 dst_unused:UNUSED_PAD src0_sel:DWORD src1_sel:DWORD
	v_or_b32_e32 v85, v86, v85
	ds_write_b32 v161, v85
	s_waitcnt vmcnt(9)
	v_ashrrev_i32_e32 v85, v101, v172
	v_ashrrev_i32_e32 v86, v102, v190
	v_and_b32_e32 v85, 0xf0f0f0f, v85
	v_lshlrev_b32_e32 v86, 4, v86
	v_and_or_b32 v85, v86, s14, v85
	v_lshlrev_b16_e32 v87, 8, v85
	v_and_b32_e32 v86, 0x3f00, v85
	v_add_u16_e32 v87, 0xe000, v87
	v_or_b32_sdwa v86, v86, v87 dst_sel:DWORD dst_unused:UNUSED_PAD src0_sel:DWORD src1_sel:BYTE_1
	v_and_b32_sdwa v87, v85, s15 dst_sel:DWORD dst_unused:UNUSED_PAD src0_sel:WORD_1 src1_sel:DWORD
	v_lshlrev_b16_sdwa v85, v163, v85 dst_sel:DWORD dst_unused:UNUSED_PAD src0_sel:DWORD src1_sel:WORD_1
	v_add_u16_e32 v85, 0xe000, v85
	v_or_b32_sdwa v85, v87, v85 dst_sel:DWORD dst_unused:UNUSED_PAD src0_sel:DWORD src1_sel:BYTE_1
	v_add_u16_e32 v86, 0xe000, v86
	v_add_u16_sdwa v85, v85, s16 dst_sel:WORD_1 dst_unused:UNUSED_PAD src0_sel:DWORD src1_sel:DWORD
	v_or_b32_e32 v85, v86, v85
	ds_write_b32 v162, v85
	s_waitcnt vmcnt(8)
	ds_write_b32 v108, v0
	s_waitcnt vmcnt(7)
	;; [unrolled: 2-line block ×6, first 2 shown]
	v_cvt_f32_f16_e32 v0, v5
	s_waitcnt vmcnt(2)
	ds_write_b32 v120, v6
	s_waitcnt vmcnt(1)
	ds_write_b32 v122, v7
	;; [unrolled: 2-line block ×3, first 2 shown]
	ds_write_b32 v105, v0
	s_waitcnt lgkmcnt(0)
	s_barrier
.LBB149_7:                              ;   Parent Loop BB149_6 Depth=1
                                        ; =>  This Inner Loop Header: Depth=2
	s_add_i32 s20, s21, 2
	s_and_b32 s22, s19, -16
	s_lshr_b32 s24, s20, 4
	v_add_u32_e32 v86, s22, v125
	s_and_b32 s23, s20, 0x3ffffff8
	s_lshl_b32 s22, s24, 3
	s_lshl_b32 s23, s23, 2
	v_add_lshl_u32 v176, v126, s22, 2
	v_add_u32_e32 v0, 0x9600, v166
	v_add_u32_e32 v87, s23, v127
	;; [unrolled: 1-line block ×3, first 2 shown]
	ds_read2_b32 v[84:85], v0 offset0:104 offset1:136
	ds_read_b128 v[4:7], v165 offset:25344
	ds_read_b128 v[0:3], v165 offset:25360
	ds_read2_b32 v[168:169], v87 offset1:1
	ds_read2_b32 v[170:171], v170 offset1:1
	s_lshl_b32 s24, s24, 2
	v_add_lshl_u32 v198, v132, s22, 2
	v_add_lshl_u32 v188, v129, s22, 2
	s_waitcnt lgkmcnt(1)
	v_ashrrev_i32_e32 v167, s20, v168
	s_waitcnt lgkmcnt(0)
	v_ashrrev_i32_e32 v170, s18, v170
	v_lshlrev_b32_e32 v170, 2, v170
	v_and_b32_e32 v168, 0x3030303, v167
	v_bfe_u32 v167, v167, 24, 2
	v_and_b32_e32 v170, 0x4040404, v170
	v_sub_u16_e32 v172, v168, v170
	v_sub_u16_sdwa v173, v168, v170 dst_sel:BYTE_1 dst_unused:UNUSED_PAD src0_sel:BYTE_1 src1_sel:BYTE_1
	v_sub_u16_sdwa v167, v167, v170 dst_sel:BYTE_1 dst_unused:UNUSED_PAD src0_sel:DWORD src1_sel:BYTE_3
	v_sub_u16_sdwa v168, v168, v170 dst_sel:DWORD dst_unused:UNUSED_PAD src0_sel:WORD_1 src1_sel:WORD_1
	v_ashrrev_i32_e32 v170, s18, v171
	v_or_b32_sdwa v167, v168, v167 dst_sel:WORD_1 dst_unused:UNUSED_PAD src0_sel:BYTE_0 src1_sel:DWORD
	v_ashrrev_i32_e32 v168, s20, v169
	v_lshlrev_b32_e32 v170, 2, v170
	v_or_b32_sdwa v172, v172, v173 dst_sel:DWORD dst_unused:UNUSED_PAD src0_sel:BYTE_0 src1_sel:DWORD
	v_and_b32_e32 v169, 0x3030303, v168
	v_bfe_u32 v168, v168, 24, 2
	v_and_b32_e32 v170, 0x4040404, v170
	v_or_b32_sdwa v167, v172, v167 dst_sel:DWORD dst_unused:UNUSED_PAD src0_sel:WORD_0 src1_sel:DWORD
	v_sub_u16_e32 v171, v169, v170
	v_sub_u16_sdwa v172, v169, v170 dst_sel:BYTE_1 dst_unused:UNUSED_PAD src0_sel:BYTE_1 src1_sel:BYTE_1
	v_sub_u16_sdwa v168, v168, v170 dst_sel:BYTE_1 dst_unused:UNUSED_PAD src0_sel:DWORD src1_sel:BYTE_3
	v_sub_u16_sdwa v169, v169, v170 dst_sel:DWORD dst_unused:UNUSED_PAD src0_sel:WORD_1 src1_sel:WORD_1
	v_or_b32_sdwa v171, v171, v172 dst_sel:DWORD dst_unused:UNUSED_PAD src0_sel:BYTE_0 src1_sel:DWORD
	v_or_b32_sdwa v168, v169, v168 dst_sel:WORD_1 dst_unused:UNUSED_PAD src0_sel:BYTE_0 src1_sel:DWORD
	v_add_u32_e32 v172, 0x4208, v176
	v_or_b32_sdwa v168, v171, v168 dst_sel:DWORD dst_unused:UNUSED_PAD src0_sel:WORD_0 src1_sel:DWORD
	ds_read2_b32 v[170:171], v87 offset0:2 offset1:3
	ds_read2_b32 v[172:173], v172 offset1:1
	v_add_u32_e32 v192, 0x4200, v198
	v_add_lshl_u32 v210, v135, s22, 2
	s_add_i32 s19, s19, 2
	s_waitcnt lgkmcnt(1)
	v_ashrrev_i32_e32 v169, s20, v170
	s_waitcnt lgkmcnt(0)
	v_ashrrev_i32_e32 v172, s18, v172
	v_lshlrev_b32_e32 v172, 2, v172
	v_and_b32_e32 v170, 0x3030303, v169
	v_bfe_u32 v169, v169, 24, 2
	v_and_b32_e32 v172, 0x4040404, v172
	v_sub_u16_e32 v174, v170, v172
	v_sub_u16_sdwa v175, v170, v172 dst_sel:BYTE_1 dst_unused:UNUSED_PAD src0_sel:BYTE_1 src1_sel:BYTE_1
	v_sub_u16_sdwa v169, v169, v172 dst_sel:BYTE_1 dst_unused:UNUSED_PAD src0_sel:DWORD src1_sel:BYTE_3
	v_sub_u16_sdwa v170, v170, v172 dst_sel:DWORD dst_unused:UNUSED_PAD src0_sel:WORD_1 src1_sel:WORD_1
	v_ashrrev_i32_e32 v172, s18, v173
	v_or_b32_sdwa v169, v170, v169 dst_sel:WORD_1 dst_unused:UNUSED_PAD src0_sel:BYTE_0 src1_sel:DWORD
	v_ashrrev_i32_e32 v170, s20, v171
	v_lshlrev_b32_e32 v172, 2, v172
	v_or_b32_sdwa v174, v174, v175 dst_sel:DWORD dst_unused:UNUSED_PAD src0_sel:BYTE_0 src1_sel:DWORD
	v_and_b32_e32 v171, 0x3030303, v170
	v_bfe_u32 v170, v170, 24, 2
	v_and_b32_e32 v172, 0x4040404, v172
	v_or_b32_sdwa v169, v174, v169 dst_sel:DWORD dst_unused:UNUSED_PAD src0_sel:WORD_0 src1_sel:DWORD
	v_sub_u16_e32 v173, v171, v172
	v_sub_u16_sdwa v174, v171, v172 dst_sel:BYTE_1 dst_unused:UNUSED_PAD src0_sel:BYTE_1 src1_sel:BYTE_1
	v_sub_u16_sdwa v170, v170, v172 dst_sel:BYTE_1 dst_unused:UNUSED_PAD src0_sel:DWORD src1_sel:BYTE_3
	v_sub_u16_sdwa v171, v171, v172 dst_sel:DWORD dst_unused:UNUSED_PAD src0_sel:WORD_1 src1_sel:WORD_1
	v_or_b32_sdwa v173, v173, v174 dst_sel:DWORD dst_unused:UNUSED_PAD src0_sel:BYTE_0 src1_sel:DWORD
	v_or_b32_sdwa v170, v171, v170 dst_sel:WORD_1 dst_unused:UNUSED_PAD src0_sel:BYTE_0 src1_sel:DWORD
	v_add_u32_e32 v174, 0x4210, v176
	v_or_b32_sdwa v170, v173, v170 dst_sel:DWORD dst_unused:UNUSED_PAD src0_sel:WORD_0 src1_sel:DWORD
	ds_read2_b32 v[172:173], v87 offset0:4 offset1:5
	ds_read2_b32 v[174:175], v174 offset1:1
	ds_read2_b32 v[192:193], v192 offset1:1
	s_waitcnt lgkmcnt(2)
	v_ashrrev_i32_e32 v171, s20, v172
	s_waitcnt lgkmcnt(1)
	v_ashrrev_i32_e32 v174, s18, v174
	v_lshlrev_b32_e32 v174, 2, v174
	v_and_b32_e32 v172, 0x3030303, v171
	v_bfe_u32 v171, v171, 24, 2
	v_and_b32_e32 v174, 0x4040404, v174
	v_sub_u16_e32 v177, v172, v174
	v_sub_u16_sdwa v178, v172, v174 dst_sel:BYTE_1 dst_unused:UNUSED_PAD src0_sel:BYTE_1 src1_sel:BYTE_1
	v_sub_u16_sdwa v171, v171, v174 dst_sel:BYTE_1 dst_unused:UNUSED_PAD src0_sel:DWORD src1_sel:BYTE_3
	v_sub_u16_sdwa v172, v172, v174 dst_sel:DWORD dst_unused:UNUSED_PAD src0_sel:WORD_1 src1_sel:WORD_1
	v_ashrrev_i32_e32 v174, s18, v175
	v_or_b32_sdwa v171, v172, v171 dst_sel:WORD_1 dst_unused:UNUSED_PAD src0_sel:BYTE_0 src1_sel:DWORD
	v_ashrrev_i32_e32 v172, s20, v173
	v_lshlrev_b32_e32 v174, 2, v174
	v_or_b32_sdwa v177, v177, v178 dst_sel:DWORD dst_unused:UNUSED_PAD src0_sel:BYTE_0 src1_sel:DWORD
	v_and_b32_e32 v173, 0x3030303, v172
	v_bfe_u32 v172, v172, 24, 2
	v_and_b32_e32 v174, 0x4040404, v174
	v_or_b32_sdwa v171, v177, v171 dst_sel:DWORD dst_unused:UNUSED_PAD src0_sel:WORD_0 src1_sel:DWORD
	v_sub_u16_e32 v175, v173, v174
	v_sub_u16_sdwa v177, v173, v174 dst_sel:BYTE_1 dst_unused:UNUSED_PAD src0_sel:BYTE_1 src1_sel:BYTE_1
	v_sub_u16_sdwa v172, v172, v174 dst_sel:BYTE_1 dst_unused:UNUSED_PAD src0_sel:DWORD src1_sel:BYTE_3
	v_sub_u16_sdwa v173, v173, v174 dst_sel:DWORD dst_unused:UNUSED_PAD src0_sel:WORD_1 src1_sel:WORD_1
	v_or_b32_sdwa v175, v175, v177 dst_sel:DWORD dst_unused:UNUSED_PAD src0_sel:BYTE_0 src1_sel:DWORD
	v_or_b32_sdwa v172, v173, v172 dst_sel:WORD_1 dst_unused:UNUSED_PAD src0_sel:BYTE_0 src1_sel:DWORD
	v_or_b32_sdwa v173, v175, v172 dst_sel:DWORD dst_unused:UNUSED_PAD src0_sel:WORD_0 src1_sel:DWORD
	ds_read2_b32 v[174:175], v87 offset0:6 offset1:7
	s_waitcnt lgkmcnt(1)
	v_ashrrev_i32_e32 v192, s18, v192
	v_lshlrev_b32_e32 v192, 2, v192
	v_and_b32_e32 v192, 0x4040404, v192
	s_waitcnt lgkmcnt(0)
	v_ashrrev_i32_e32 v87, s20, v174
	v_add_u32_e32 v174, 0x4218, v176
	ds_read2_b32 v[176:177], v174 offset1:1
	v_and_b32_e32 v172, 0x3030303, v87
	v_bfe_u32 v87, v87, 24, 2
	s_waitcnt lgkmcnt(0)
	v_ashrrev_i32_e32 v174, s18, v176
	v_lshlrev_b32_e32 v174, 2, v174
	v_and_b32_e32 v174, 0x4040404, v174
	v_sub_u16_e32 v176, v172, v174
	v_sub_u16_sdwa v178, v172, v174 dst_sel:BYTE_1 dst_unused:UNUSED_PAD src0_sel:BYTE_1 src1_sel:BYTE_1
	v_sub_u16_sdwa v87, v87, v174 dst_sel:BYTE_1 dst_unused:UNUSED_PAD src0_sel:DWORD src1_sel:BYTE_3
	v_sub_u16_sdwa v172, v172, v174 dst_sel:DWORD dst_unused:UNUSED_PAD src0_sel:WORD_1 src1_sel:WORD_1
	v_or_b32_sdwa v176, v176, v178 dst_sel:DWORD dst_unused:UNUSED_PAD src0_sel:BYTE_0 src1_sel:DWORD
	v_or_b32_sdwa v87, v172, v87 dst_sel:WORD_1 dst_unused:UNUSED_PAD src0_sel:BYTE_0 src1_sel:DWORD
	v_or_b32_sdwa v174, v176, v87 dst_sel:DWORD dst_unused:UNUSED_PAD src0_sel:WORD_0 src1_sel:DWORD
	v_ashrrev_i32_e32 v87, s20, v175
	v_ashrrev_i32_e32 v175, s18, v177
	v_lshlrev_b32_e32 v175, 2, v175
	v_and_b32_e32 v172, 0x3030303, v87
	v_bfe_u32 v87, v87, 24, 2
	v_and_b32_e32 v175, 0x4040404, v175
	v_sub_u16_e32 v176, v172, v175
	v_sub_u16_sdwa v177, v172, v175 dst_sel:BYTE_1 dst_unused:UNUSED_PAD src0_sel:BYTE_1 src1_sel:BYTE_1
	v_sub_u16_sdwa v87, v87, v175 dst_sel:BYTE_1 dst_unused:UNUSED_PAD src0_sel:DWORD src1_sel:BYTE_3
	v_sub_u16_sdwa v172, v172, v175 dst_sel:DWORD dst_unused:UNUSED_PAD src0_sel:WORD_1 src1_sel:WORD_1
	v_or_b32_sdwa v176, v176, v177 dst_sel:DWORD dst_unused:UNUSED_PAD src0_sel:BYTE_0 src1_sel:DWORD
	v_or_b32_sdwa v87, v172, v87 dst_sel:WORD_1 dst_unused:UNUSED_PAD src0_sel:BYTE_0 src1_sel:DWORD
	v_or_b32_sdwa v175, v176, v87 dst_sel:DWORD dst_unused:UNUSED_PAD src0_sel:WORD_0 src1_sel:DWORD
	v_add3_u32 v87, v142, s21, v86
	v_add_u32_e32 v172, s24, v128
	ds_read_b32 v172, v172
	ds_read_u16 v87, v87 offset:8194
	v_mov_b32_e32 v176, 0
	v_dot4c_i32_i8_e32 v176, v167, v4
	v_dot4c_i32_i8_e32 v176, v168, v5
	;; [unrolled: 1-line block ×3, first 2 shown]
	s_waitcnt lgkmcnt(0)
	v_lshrrev_b16_e32 v178, 8, v87
	v_bfe_i32 v177, v87, 0, 8
	v_mov_b32_e32 v87, 0
	v_dot4c_i32_i8_e32 v87, v171, v0
	v_dot4c_i32_i8_e32 v87, v173, v1
	;; [unrolled: 1-line block ×5, first 2 shown]
	v_bfe_i32 v179, v178, 0, 8
	v_mul_lo_u32 v176, v176, v177
	s_nop 0
	v_mad_u64_u32 v[180:181], s[26:27], v87, v179, v[176:177]
	v_cvt_f32_i32_e32 v176, v180
	v_mul_f32_e32 v87, v84, v172
	v_fmac_f32_e32 v119, v87, v176
	v_add_u32_e32 v87, s23, v130
	ds_read2_b32 v[180:181], v87 offset1:1
	s_waitcnt lgkmcnt(0)
	v_ashrrev_i32_e32 v176, s20, v180
	v_add_u32_e32 v180, 0x4200, v188
	ds_read2_b32 v[182:183], v180 offset1:1
	v_and_b32_e32 v178, 0x3030303, v176
	v_bfe_u32 v176, v176, 24, 2
	s_waitcnt lgkmcnt(0)
	v_ashrrev_i32_e32 v180, s18, v182
	v_lshlrev_b32_e32 v180, 2, v180
	v_and_b32_e32 v180, 0x4040404, v180
	v_sub_u16_e32 v182, v178, v180
	v_sub_u16_sdwa v184, v178, v180 dst_sel:BYTE_1 dst_unused:UNUSED_PAD src0_sel:BYTE_1 src1_sel:BYTE_1
	v_sub_u16_sdwa v176, v176, v180 dst_sel:BYTE_1 dst_unused:UNUSED_PAD src0_sel:DWORD src1_sel:BYTE_3
	v_sub_u16_sdwa v178, v178, v180 dst_sel:DWORD dst_unused:UNUSED_PAD src0_sel:WORD_1 src1_sel:WORD_1
	v_or_b32_sdwa v176, v178, v176 dst_sel:WORD_1 dst_unused:UNUSED_PAD src0_sel:BYTE_0 src1_sel:DWORD
	v_ashrrev_i32_e32 v178, s20, v181
	v_ashrrev_i32_e32 v181, s18, v183
	v_lshlrev_b32_e32 v181, 2, v181
	v_or_b32_sdwa v182, v182, v184 dst_sel:DWORD dst_unused:UNUSED_PAD src0_sel:BYTE_0 src1_sel:DWORD
	v_and_b32_e32 v180, 0x3030303, v178
	v_bfe_u32 v178, v178, 24, 2
	v_and_b32_e32 v181, 0x4040404, v181
	v_or_b32_sdwa v176, v182, v176 dst_sel:DWORD dst_unused:UNUSED_PAD src0_sel:WORD_0 src1_sel:DWORD
	v_sub_u16_e32 v182, v180, v181
	v_sub_u16_sdwa v183, v180, v181 dst_sel:BYTE_1 dst_unused:UNUSED_PAD src0_sel:BYTE_1 src1_sel:BYTE_1
	v_sub_u16_sdwa v178, v178, v181 dst_sel:BYTE_1 dst_unused:UNUSED_PAD src0_sel:DWORD src1_sel:BYTE_3
	v_sub_u16_sdwa v180, v180, v181 dst_sel:DWORD dst_unused:UNUSED_PAD src0_sel:WORD_1 src1_sel:WORD_1
	v_or_b32_sdwa v182, v182, v183 dst_sel:DWORD dst_unused:UNUSED_PAD src0_sel:BYTE_0 src1_sel:DWORD
	v_or_b32_sdwa v178, v180, v178 dst_sel:WORD_1 dst_unused:UNUSED_PAD src0_sel:BYTE_0 src1_sel:DWORD
	v_or_b32_sdwa v178, v182, v178 dst_sel:DWORD dst_unused:UNUSED_PAD src0_sel:WORD_0 src1_sel:DWORD
	v_add_u32_e32 v182, 0x4208, v188
	ds_read2_b32 v[180:181], v87 offset0:2 offset1:3
	ds_read2_b32 v[182:183], v182 offset1:1
	s_waitcnt lgkmcnt(1)
	v_ashrrev_i32_e32 v180, s20, v180
	s_waitcnt lgkmcnt(0)
	v_ashrrev_i32_e32 v182, s18, v182
	v_lshlrev_b32_e32 v182, 2, v182
	v_and_b32_e32 v184, 0x3030303, v180
	v_bfe_u32 v180, v180, 24, 2
	v_and_b32_e32 v182, 0x4040404, v182
	v_ashrrev_i32_e32 v183, s18, v183
	v_sub_u16_e32 v185, v184, v182
	v_sub_u16_sdwa v186, v184, v182 dst_sel:BYTE_1 dst_unused:UNUSED_PAD src0_sel:BYTE_1 src1_sel:BYTE_1
	v_sub_u16_sdwa v180, v180, v182 dst_sel:BYTE_1 dst_unused:UNUSED_PAD src0_sel:DWORD src1_sel:BYTE_3
	v_sub_u16_sdwa v182, v184, v182 dst_sel:DWORD dst_unused:UNUSED_PAD src0_sel:WORD_1 src1_sel:WORD_1
	v_ashrrev_i32_e32 v181, s20, v181
	v_lshlrev_b32_e32 v183, 2, v183
	v_or_b32_sdwa v185, v185, v186 dst_sel:DWORD dst_unused:UNUSED_PAD src0_sel:BYTE_0 src1_sel:DWORD
	v_or_b32_sdwa v180, v182, v180 dst_sel:WORD_1 dst_unused:UNUSED_PAD src0_sel:BYTE_0 src1_sel:DWORD
	v_and_b32_e32 v182, 0x3030303, v181
	v_bfe_u32 v181, v181, 24, 2
	v_and_b32_e32 v183, 0x4040404, v183
	v_or_b32_sdwa v180, v185, v180 dst_sel:DWORD dst_unused:UNUSED_PAD src0_sel:WORD_0 src1_sel:DWORD
	v_sub_u16_e32 v184, v182, v183
	v_sub_u16_sdwa v185, v182, v183 dst_sel:BYTE_1 dst_unused:UNUSED_PAD src0_sel:BYTE_1 src1_sel:BYTE_1
	v_sub_u16_sdwa v181, v181, v183 dst_sel:BYTE_1 dst_unused:UNUSED_PAD src0_sel:DWORD src1_sel:BYTE_3
	v_sub_u16_sdwa v182, v182, v183 dst_sel:DWORD dst_unused:UNUSED_PAD src0_sel:WORD_1 src1_sel:WORD_1
	v_or_b32_sdwa v184, v184, v185 dst_sel:DWORD dst_unused:UNUSED_PAD src0_sel:BYTE_0 src1_sel:DWORD
	v_or_b32_sdwa v181, v182, v181 dst_sel:WORD_1 dst_unused:UNUSED_PAD src0_sel:BYTE_0 src1_sel:DWORD
	v_or_b32_sdwa v181, v184, v181 dst_sel:DWORD dst_unused:UNUSED_PAD src0_sel:WORD_0 src1_sel:DWORD
	v_add_u32_e32 v184, 0x4210, v188
	ds_read2_b32 v[182:183], v87 offset0:4 offset1:5
	ds_read2_b32 v[184:185], v184 offset1:1
	s_waitcnt lgkmcnt(1)
	v_ashrrev_i32_e32 v182, s20, v182
	s_waitcnt lgkmcnt(0)
	v_ashrrev_i32_e32 v184, s18, v184
	v_lshlrev_b32_e32 v184, 2, v184
	v_and_b32_e32 v186, 0x3030303, v182
	v_bfe_u32 v182, v182, 24, 2
	v_and_b32_e32 v184, 0x4040404, v184
	v_ashrrev_i32_e32 v185, s18, v185
	v_sub_u16_e32 v187, v186, v184
	v_sub_u16_sdwa v189, v186, v184 dst_sel:BYTE_1 dst_unused:UNUSED_PAD src0_sel:BYTE_1 src1_sel:BYTE_1
	v_sub_u16_sdwa v182, v182, v184 dst_sel:BYTE_1 dst_unused:UNUSED_PAD src0_sel:DWORD src1_sel:BYTE_3
	v_sub_u16_sdwa v184, v186, v184 dst_sel:DWORD dst_unused:UNUSED_PAD src0_sel:WORD_1 src1_sel:WORD_1
	v_ashrrev_i32_e32 v183, s20, v183
	v_lshlrev_b32_e32 v185, 2, v185
	v_or_b32_sdwa v187, v187, v189 dst_sel:DWORD dst_unused:UNUSED_PAD src0_sel:BYTE_0 src1_sel:DWORD
	v_or_b32_sdwa v182, v184, v182 dst_sel:WORD_1 dst_unused:UNUSED_PAD src0_sel:BYTE_0 src1_sel:DWORD
	v_and_b32_e32 v184, 0x3030303, v183
	v_bfe_u32 v183, v183, 24, 2
	v_and_b32_e32 v185, 0x4040404, v185
	v_or_b32_sdwa v182, v187, v182 dst_sel:DWORD dst_unused:UNUSED_PAD src0_sel:WORD_0 src1_sel:DWORD
	v_sub_u16_e32 v186, v184, v185
	v_sub_u16_sdwa v187, v184, v185 dst_sel:BYTE_1 dst_unused:UNUSED_PAD src0_sel:BYTE_1 src1_sel:BYTE_1
	v_sub_u16_sdwa v183, v183, v185 dst_sel:BYTE_1 dst_unused:UNUSED_PAD src0_sel:DWORD src1_sel:BYTE_3
	v_sub_u16_sdwa v184, v184, v185 dst_sel:DWORD dst_unused:UNUSED_PAD src0_sel:WORD_1 src1_sel:WORD_1
	v_or_b32_sdwa v186, v186, v187 dst_sel:DWORD dst_unused:UNUSED_PAD src0_sel:BYTE_0 src1_sel:DWORD
	v_or_b32_sdwa v183, v184, v183 dst_sel:WORD_1 dst_unused:UNUSED_PAD src0_sel:BYTE_0 src1_sel:DWORD
	v_add_u32_e32 v185, 0x4218, v188
	v_or_b32_sdwa v184, v186, v183 dst_sel:DWORD dst_unused:UNUSED_PAD src0_sel:WORD_0 src1_sel:DWORD
	ds_read2_b32 v[186:187], v87 offset0:6 offset1:7
	ds_read2_b32 v[188:189], v185 offset1:1
	s_waitcnt lgkmcnt(1)
	v_ashrrev_i32_e32 v87, s20, v186
	s_waitcnt lgkmcnt(0)
	v_ashrrev_i32_e32 v185, s18, v188
	v_lshlrev_b32_e32 v185, 2, v185
	v_and_b32_e32 v183, 0x3030303, v87
	v_bfe_u32 v87, v87, 24, 2
	v_and_b32_e32 v185, 0x4040404, v185
	v_sub_u16_e32 v186, v183, v185
	v_sub_u16_sdwa v188, v183, v185 dst_sel:BYTE_1 dst_unused:UNUSED_PAD src0_sel:BYTE_1 src1_sel:BYTE_1
	v_sub_u16_sdwa v87, v87, v185 dst_sel:BYTE_1 dst_unused:UNUSED_PAD src0_sel:DWORD src1_sel:BYTE_3
	v_sub_u16_sdwa v183, v183, v185 dst_sel:DWORD dst_unused:UNUSED_PAD src0_sel:WORD_1 src1_sel:WORD_1
	v_or_b32_sdwa v186, v186, v188 dst_sel:DWORD dst_unused:UNUSED_PAD src0_sel:BYTE_0 src1_sel:DWORD
	v_or_b32_sdwa v87, v183, v87 dst_sel:WORD_1 dst_unused:UNUSED_PAD src0_sel:BYTE_0 src1_sel:DWORD
	v_or_b32_sdwa v185, v186, v87 dst_sel:DWORD dst_unused:UNUSED_PAD src0_sel:WORD_0 src1_sel:DWORD
	v_ashrrev_i32_e32 v186, s18, v189
	v_ashrrev_i32_e32 v87, s20, v187
	v_lshlrev_b32_e32 v186, 2, v186
	v_and_b32_e32 v183, 0x3030303, v87
	v_bfe_u32 v87, v87, 24, 2
	v_and_b32_e32 v186, 0x4040404, v186
	v_sub_u16_e32 v187, v183, v186
	v_sub_u16_sdwa v188, v183, v186 dst_sel:BYTE_1 dst_unused:UNUSED_PAD src0_sel:BYTE_1 src1_sel:BYTE_1
	v_sub_u16_sdwa v87, v87, v186 dst_sel:BYTE_1 dst_unused:UNUSED_PAD src0_sel:DWORD src1_sel:BYTE_3
	v_sub_u16_sdwa v183, v183, v186 dst_sel:DWORD dst_unused:UNUSED_PAD src0_sel:WORD_1 src1_sel:WORD_1
	v_or_b32_sdwa v187, v187, v188 dst_sel:DWORD dst_unused:UNUSED_PAD src0_sel:BYTE_0 src1_sel:DWORD
	v_or_b32_sdwa v87, v183, v87 dst_sel:WORD_1 dst_unused:UNUSED_PAD src0_sel:BYTE_0 src1_sel:DWORD
	v_or_b32_sdwa v186, v187, v87 dst_sel:DWORD dst_unused:UNUSED_PAD src0_sel:WORD_0 src1_sel:DWORD
	v_add3_u32 v87, v144, s21, v86
	v_add_u32_e32 v183, s24, v131
	ds_read_b32 v183, v183
	ds_read_u16 v87, v87 offset:9218
	v_mov_b32_e32 v188, 0
	v_dot4c_i32_i8_e32 v188, v176, v4
	v_dot4c_i32_i8_e32 v188, v178, v5
	;; [unrolled: 1-line block ×3, first 2 shown]
	s_waitcnt lgkmcnt(0)
	v_lshrrev_b16_e32 v189, 8, v87
	v_bfe_i32 v187, v87, 0, 8
	v_mov_b32_e32 v87, 0
	v_dot4c_i32_i8_e32 v87, v182, v0
	v_dot4c_i32_i8_e32 v87, v184, v1
	;; [unrolled: 1-line block ×5, first 2 shown]
	v_bfe_i32 v190, v189, 0, 8
	v_mul_lo_u32 v188, v188, v187
	s_nop 0
	v_mad_u64_u32 v[188:189], s[26:27], v87, v190, v[188:189]
	v_cvt_f32_i32_e32 v188, v188
	v_mul_f32_e32 v87, v84, v183
	v_fmac_f32_e32 v109, v87, v188
	v_add_u32_e32 v87, s23, v133
	ds_read2_b32 v[188:189], v87 offset1:1
	s_waitcnt lgkmcnt(0)
	v_ashrrev_i32_e32 v188, s20, v188
	v_and_b32_e32 v191, 0x3030303, v188
	v_bfe_u32 v188, v188, 24, 2
	v_sub_u16_e32 v194, v191, v192
	v_sub_u16_sdwa v195, v191, v192 dst_sel:BYTE_1 dst_unused:UNUSED_PAD src0_sel:BYTE_1 src1_sel:BYTE_1
	v_sub_u16_sdwa v188, v188, v192 dst_sel:BYTE_1 dst_unused:UNUSED_PAD src0_sel:DWORD src1_sel:BYTE_3
	v_sub_u16_sdwa v191, v191, v192 dst_sel:DWORD dst_unused:UNUSED_PAD src0_sel:WORD_1 src1_sel:WORD_1
	v_ashrrev_i32_e32 v192, s18, v193
	v_ashrrev_i32_e32 v189, s20, v189
	v_lshlrev_b32_e32 v192, 2, v192
	v_or_b32_sdwa v194, v194, v195 dst_sel:DWORD dst_unused:UNUSED_PAD src0_sel:BYTE_0 src1_sel:DWORD
	v_or_b32_sdwa v188, v191, v188 dst_sel:WORD_1 dst_unused:UNUSED_PAD src0_sel:BYTE_0 src1_sel:DWORD
	v_and_b32_e32 v191, 0x3030303, v189
	v_bfe_u32 v189, v189, 24, 2
	v_and_b32_e32 v192, 0x4040404, v192
	v_or_b32_sdwa v188, v194, v188 dst_sel:DWORD dst_unused:UNUSED_PAD src0_sel:WORD_0 src1_sel:DWORD
	v_sub_u16_e32 v193, v191, v192
	v_sub_u16_sdwa v194, v191, v192 dst_sel:BYTE_1 dst_unused:UNUSED_PAD src0_sel:BYTE_1 src1_sel:BYTE_1
	v_sub_u16_sdwa v189, v189, v192 dst_sel:BYTE_1 dst_unused:UNUSED_PAD src0_sel:DWORD src1_sel:BYTE_3
	v_sub_u16_sdwa v191, v191, v192 dst_sel:DWORD dst_unused:UNUSED_PAD src0_sel:WORD_1 src1_sel:WORD_1
	v_or_b32_sdwa v193, v193, v194 dst_sel:DWORD dst_unused:UNUSED_PAD src0_sel:BYTE_0 src1_sel:DWORD
	v_or_b32_sdwa v189, v191, v189 dst_sel:WORD_1 dst_unused:UNUSED_PAD src0_sel:BYTE_0 src1_sel:DWORD
	v_add_u32_e32 v194, 0x4208, v198
	v_or_b32_sdwa v189, v193, v189 dst_sel:DWORD dst_unused:UNUSED_PAD src0_sel:WORD_0 src1_sel:DWORD
	ds_read2_b32 v[192:193], v87 offset0:2 offset1:3
	ds_read2_b32 v[194:195], v194 offset1:1
	s_waitcnt lgkmcnt(1)
	v_ashrrev_i32_e32 v191, s20, v192
	s_waitcnt lgkmcnt(0)
	v_ashrrev_i32_e32 v194, s18, v194
	v_lshlrev_b32_e32 v194, 2, v194
	v_and_b32_e32 v192, 0x3030303, v191
	v_bfe_u32 v191, v191, 24, 2
	v_and_b32_e32 v194, 0x4040404, v194
	v_sub_u16_e32 v196, v192, v194
	v_sub_u16_sdwa v197, v192, v194 dst_sel:BYTE_1 dst_unused:UNUSED_PAD src0_sel:BYTE_1 src1_sel:BYTE_1
	v_sub_u16_sdwa v191, v191, v194 dst_sel:BYTE_1 dst_unused:UNUSED_PAD src0_sel:DWORD src1_sel:BYTE_3
	v_sub_u16_sdwa v192, v192, v194 dst_sel:DWORD dst_unused:UNUSED_PAD src0_sel:WORD_1 src1_sel:WORD_1
	v_ashrrev_i32_e32 v194, s18, v195
	v_or_b32_sdwa v191, v192, v191 dst_sel:WORD_1 dst_unused:UNUSED_PAD src0_sel:BYTE_0 src1_sel:DWORD
	v_ashrrev_i32_e32 v192, s20, v193
	v_lshlrev_b32_e32 v194, 2, v194
	v_or_b32_sdwa v196, v196, v197 dst_sel:DWORD dst_unused:UNUSED_PAD src0_sel:BYTE_0 src1_sel:DWORD
	v_and_b32_e32 v193, 0x3030303, v192
	v_bfe_u32 v192, v192, 24, 2
	v_and_b32_e32 v194, 0x4040404, v194
	v_or_b32_sdwa v191, v196, v191 dst_sel:DWORD dst_unused:UNUSED_PAD src0_sel:WORD_0 src1_sel:DWORD
	v_sub_u16_e32 v195, v193, v194
	v_sub_u16_sdwa v196, v193, v194 dst_sel:BYTE_1 dst_unused:UNUSED_PAD src0_sel:BYTE_1 src1_sel:BYTE_1
	v_sub_u16_sdwa v192, v192, v194 dst_sel:BYTE_1 dst_unused:UNUSED_PAD src0_sel:DWORD src1_sel:BYTE_3
	v_sub_u16_sdwa v193, v193, v194 dst_sel:DWORD dst_unused:UNUSED_PAD src0_sel:WORD_1 src1_sel:WORD_1
	v_or_b32_sdwa v195, v195, v196 dst_sel:DWORD dst_unused:UNUSED_PAD src0_sel:BYTE_0 src1_sel:DWORD
	v_or_b32_sdwa v192, v193, v192 dst_sel:WORD_1 dst_unused:UNUSED_PAD src0_sel:BYTE_0 src1_sel:DWORD
	v_add_u32_e32 v196, 0x4210, v198
	v_or_b32_sdwa v192, v195, v192 dst_sel:DWORD dst_unused:UNUSED_PAD src0_sel:WORD_0 src1_sel:DWORD
	ds_read2_b32 v[194:195], v87 offset0:4 offset1:5
	ds_read2_b32 v[196:197], v196 offset1:1
	s_waitcnt lgkmcnt(1)
	v_ashrrev_i32_e32 v193, s20, v194
	s_waitcnt lgkmcnt(0)
	v_ashrrev_i32_e32 v196, s18, v196
	v_lshlrev_b32_e32 v196, 2, v196
	v_and_b32_e32 v194, 0x3030303, v193
	v_bfe_u32 v193, v193, 24, 2
	v_and_b32_e32 v196, 0x4040404, v196
	v_sub_u16_e32 v199, v194, v196
	v_sub_u16_sdwa v200, v194, v196 dst_sel:BYTE_1 dst_unused:UNUSED_PAD src0_sel:BYTE_1 src1_sel:BYTE_1
	v_sub_u16_sdwa v193, v193, v196 dst_sel:BYTE_1 dst_unused:UNUSED_PAD src0_sel:DWORD src1_sel:BYTE_3
	v_sub_u16_sdwa v194, v194, v196 dst_sel:DWORD dst_unused:UNUSED_PAD src0_sel:WORD_1 src1_sel:WORD_1
	v_ashrrev_i32_e32 v196, s18, v197
	v_or_b32_sdwa v193, v194, v193 dst_sel:WORD_1 dst_unused:UNUSED_PAD src0_sel:BYTE_0 src1_sel:DWORD
	v_ashrrev_i32_e32 v194, s20, v195
	v_lshlrev_b32_e32 v196, 2, v196
	v_or_b32_sdwa v199, v199, v200 dst_sel:DWORD dst_unused:UNUSED_PAD src0_sel:BYTE_0 src1_sel:DWORD
	v_and_b32_e32 v195, 0x3030303, v194
	v_bfe_u32 v194, v194, 24, 2
	v_and_b32_e32 v196, 0x4040404, v196
	v_or_b32_sdwa v193, v199, v193 dst_sel:DWORD dst_unused:UNUSED_PAD src0_sel:WORD_0 src1_sel:DWORD
	v_sub_u16_e32 v197, v195, v196
	v_sub_u16_sdwa v199, v195, v196 dst_sel:BYTE_1 dst_unused:UNUSED_PAD src0_sel:BYTE_1 src1_sel:BYTE_1
	v_sub_u16_sdwa v194, v194, v196 dst_sel:BYTE_1 dst_unused:UNUSED_PAD src0_sel:DWORD src1_sel:BYTE_3
	v_sub_u16_sdwa v195, v195, v196 dst_sel:DWORD dst_unused:UNUSED_PAD src0_sel:WORD_1 src1_sel:WORD_1
	v_or_b32_sdwa v197, v197, v199 dst_sel:DWORD dst_unused:UNUSED_PAD src0_sel:BYTE_0 src1_sel:DWORD
	v_or_b32_sdwa v194, v195, v194 dst_sel:WORD_1 dst_unused:UNUSED_PAD src0_sel:BYTE_0 src1_sel:DWORD
	v_or_b32_sdwa v195, v197, v194 dst_sel:DWORD dst_unused:UNUSED_PAD src0_sel:WORD_0 src1_sel:DWORD
	ds_read2_b32 v[196:197], v87 offset0:6 offset1:7
	s_waitcnt lgkmcnt(0)
	v_ashrrev_i32_e32 v87, s20, v196
	v_add_u32_e32 v196, 0x4218, v198
	ds_read2_b32 v[198:199], v196 offset1:1
	v_and_b32_e32 v194, 0x3030303, v87
	v_bfe_u32 v87, v87, 24, 2
	s_waitcnt lgkmcnt(0)
	v_ashrrev_i32_e32 v196, s18, v198
	v_lshlrev_b32_e32 v196, 2, v196
	v_and_b32_e32 v196, 0x4040404, v196
	v_sub_u16_e32 v198, v194, v196
	v_sub_u16_sdwa v200, v194, v196 dst_sel:BYTE_1 dst_unused:UNUSED_PAD src0_sel:BYTE_1 src1_sel:BYTE_1
	v_sub_u16_sdwa v87, v87, v196 dst_sel:BYTE_1 dst_unused:UNUSED_PAD src0_sel:DWORD src1_sel:BYTE_3
	v_sub_u16_sdwa v194, v194, v196 dst_sel:DWORD dst_unused:UNUSED_PAD src0_sel:WORD_1 src1_sel:WORD_1
	v_or_b32_sdwa v198, v198, v200 dst_sel:DWORD dst_unused:UNUSED_PAD src0_sel:BYTE_0 src1_sel:DWORD
	v_or_b32_sdwa v87, v194, v87 dst_sel:WORD_1 dst_unused:UNUSED_PAD src0_sel:BYTE_0 src1_sel:DWORD
	v_or_b32_sdwa v196, v198, v87 dst_sel:DWORD dst_unused:UNUSED_PAD src0_sel:WORD_0 src1_sel:DWORD
	v_ashrrev_i32_e32 v87, s20, v197
	v_ashrrev_i32_e32 v197, s18, v199
	v_lshlrev_b32_e32 v197, 2, v197
	v_and_b32_e32 v194, 0x3030303, v87
	v_bfe_u32 v87, v87, 24, 2
	v_and_b32_e32 v197, 0x4040404, v197
	v_sub_u16_e32 v198, v194, v197
	v_sub_u16_sdwa v199, v194, v197 dst_sel:BYTE_1 dst_unused:UNUSED_PAD src0_sel:BYTE_1 src1_sel:BYTE_1
	v_sub_u16_sdwa v87, v87, v197 dst_sel:BYTE_1 dst_unused:UNUSED_PAD src0_sel:DWORD src1_sel:BYTE_3
	v_sub_u16_sdwa v194, v194, v197 dst_sel:DWORD dst_unused:UNUSED_PAD src0_sel:WORD_1 src1_sel:WORD_1
	v_or_b32_sdwa v198, v198, v199 dst_sel:DWORD dst_unused:UNUSED_PAD src0_sel:BYTE_0 src1_sel:DWORD
	v_or_b32_sdwa v87, v194, v87 dst_sel:WORD_1 dst_unused:UNUSED_PAD src0_sel:BYTE_0 src1_sel:DWORD
	v_or_b32_sdwa v197, v198, v87 dst_sel:DWORD dst_unused:UNUSED_PAD src0_sel:WORD_0 src1_sel:DWORD
	v_add3_u32 v87, v146, s21, v86
	v_add_u32_e32 v194, s24, v134
	ds_read_b32 v194, v194
	ds_read_u16 v87, v87 offset:10242
	v_mov_b32_e32 v199, 0
	v_dot4c_i32_i8_e32 v199, v188, v4
	v_dot4c_i32_i8_e32 v199, v189, v5
	;; [unrolled: 1-line block ×3, first 2 shown]
	s_waitcnt lgkmcnt(0)
	v_lshrrev_b16_e32 v201, 8, v87
	v_bfe_i32 v198, v87, 0, 8
	v_mov_b32_e32 v87, 0
	v_dot4c_i32_i8_e32 v87, v193, v0
	v_dot4c_i32_i8_e32 v87, v195, v1
	;; [unrolled: 1-line block ×5, first 2 shown]
	v_bfe_i32 v201, v201, 0, 8
	v_mul_lo_u32 v200, v199, v198
	v_add3_u32 v86, v148, s21, v86
	v_mad_u64_u32 v[202:203], s[26:27], v87, v201, v[200:201]
	v_cvt_f32_i32_e32 v199, v202
	v_mul_f32_e32 v87, v84, v194
	s_mov_b32 s21, s20
	v_fmac_f32_e32 v104, v87, v199
	v_add_u32_e32 v87, s23, v136
	ds_read2_b32 v[202:203], v87 offset1:1
	s_waitcnt lgkmcnt(0)
	v_ashrrev_i32_e32 v199, s20, v202
	v_add_u32_e32 v202, 0x4200, v210
	ds_read2_b32 v[204:205], v202 offset1:1
	v_and_b32_e32 v200, 0x3030303, v199
	v_bfe_u32 v199, v199, 24, 2
	s_waitcnt lgkmcnt(0)
	v_ashrrev_i32_e32 v202, s18, v204
	v_lshlrev_b32_e32 v202, 2, v202
	v_and_b32_e32 v202, 0x4040404, v202
	v_sub_u16_e32 v204, v200, v202
	v_sub_u16_sdwa v206, v200, v202 dst_sel:BYTE_1 dst_unused:UNUSED_PAD src0_sel:BYTE_1 src1_sel:BYTE_1
	v_sub_u16_sdwa v199, v199, v202 dst_sel:BYTE_1 dst_unused:UNUSED_PAD src0_sel:DWORD src1_sel:BYTE_3
	v_sub_u16_sdwa v200, v200, v202 dst_sel:DWORD dst_unused:UNUSED_PAD src0_sel:WORD_1 src1_sel:WORD_1
	v_or_b32_sdwa v199, v200, v199 dst_sel:WORD_1 dst_unused:UNUSED_PAD src0_sel:BYTE_0 src1_sel:DWORD
	v_ashrrev_i32_e32 v200, s20, v203
	v_ashrrev_i32_e32 v203, s18, v205
	v_lshlrev_b32_e32 v203, 2, v203
	v_or_b32_sdwa v204, v204, v206 dst_sel:DWORD dst_unused:UNUSED_PAD src0_sel:BYTE_0 src1_sel:DWORD
	v_and_b32_e32 v202, 0x3030303, v200
	v_bfe_u32 v200, v200, 24, 2
	v_and_b32_e32 v203, 0x4040404, v203
	v_or_b32_sdwa v199, v204, v199 dst_sel:DWORD dst_unused:UNUSED_PAD src0_sel:WORD_0 src1_sel:DWORD
	v_sub_u16_e32 v204, v202, v203
	v_sub_u16_sdwa v205, v202, v203 dst_sel:BYTE_1 dst_unused:UNUSED_PAD src0_sel:BYTE_1 src1_sel:BYTE_1
	v_sub_u16_sdwa v200, v200, v203 dst_sel:BYTE_1 dst_unused:UNUSED_PAD src0_sel:DWORD src1_sel:BYTE_3
	v_sub_u16_sdwa v202, v202, v203 dst_sel:DWORD dst_unused:UNUSED_PAD src0_sel:WORD_1 src1_sel:WORD_1
	v_or_b32_sdwa v204, v204, v205 dst_sel:DWORD dst_unused:UNUSED_PAD src0_sel:BYTE_0 src1_sel:DWORD
	v_or_b32_sdwa v200, v202, v200 dst_sel:WORD_1 dst_unused:UNUSED_PAD src0_sel:BYTE_0 src1_sel:DWORD
	v_or_b32_sdwa v200, v204, v200 dst_sel:DWORD dst_unused:UNUSED_PAD src0_sel:WORD_0 src1_sel:DWORD
	v_add_u32_e32 v204, 0x4208, v210
	ds_read2_b32 v[202:203], v87 offset0:2 offset1:3
	ds_read2_b32 v[204:205], v204 offset1:1
	s_waitcnt lgkmcnt(1)
	v_ashrrev_i32_e32 v202, s20, v202
	s_waitcnt lgkmcnt(0)
	v_ashrrev_i32_e32 v204, s18, v204
	v_lshlrev_b32_e32 v204, 2, v204
	v_and_b32_e32 v206, 0x3030303, v202
	v_bfe_u32 v202, v202, 24, 2
	v_and_b32_e32 v204, 0x4040404, v204
	v_ashrrev_i32_e32 v205, s18, v205
	v_sub_u16_e32 v207, v206, v204
	v_sub_u16_sdwa v208, v206, v204 dst_sel:BYTE_1 dst_unused:UNUSED_PAD src0_sel:BYTE_1 src1_sel:BYTE_1
	v_sub_u16_sdwa v202, v202, v204 dst_sel:BYTE_1 dst_unused:UNUSED_PAD src0_sel:DWORD src1_sel:BYTE_3
	v_sub_u16_sdwa v204, v206, v204 dst_sel:DWORD dst_unused:UNUSED_PAD src0_sel:WORD_1 src1_sel:WORD_1
	v_ashrrev_i32_e32 v203, s20, v203
	v_lshlrev_b32_e32 v205, 2, v205
	v_or_b32_sdwa v207, v207, v208 dst_sel:DWORD dst_unused:UNUSED_PAD src0_sel:BYTE_0 src1_sel:DWORD
	v_or_b32_sdwa v202, v204, v202 dst_sel:WORD_1 dst_unused:UNUSED_PAD src0_sel:BYTE_0 src1_sel:DWORD
	v_and_b32_e32 v204, 0x3030303, v203
	v_bfe_u32 v203, v203, 24, 2
	v_and_b32_e32 v205, 0x4040404, v205
	v_or_b32_sdwa v202, v207, v202 dst_sel:DWORD dst_unused:UNUSED_PAD src0_sel:WORD_0 src1_sel:DWORD
	v_sub_u16_e32 v206, v204, v205
	v_sub_u16_sdwa v207, v204, v205 dst_sel:BYTE_1 dst_unused:UNUSED_PAD src0_sel:BYTE_1 src1_sel:BYTE_1
	v_sub_u16_sdwa v203, v203, v205 dst_sel:BYTE_1 dst_unused:UNUSED_PAD src0_sel:DWORD src1_sel:BYTE_3
	v_sub_u16_sdwa v204, v204, v205 dst_sel:DWORD dst_unused:UNUSED_PAD src0_sel:WORD_1 src1_sel:WORD_1
	v_or_b32_sdwa v206, v206, v207 dst_sel:DWORD dst_unused:UNUSED_PAD src0_sel:BYTE_0 src1_sel:DWORD
	v_or_b32_sdwa v203, v204, v203 dst_sel:WORD_1 dst_unused:UNUSED_PAD src0_sel:BYTE_0 src1_sel:DWORD
	v_or_b32_sdwa v203, v206, v203 dst_sel:DWORD dst_unused:UNUSED_PAD src0_sel:WORD_0 src1_sel:DWORD
	v_add_u32_e32 v206, 0x4210, v210
	ds_read2_b32 v[204:205], v87 offset0:4 offset1:5
	ds_read2_b32 v[206:207], v206 offset1:1
	s_waitcnt lgkmcnt(1)
	v_ashrrev_i32_e32 v204, s20, v204
	s_waitcnt lgkmcnt(0)
	v_ashrrev_i32_e32 v206, s18, v206
	v_lshlrev_b32_e32 v206, 2, v206
	v_and_b32_e32 v208, 0x3030303, v204
	v_bfe_u32 v204, v204, 24, 2
	v_and_b32_e32 v206, 0x4040404, v206
	v_ashrrev_i32_e32 v207, s18, v207
	v_sub_u16_e32 v209, v208, v206
	v_sub_u16_sdwa v211, v208, v206 dst_sel:BYTE_1 dst_unused:UNUSED_PAD src0_sel:BYTE_1 src1_sel:BYTE_1
	v_sub_u16_sdwa v204, v204, v206 dst_sel:BYTE_1 dst_unused:UNUSED_PAD src0_sel:DWORD src1_sel:BYTE_3
	v_sub_u16_sdwa v206, v208, v206 dst_sel:DWORD dst_unused:UNUSED_PAD src0_sel:WORD_1 src1_sel:WORD_1
	v_ashrrev_i32_e32 v205, s20, v205
	v_lshlrev_b32_e32 v207, 2, v207
	v_or_b32_sdwa v209, v209, v211 dst_sel:DWORD dst_unused:UNUSED_PAD src0_sel:BYTE_0 src1_sel:DWORD
	v_or_b32_sdwa v204, v206, v204 dst_sel:WORD_1 dst_unused:UNUSED_PAD src0_sel:BYTE_0 src1_sel:DWORD
	v_and_b32_e32 v206, 0x3030303, v205
	v_bfe_u32 v205, v205, 24, 2
	v_and_b32_e32 v207, 0x4040404, v207
	v_or_b32_sdwa v204, v209, v204 dst_sel:DWORD dst_unused:UNUSED_PAD src0_sel:WORD_0 src1_sel:DWORD
	v_sub_u16_e32 v208, v206, v207
	v_sub_u16_sdwa v209, v206, v207 dst_sel:BYTE_1 dst_unused:UNUSED_PAD src0_sel:BYTE_1 src1_sel:BYTE_1
	v_sub_u16_sdwa v205, v205, v207 dst_sel:BYTE_1 dst_unused:UNUSED_PAD src0_sel:DWORD src1_sel:BYTE_3
	v_sub_u16_sdwa v206, v206, v207 dst_sel:DWORD dst_unused:UNUSED_PAD src0_sel:WORD_1 src1_sel:WORD_1
	v_or_b32_sdwa v208, v208, v209 dst_sel:DWORD dst_unused:UNUSED_PAD src0_sel:BYTE_0 src1_sel:DWORD
	v_or_b32_sdwa v205, v206, v205 dst_sel:WORD_1 dst_unused:UNUSED_PAD src0_sel:BYTE_0 src1_sel:DWORD
	v_add_u32_e32 v207, 0x4218, v210
	v_or_b32_sdwa v206, v208, v205 dst_sel:DWORD dst_unused:UNUSED_PAD src0_sel:WORD_0 src1_sel:DWORD
	ds_read2_b32 v[208:209], v87 offset0:6 offset1:7
	ds_read2_b32 v[210:211], v207 offset1:1
	s_waitcnt lgkmcnt(1)
	v_ashrrev_i32_e32 v87, s20, v208
	s_waitcnt lgkmcnt(0)
	v_ashrrev_i32_e32 v207, s18, v210
	v_lshlrev_b32_e32 v207, 2, v207
	v_and_b32_e32 v205, 0x3030303, v87
	v_bfe_u32 v87, v87, 24, 2
	v_and_b32_e32 v207, 0x4040404, v207
	v_sub_u16_e32 v208, v205, v207
	v_sub_u16_sdwa v210, v205, v207 dst_sel:BYTE_1 dst_unused:UNUSED_PAD src0_sel:BYTE_1 src1_sel:BYTE_1
	v_sub_u16_sdwa v87, v87, v207 dst_sel:BYTE_1 dst_unused:UNUSED_PAD src0_sel:DWORD src1_sel:BYTE_3
	v_sub_u16_sdwa v205, v205, v207 dst_sel:DWORD dst_unused:UNUSED_PAD src0_sel:WORD_1 src1_sel:WORD_1
	v_or_b32_sdwa v208, v208, v210 dst_sel:DWORD dst_unused:UNUSED_PAD src0_sel:BYTE_0 src1_sel:DWORD
	v_or_b32_sdwa v87, v205, v87 dst_sel:WORD_1 dst_unused:UNUSED_PAD src0_sel:BYTE_0 src1_sel:DWORD
	v_or_b32_sdwa v207, v208, v87 dst_sel:DWORD dst_unused:UNUSED_PAD src0_sel:WORD_0 src1_sel:DWORD
	v_ashrrev_i32_e32 v208, s18, v211
	v_ashrrev_i32_e32 v87, s20, v209
	v_lshlrev_b32_e32 v208, 2, v208
	v_and_b32_e32 v205, 0x3030303, v87
	v_bfe_u32 v87, v87, 24, 2
	v_and_b32_e32 v208, 0x4040404, v208
	v_sub_u16_e32 v209, v205, v208
	v_sub_u16_sdwa v210, v205, v208 dst_sel:BYTE_1 dst_unused:UNUSED_PAD src0_sel:BYTE_1 src1_sel:BYTE_1
	v_sub_u16_sdwa v87, v87, v208 dst_sel:BYTE_1 dst_unused:UNUSED_PAD src0_sel:DWORD src1_sel:BYTE_3
	v_sub_u16_sdwa v205, v205, v208 dst_sel:DWORD dst_unused:UNUSED_PAD src0_sel:WORD_1 src1_sel:WORD_1
	v_or_b32_sdwa v209, v209, v210 dst_sel:DWORD dst_unused:UNUSED_PAD src0_sel:BYTE_0 src1_sel:DWORD
	v_or_b32_sdwa v87, v205, v87 dst_sel:WORD_1 dst_unused:UNUSED_PAD src0_sel:BYTE_0 src1_sel:DWORD
	v_or_b32_sdwa v208, v209, v87 dst_sel:DWORD dst_unused:UNUSED_PAD src0_sel:WORD_0 src1_sel:DWORD
	v_add_u32_e32 v87, s24, v137
	ds_read_b32 v205, v87
	v_mov_b32_e32 v87, 0
	v_dot4c_i32_i8_e32 v87, v199, v4
	ds_read_u16 v4, v86 offset:11266
	v_dot4c_i32_i8_e32 v87, v200, v5
	v_dot4c_i32_i8_e32 v87, v202, v6
	v_mov_b32_e32 v6, 0
	v_dot4c_i32_i8_e32 v6, v204, v0
	v_dot4c_i32_i8_e32 v6, v206, v1
	;; [unrolled: 1-line block ×3, first 2 shown]
	s_waitcnt lgkmcnt(0)
	v_lshrrev_b16_e32 v5, 8, v4
	v_bfe_i32 v209, v4, 0, 8
	v_dot4c_i32_i8_e32 v6, v207, v2
	v_mul_lo_u32 v4, v87, v209
	v_dot4c_i32_i8_e32 v6, v208, v3
	v_bfe_i32 v210, v5, 0, 8
	v_mov_b32_e32 v86, 0
	s_add_i32 s18, s18, 1
	v_mad_u64_u32 v[0:1], s[22:23], v6, v210, v[4:5]
	v_cvt_f32_i32_e32 v0, v0
	v_mul_f32_e32 v1, v84, v205
	v_mov_b32_e32 v84, 0
	s_cmp_lt_u32 s20, 6
	v_fmac_f32_e32 v103, v1, v0
	ds_read_b128 v[0:3], v165 offset:26368
	ds_read_b128 v[4:7], v165 offset:26384
	s_waitcnt lgkmcnt(1)
	v_dot4c_i32_i8_e32 v84, v167, v0
	v_dot4c_i32_i8_e32 v84, v168, v1
	s_waitcnt lgkmcnt(0)
	v_dot4c_i32_i8_e32 v86, v171, v4
	v_dot4c_i32_i8_e32 v84, v169, v2
	;; [unrolled: 1-line block ×6, first 2 shown]
	s_nop 0
	v_mul_lo_u32 v84, v84, v177
	s_nop 0
	v_mad_u64_u32 v[86:87], s[22:23], v86, v179, v[84:85]
	v_cvt_f32_i32_e32 v86, v86
	v_mul_f32_e32 v84, v172, v85
	v_fmac_f32_e32 v99, v84, v86
	v_mov_b32_e32 v84, 0
	v_dot4c_i32_i8_e32 v84, v176, v0
	v_mov_b32_e32 v86, 0
	v_dot4c_i32_i8_e32 v84, v178, v1
	v_dot4c_i32_i8_e32 v86, v182, v4
	;; [unrolled: 1-line block ×7, first 2 shown]
	s_nop 0
	v_mul_lo_u32 v84, v84, v187
	s_nop 0
	v_mad_u64_u32 v[86:87], s[22:23], v86, v190, v[84:85]
	v_cvt_f32_i32_e32 v86, v86
	v_mul_f32_e32 v84, v183, v85
	v_fmac_f32_e32 v98, v84, v86
	v_mov_b32_e32 v84, 0
	v_dot4c_i32_i8_e32 v84, v188, v0
	v_mov_b32_e32 v86, 0
	v_dot4c_i32_i8_e32 v84, v189, v1
	v_dot4c_i32_i8_e32 v86, v193, v4
	;; [unrolled: 1-line block ×7, first 2 shown]
	s_nop 0
	v_mul_lo_u32 v84, v84, v198
	s_nop 0
	v_mad_u64_u32 v[86:87], s[22:23], v86, v201, v[84:85]
	v_cvt_f32_i32_e32 v86, v86
	v_mul_f32_e32 v84, v194, v85
	v_fmac_f32_e32 v97, v84, v86
	v_mov_b32_e32 v84, 0
	v_dot4c_i32_i8_e32 v84, v199, v0
	v_dot4c_i32_i8_e32 v84, v200, v1
	v_mov_b32_e32 v1, 0
	v_dot4c_i32_i8_e32 v1, v204, v4
	v_dot4c_i32_i8_e32 v84, v202, v2
	;; [unrolled: 1-line block ×6, first 2 shown]
	s_nop 0
	v_mul_lo_u32 v0, v84, v209
	s_nop 0
	v_mad_u64_u32 v[0:1], s[22:23], v1, v210, v[0:1]
	v_cvt_f32_i32_e32 v0, v0
	v_mul_f32_e32 v1, v205, v85
	v_fmac_f32_e32 v83, v1, v0
	v_add_u32_e32 v0, 0x9800, v166
	ds_read2_b32 v[6:7], v0 offset0:40 offset1:72
	ds_read_b128 v[2:5], v165 offset:27392
	ds_read_b128 v[84:87], v165 offset:27408
	v_mov_b32_e32 v1, 0
	v_add_u32_e32 v166, 4, v166
	s_waitcnt lgkmcnt(1)
	v_dot4c_i32_i8_e32 v1, v167, v2
	v_dot4c_i32_i8_e32 v1, v168, v3
	;; [unrolled: 1-line block ×4, first 2 shown]
	s_nop 2
	v_mul_lo_u32 v212, v1, v177
	v_mov_b32_e32 v1, 0
	s_waitcnt lgkmcnt(0)
	v_dot4c_i32_i8_e32 v1, v171, v84
	v_dot4c_i32_i8_e32 v1, v173, v85
	v_dot4c_i32_i8_e32 v1, v174, v86
	v_dot4c_i32_i8_e32 v1, v175, v87
	s_nop 2
	v_mad_u64_u32 v[212:213], s[22:23], v1, v179, v[212:213]
	v_cvt_f32_i32_e32 v211, v212
	v_mul_f32_e32 v1, v172, v6
	v_fmac_f32_e32 v77, v1, v211
	v_mov_b32_e32 v1, 0
	v_dot4c_i32_i8_e32 v1, v176, v2
	v_dot4c_i32_i8_e32 v1, v178, v3
	v_dot4c_i32_i8_e32 v1, v180, v4
	v_dot4c_i32_i8_e32 v1, v181, v5
	s_nop 2
	v_mul_lo_u32 v212, v1, v187
	v_mov_b32_e32 v1, 0
	v_dot4c_i32_i8_e32 v1, v182, v84
	v_dot4c_i32_i8_e32 v1, v184, v85
	v_dot4c_i32_i8_e32 v1, v185, v86
	v_dot4c_i32_i8_e32 v1, v186, v87
	s_nop 2
	v_mad_u64_u32 v[212:213], s[22:23], v1, v190, v[212:213]
	v_cvt_f32_i32_e32 v211, v212
	v_mul_f32_e32 v1, v183, v6
	v_fmac_f32_e32 v61, v1, v211
	v_mov_b32_e32 v1, 0
	v_dot4c_i32_i8_e32 v1, v188, v2
	v_dot4c_i32_i8_e32 v1, v189, v3
	v_dot4c_i32_i8_e32 v1, v191, v4
	v_dot4c_i32_i8_e32 v1, v192, v5
	s_nop 2
	v_mul_lo_u32 v212, v1, v198
	v_mov_b32_e32 v1, 0
	;; [unrolled: 17-line block ×3, first 2 shown]
	v_dot4c_i32_i8_e32 v1, v204, v84
	v_dot4c_i32_i8_e32 v1, v206, v85
	;; [unrolled: 1-line block ×4, first 2 shown]
	s_nop 2
	v_mad_u64_u32 v[2:3], s[22:23], v1, v210, v[2:3]
	v_cvt_f32_i32_e32 v2, v2
	v_mul_f32_e32 v1, v205, v6
	v_fmac_f32_e32 v53, v1, v2
	ds_read_b128 v[2:5], v165 offset:28416
	ds_read_b128 v[84:87], v165 offset:28432
	v_mov_b32_e32 v1, 0
	s_waitcnt lgkmcnt(1)
	v_dot4c_i32_i8_e32 v1, v167, v2
	v_dot4c_i32_i8_e32 v1, v168, v3
	v_dot4c_i32_i8_e32 v1, v169, v4
	v_dot4c_i32_i8_e32 v1, v170, v5
	s_nop 2
	v_mul_lo_u32 v6, v1, v177
	v_mov_b32_e32 v1, 0
	s_waitcnt lgkmcnt(0)
	v_dot4c_i32_i8_e32 v1, v171, v84
	v_dot4c_i32_i8_e32 v1, v173, v85
	v_dot4c_i32_i8_e32 v1, v174, v86
	v_dot4c_i32_i8_e32 v1, v175, v87
	s_nop 2
	v_mad_u64_u32 v[212:213], s[22:23], v1, v179, v[6:7]
	v_cvt_f32_i32_e32 v6, v212
	v_mul_f32_e32 v1, v172, v7
	v_fmac_f32_e32 v51, v1, v6
	v_mov_b32_e32 v1, 0
	v_dot4c_i32_i8_e32 v1, v176, v2
	v_dot4c_i32_i8_e32 v1, v178, v3
	v_dot4c_i32_i8_e32 v1, v180, v4
	v_dot4c_i32_i8_e32 v1, v181, v5
	s_nop 2
	v_mul_lo_u32 v6, v1, v187
	v_mov_b32_e32 v1, 0
	v_dot4c_i32_i8_e32 v1, v182, v84
	v_dot4c_i32_i8_e32 v1, v184, v85
	v_dot4c_i32_i8_e32 v1, v185, v86
	v_dot4c_i32_i8_e32 v1, v186, v87
	s_nop 2
	v_mad_u64_u32 v[212:213], s[22:23], v1, v190, v[6:7]
	v_cvt_f32_i32_e32 v6, v212
	v_mul_f32_e32 v1, v183, v7
	v_fmac_f32_e32 v49, v1, v6
	v_mov_b32_e32 v1, 0
	v_dot4c_i32_i8_e32 v1, v188, v2
	v_dot4c_i32_i8_e32 v1, v189, v3
	v_dot4c_i32_i8_e32 v1, v191, v4
	v_dot4c_i32_i8_e32 v1, v192, v5
	s_nop 2
	v_mul_lo_u32 v6, v1, v198
	v_mov_b32_e32 v1, 0
	;; [unrolled: 17-line block ×3, first 2 shown]
	v_dot4c_i32_i8_e32 v1, v204, v84
	v_dot4c_i32_i8_e32 v1, v206, v85
	;; [unrolled: 1-line block ×4, first 2 shown]
	s_nop 2
	v_mad_u64_u32 v[2:3], s[22:23], v1, v210, v[2:3]
	v_cvt_f32_i32_e32 v2, v2
	v_mul_f32_e32 v1, v205, v7
	v_fmac_f32_e32 v43, v1, v2
	ds_read2_b32 v[6:7], v0 offset0:104 offset1:136
	ds_read_b128 v[2:5], v165 offset:29440
	ds_read_b128 v[84:87], v165 offset:29456
	v_mov_b32_e32 v1, 0
	s_waitcnt lgkmcnt(1)
	v_dot4c_i32_i8_e32 v1, v167, v2
	v_dot4c_i32_i8_e32 v1, v168, v3
	;; [unrolled: 1-line block ×4, first 2 shown]
	s_nop 2
	v_mul_lo_u32 v212, v1, v177
	v_mov_b32_e32 v1, 0
	s_waitcnt lgkmcnt(0)
	v_dot4c_i32_i8_e32 v1, v171, v84
	v_dot4c_i32_i8_e32 v1, v173, v85
	v_dot4c_i32_i8_e32 v1, v174, v86
	v_dot4c_i32_i8_e32 v1, v175, v87
	s_nop 2
	v_mad_u64_u32 v[212:213], s[22:23], v1, v179, v[212:213]
	v_cvt_f32_i32_e32 v211, v212
	v_mul_f32_e32 v1, v172, v6
	v_fmac_f32_e32 v39, v1, v211
	v_mov_b32_e32 v1, 0
	v_dot4c_i32_i8_e32 v1, v176, v2
	v_dot4c_i32_i8_e32 v1, v178, v3
	v_dot4c_i32_i8_e32 v1, v180, v4
	v_dot4c_i32_i8_e32 v1, v181, v5
	s_nop 2
	v_mul_lo_u32 v212, v1, v187
	v_mov_b32_e32 v1, 0
	v_dot4c_i32_i8_e32 v1, v182, v84
	v_dot4c_i32_i8_e32 v1, v184, v85
	v_dot4c_i32_i8_e32 v1, v185, v86
	v_dot4c_i32_i8_e32 v1, v186, v87
	s_nop 2
	v_mad_u64_u32 v[212:213], s[22:23], v1, v190, v[212:213]
	v_cvt_f32_i32_e32 v211, v212
	v_mul_f32_e32 v1, v183, v6
	v_fmac_f32_e32 v37, v1, v211
	v_mov_b32_e32 v1, 0
	v_dot4c_i32_i8_e32 v1, v188, v2
	v_dot4c_i32_i8_e32 v1, v189, v3
	v_dot4c_i32_i8_e32 v1, v191, v4
	v_dot4c_i32_i8_e32 v1, v192, v5
	s_nop 2
	v_mul_lo_u32 v212, v1, v198
	v_mov_b32_e32 v1, 0
	;; [unrolled: 17-line block ×3, first 2 shown]
	v_dot4c_i32_i8_e32 v1, v204, v84
	v_dot4c_i32_i8_e32 v1, v206, v85
	;; [unrolled: 1-line block ×4, first 2 shown]
	s_nop 2
	v_mad_u64_u32 v[2:3], s[22:23], v1, v210, v[2:3]
	v_cvt_f32_i32_e32 v2, v2
	v_mul_f32_e32 v1, v205, v6
	v_fmac_f32_e32 v33, v1, v2
	ds_read_b128 v[2:5], v165 offset:30464
	ds_read_b128 v[84:87], v165 offset:30480
	v_mov_b32_e32 v1, 0
	s_waitcnt lgkmcnt(1)
	v_dot4c_i32_i8_e32 v1, v167, v2
	v_dot4c_i32_i8_e32 v1, v168, v3
	v_dot4c_i32_i8_e32 v1, v169, v4
	v_dot4c_i32_i8_e32 v1, v170, v5
	s_nop 2
	v_mul_lo_u32 v6, v1, v177
	v_mov_b32_e32 v1, 0
	s_waitcnt lgkmcnt(0)
	v_dot4c_i32_i8_e32 v1, v171, v84
	v_dot4c_i32_i8_e32 v1, v173, v85
	v_dot4c_i32_i8_e32 v1, v174, v86
	v_dot4c_i32_i8_e32 v1, v175, v87
	s_nop 2
	v_mad_u64_u32 v[212:213], s[22:23], v1, v179, v[6:7]
	v_cvt_f32_i32_e32 v6, v212
	v_mul_f32_e32 v1, v172, v7
	v_fmac_f32_e32 v31, v1, v6
	v_mov_b32_e32 v1, 0
	v_dot4c_i32_i8_e32 v1, v176, v2
	v_dot4c_i32_i8_e32 v1, v178, v3
	v_dot4c_i32_i8_e32 v1, v180, v4
	v_dot4c_i32_i8_e32 v1, v181, v5
	s_nop 2
	v_mul_lo_u32 v6, v1, v187
	v_mov_b32_e32 v1, 0
	v_dot4c_i32_i8_e32 v1, v182, v84
	v_dot4c_i32_i8_e32 v1, v184, v85
	v_dot4c_i32_i8_e32 v1, v185, v86
	v_dot4c_i32_i8_e32 v1, v186, v87
	s_nop 2
	v_mad_u64_u32 v[212:213], s[22:23], v1, v190, v[6:7]
	v_cvt_f32_i32_e32 v6, v212
	v_mul_f32_e32 v1, v183, v7
	v_fmac_f32_e32 v29, v1, v6
	v_mov_b32_e32 v1, 0
	v_dot4c_i32_i8_e32 v1, v188, v2
	v_dot4c_i32_i8_e32 v1, v189, v3
	v_dot4c_i32_i8_e32 v1, v191, v4
	v_dot4c_i32_i8_e32 v1, v192, v5
	s_nop 2
	v_mul_lo_u32 v6, v1, v198
	v_mov_b32_e32 v1, 0
	;; [unrolled: 17-line block ×3, first 2 shown]
	v_dot4c_i32_i8_e32 v1, v204, v84
	v_dot4c_i32_i8_e32 v1, v206, v85
	;; [unrolled: 1-line block ×4, first 2 shown]
	v_mov_b32_e32 v86, 0
	v_mov_b32_e32 v87, 0
	s_nop 0
	v_mad_u64_u32 v[2:3], s[22:23], v1, v210, v[2:3]
	v_cvt_f32_i32_e32 v2, v2
	v_mul_f32_e32 v1, v205, v7
	v_fmac_f32_e32 v25, v1, v2
	ds_read2_b32 v[84:85], v0 offset0:168 offset1:200
	ds_read_b128 v[4:7], v165 offset:31488
	ds_read_b128 v[0:3], v165 offset:31504
	s_waitcnt lgkmcnt(1)
	v_dot4c_i32_i8_e32 v86, v167, v4
	v_dot4c_i32_i8_e32 v86, v168, v5
	s_waitcnt lgkmcnt(0)
	v_dot4c_i32_i8_e32 v87, v171, v0
	v_dot4c_i32_i8_e32 v86, v169, v6
	v_dot4c_i32_i8_e32 v87, v173, v1
	v_dot4c_i32_i8_e32 v86, v170, v7
	v_dot4c_i32_i8_e32 v87, v174, v2
	v_dot4c_i32_i8_e32 v87, v175, v3
	s_nop 0
	v_mul_lo_u32 v86, v86, v177
	s_nop 0
	v_mad_u64_u32 v[86:87], s[22:23], v87, v179, v[86:87]
	v_cvt_f32_i32_e32 v86, v86
	v_mul_f32_e32 v87, v172, v84
	v_fmac_f32_e32 v23, v87, v86
	v_mov_b32_e32 v86, 0
	v_dot4c_i32_i8_e32 v86, v176, v4
	v_mov_b32_e32 v87, 0
	v_dot4c_i32_i8_e32 v86, v178, v5
	v_dot4c_i32_i8_e32 v87, v182, v0
	;; [unrolled: 1-line block ×7, first 2 shown]
	s_nop 0
	v_mul_lo_u32 v86, v86, v187
	s_nop 0
	v_mad_u64_u32 v[86:87], s[22:23], v87, v190, v[86:87]
	v_cvt_f32_i32_e32 v86, v86
	v_mul_f32_e32 v87, v183, v84
	v_fmac_f32_e32 v21, v87, v86
	v_mov_b32_e32 v86, 0
	v_dot4c_i32_i8_e32 v86, v188, v4
	v_mov_b32_e32 v87, 0
	v_dot4c_i32_i8_e32 v86, v189, v5
	v_dot4c_i32_i8_e32 v87, v193, v0
	;; [unrolled: 1-line block ×7, first 2 shown]
	s_nop 0
	v_mul_lo_u32 v86, v86, v198
	s_nop 0
	v_mad_u64_u32 v[86:87], s[22:23], v87, v201, v[86:87]
	v_cvt_f32_i32_e32 v86, v86
	v_mul_f32_e32 v87, v194, v84
	v_fmac_f32_e32 v19, v87, v86
	v_mov_b32_e32 v86, 0
	v_dot4c_i32_i8_e32 v86, v199, v4
	v_dot4c_i32_i8_e32 v86, v200, v5
	v_mov_b32_e32 v5, 0
	v_dot4c_i32_i8_e32 v5, v204, v0
	v_dot4c_i32_i8_e32 v86, v202, v6
	;; [unrolled: 1-line block ×6, first 2 shown]
	s_nop 0
	v_mul_lo_u32 v4, v86, v209
	v_mov_b32_e32 v86, 0
	v_mad_u64_u32 v[0:1], s[22:23], v5, v210, v[4:5]
	v_cvt_f32_i32_e32 v0, v0
	v_mul_f32_e32 v1, v205, v84
	v_mov_b32_e32 v84, 0
	v_fmac_f32_e32 v17, v1, v0
	ds_read_b128 v[0:3], v165 offset:32512
	ds_read_b128 v[4:7], v165 offset:32528
	v_add_u32_e32 v165, 32, v165
	s_waitcnt lgkmcnt(1)
	v_dot4c_i32_i8_e32 v84, v167, v0
	v_dot4c_i32_i8_e32 v84, v168, v1
	s_waitcnt lgkmcnt(0)
	v_dot4c_i32_i8_e32 v86, v171, v4
	v_dot4c_i32_i8_e32 v84, v169, v2
	;; [unrolled: 1-line block ×6, first 2 shown]
	s_nop 0
	v_mul_lo_u32 v84, v84, v177
	s_nop 0
	v_mad_u64_u32 v[86:87], s[22:23], v86, v179, v[84:85]
	v_cvt_f32_i32_e32 v86, v86
	v_mul_f32_e32 v84, v172, v85
	v_fmac_f32_e32 v15, v84, v86
	v_mov_b32_e32 v84, 0
	v_dot4c_i32_i8_e32 v84, v176, v0
	v_mov_b32_e32 v86, 0
	v_dot4c_i32_i8_e32 v84, v178, v1
	v_dot4c_i32_i8_e32 v86, v182, v4
	;; [unrolled: 1-line block ×7, first 2 shown]
	s_nop 0
	v_mul_lo_u32 v84, v84, v187
	s_nop 0
	v_mad_u64_u32 v[86:87], s[22:23], v86, v190, v[84:85]
	v_cvt_f32_i32_e32 v86, v86
	v_mul_f32_e32 v84, v183, v85
	v_fmac_f32_e32 v13, v84, v86
	v_mov_b32_e32 v84, 0
	v_dot4c_i32_i8_e32 v84, v188, v0
	v_mov_b32_e32 v86, 0
	v_dot4c_i32_i8_e32 v84, v189, v1
	v_dot4c_i32_i8_e32 v86, v193, v4
	;; [unrolled: 1-line block ×7, first 2 shown]
	s_nop 0
	v_mul_lo_u32 v84, v84, v198
	s_nop 0
	v_mad_u64_u32 v[86:87], s[22:23], v86, v201, v[84:85]
	v_cvt_f32_i32_e32 v86, v86
	v_mul_f32_e32 v84, v194, v85
	v_fmac_f32_e32 v11, v84, v86
	v_mov_b32_e32 v84, 0
	v_dot4c_i32_i8_e32 v84, v199, v0
	v_dot4c_i32_i8_e32 v84, v200, v1
	v_mov_b32_e32 v1, 0
	v_dot4c_i32_i8_e32 v1, v204, v4
	v_dot4c_i32_i8_e32 v84, v202, v2
	v_dot4c_i32_i8_e32 v1, v206, v5
	v_dot4c_i32_i8_e32 v84, v203, v3
	v_dot4c_i32_i8_e32 v1, v207, v6
	v_dot4c_i32_i8_e32 v1, v208, v7
	s_nop 0
	v_mul_lo_u32 v0, v84, v209
	s_nop 0
	v_mad_u64_u32 v[0:1], s[22:23], v1, v210, v[0:1]
	v_cvt_f32_i32_e32 v0, v0
	v_mul_f32_e32 v1, v205, v85
	v_fmac_f32_e32 v9, v1, v0
	s_cbranch_scc1 .LBB149_7
; %bb.8:                                ;   in Loop: Header=BB149_6 Depth=1
	v_add_u32_e32 v165, s17, v138
	v_add_u32_e32 v0, v165, v106
	;; [unrolled: 1-line block ×9, first 2 shown]
	v_mad_i64_i32 v[168:169], s[18:19], v165, 36, v[80:81]
	v_add_u32_e32 v165, 4, v164
	v_mad_i64_i32 v[0:1], s[18:19], v0, 36, v[80:81]
	v_mad_i64_i32 v[2:3], s[18:19], v2, 36, v[80:81]
	;; [unrolled: 1-line block ×4, first 2 shown]
	v_mad_u64_u32 v[170:171], s[18:19], v165, 36, s[2:3]
	s_barrier
	v_mad_i64_i32 v[84:85], s[18:19], v84, 36, v[80:81]
	v_mad_i64_i32 v[86:87], s[18:19], v86, 36, v[80:81]
	;; [unrolled: 1-line block ×3, first 2 shown]
	global_load_dword v170, v[170:171], off
	s_nop 0
	global_load_dword v0, v[0:1], off offset:4
	s_nop 0
	global_load_dword v1, v[2:3], off offset:4
	s_nop 0
	global_load_dword v2, v[4:5], off offset:4
	global_load_dword v3, v[6:7], off offset:4
	s_nop 0
	global_load_dword v4, v[84:85], off offset:4
	global_load_dword v5, v[86:87], off offset:4
	;; [unrolled: 1-line block ×4, first 2 shown]
	s_mov_b32 s18, 4
	s_mov_b32 s19, 8
	;; [unrolled: 1-line block ×3, first 2 shown]
	v_mov_b32_e32 v165, v107
	v_mov_b32_e32 v166, v95
	s_waitcnt vmcnt(8)
	v_cvt_f32_f16_e32 v84, v170
	s_waitcnt vmcnt(7)
	ds_write_b32 v108, v0
	s_waitcnt vmcnt(6)
	ds_write_b32 v111, v1
	;; [unrolled: 2-line block ×8, first 2 shown]
	ds_write_b32 v105, v84
	s_waitcnt lgkmcnt(0)
	s_barrier
.LBB149_9:                              ;   Parent Loop BB149_6 Depth=1
                                        ; =>  This Inner Loop Header: Depth=2
	s_and_b32 s20, s19, -16
	v_add_u32_e32 v86, s20, v125
	s_add_i32 s20, s21, 2
	s_lshr_b32 s25, s20, 4
	s_and_b32 s24, s20, 0x3ffffff8
	s_lshl_b32 s23, s25, 3
	s_lshl_b32 s24, s24, 2
	v_add_lshl_u32 v176, v126, s23, 2
	v_add_u32_e32 v0, 0x9600, v166
	v_add_u32_e32 v87, s24, v127
	;; [unrolled: 1-line block ×3, first 2 shown]
	ds_read2_b32 v[84:85], v0 offset0:104 offset1:136
	ds_read_b128 v[4:7], v165 offset:25344
	ds_read_b128 v[0:3], v165 offset:25360
	ds_read2_b32 v[168:169], v87 offset1:1
	ds_read2_b32 v[170:171], v170 offset1:1
	s_add_i32 s22, s21, -6
	s_lshl_b32 s25, s25, 2
	v_add_lshl_u32 v198, v132, s23, 2
	s_waitcnt lgkmcnt(1)
	v_ashrrev_i32_e32 v167, s22, v168
	s_waitcnt lgkmcnt(0)
	v_ashrrev_i32_e32 v170, s18, v170
	v_lshlrev_b32_e32 v170, 2, v170
	v_and_b32_e32 v168, 0x3030303, v167
	v_bfe_u32 v167, v167, 24, 2
	v_and_b32_e32 v170, 0x4040404, v170
	v_sub_u16_e32 v172, v168, v170
	v_sub_u16_sdwa v173, v168, v170 dst_sel:BYTE_1 dst_unused:UNUSED_PAD src0_sel:BYTE_1 src1_sel:BYTE_1
	v_sub_u16_sdwa v167, v167, v170 dst_sel:BYTE_1 dst_unused:UNUSED_PAD src0_sel:DWORD src1_sel:BYTE_3
	v_sub_u16_sdwa v168, v168, v170 dst_sel:DWORD dst_unused:UNUSED_PAD src0_sel:WORD_1 src1_sel:WORD_1
	v_ashrrev_i32_e32 v170, s18, v171
	v_or_b32_sdwa v167, v168, v167 dst_sel:WORD_1 dst_unused:UNUSED_PAD src0_sel:BYTE_0 src1_sel:DWORD
	v_ashrrev_i32_e32 v168, s22, v169
	v_lshlrev_b32_e32 v170, 2, v170
	v_or_b32_sdwa v172, v172, v173 dst_sel:DWORD dst_unused:UNUSED_PAD src0_sel:BYTE_0 src1_sel:DWORD
	v_and_b32_e32 v169, 0x3030303, v168
	v_bfe_u32 v168, v168, 24, 2
	v_and_b32_e32 v170, 0x4040404, v170
	v_or_b32_sdwa v167, v172, v167 dst_sel:DWORD dst_unused:UNUSED_PAD src0_sel:WORD_0 src1_sel:DWORD
	v_sub_u16_e32 v171, v169, v170
	v_sub_u16_sdwa v172, v169, v170 dst_sel:BYTE_1 dst_unused:UNUSED_PAD src0_sel:BYTE_1 src1_sel:BYTE_1
	v_sub_u16_sdwa v168, v168, v170 dst_sel:BYTE_1 dst_unused:UNUSED_PAD src0_sel:DWORD src1_sel:BYTE_3
	v_sub_u16_sdwa v169, v169, v170 dst_sel:DWORD dst_unused:UNUSED_PAD src0_sel:WORD_1 src1_sel:WORD_1
	v_or_b32_sdwa v171, v171, v172 dst_sel:DWORD dst_unused:UNUSED_PAD src0_sel:BYTE_0 src1_sel:DWORD
	v_or_b32_sdwa v168, v169, v168 dst_sel:WORD_1 dst_unused:UNUSED_PAD src0_sel:BYTE_0 src1_sel:DWORD
	v_add_u32_e32 v172, 0x4208, v176
	v_or_b32_sdwa v168, v171, v168 dst_sel:DWORD dst_unused:UNUSED_PAD src0_sel:WORD_0 src1_sel:DWORD
	ds_read2_b32 v[170:171], v87 offset0:2 offset1:3
	ds_read2_b32 v[172:173], v172 offset1:1
	v_add_lshl_u32 v188, v129, s23, 2
	v_add_u32_e32 v192, 0x4200, v198
	v_add_lshl_u32 v210, v135, s23, 2
	s_waitcnt lgkmcnt(1)
	v_ashrrev_i32_e32 v169, s22, v170
	s_waitcnt lgkmcnt(0)
	v_ashrrev_i32_e32 v172, s18, v172
	v_lshlrev_b32_e32 v172, 2, v172
	v_and_b32_e32 v170, 0x3030303, v169
	v_bfe_u32 v169, v169, 24, 2
	v_and_b32_e32 v172, 0x4040404, v172
	v_sub_u16_e32 v174, v170, v172
	v_sub_u16_sdwa v175, v170, v172 dst_sel:BYTE_1 dst_unused:UNUSED_PAD src0_sel:BYTE_1 src1_sel:BYTE_1
	v_sub_u16_sdwa v169, v169, v172 dst_sel:BYTE_1 dst_unused:UNUSED_PAD src0_sel:DWORD src1_sel:BYTE_3
	v_sub_u16_sdwa v170, v170, v172 dst_sel:DWORD dst_unused:UNUSED_PAD src0_sel:WORD_1 src1_sel:WORD_1
	v_ashrrev_i32_e32 v172, s18, v173
	v_or_b32_sdwa v169, v170, v169 dst_sel:WORD_1 dst_unused:UNUSED_PAD src0_sel:BYTE_0 src1_sel:DWORD
	v_ashrrev_i32_e32 v170, s22, v171
	v_lshlrev_b32_e32 v172, 2, v172
	v_or_b32_sdwa v174, v174, v175 dst_sel:DWORD dst_unused:UNUSED_PAD src0_sel:BYTE_0 src1_sel:DWORD
	v_and_b32_e32 v171, 0x3030303, v170
	v_bfe_u32 v170, v170, 24, 2
	v_and_b32_e32 v172, 0x4040404, v172
	v_or_b32_sdwa v169, v174, v169 dst_sel:DWORD dst_unused:UNUSED_PAD src0_sel:WORD_0 src1_sel:DWORD
	v_sub_u16_e32 v173, v171, v172
	v_sub_u16_sdwa v174, v171, v172 dst_sel:BYTE_1 dst_unused:UNUSED_PAD src0_sel:BYTE_1 src1_sel:BYTE_1
	v_sub_u16_sdwa v170, v170, v172 dst_sel:BYTE_1 dst_unused:UNUSED_PAD src0_sel:DWORD src1_sel:BYTE_3
	v_sub_u16_sdwa v171, v171, v172 dst_sel:DWORD dst_unused:UNUSED_PAD src0_sel:WORD_1 src1_sel:WORD_1
	v_or_b32_sdwa v173, v173, v174 dst_sel:DWORD dst_unused:UNUSED_PAD src0_sel:BYTE_0 src1_sel:DWORD
	v_or_b32_sdwa v170, v171, v170 dst_sel:WORD_1 dst_unused:UNUSED_PAD src0_sel:BYTE_0 src1_sel:DWORD
	v_add_u32_e32 v174, 0x4210, v176
	v_or_b32_sdwa v170, v173, v170 dst_sel:DWORD dst_unused:UNUSED_PAD src0_sel:WORD_0 src1_sel:DWORD
	ds_read2_b32 v[172:173], v87 offset0:4 offset1:5
	ds_read2_b32 v[174:175], v174 offset1:1
	s_add_i32 s19, s19, 2
	ds_read2_b32 v[192:193], v192 offset1:1
	s_waitcnt lgkmcnt(2)
	v_ashrrev_i32_e32 v171, s22, v172
	s_waitcnt lgkmcnt(1)
	v_ashrrev_i32_e32 v174, s18, v174
	v_lshlrev_b32_e32 v174, 2, v174
	v_and_b32_e32 v172, 0x3030303, v171
	v_bfe_u32 v171, v171, 24, 2
	v_and_b32_e32 v174, 0x4040404, v174
	v_sub_u16_e32 v177, v172, v174
	v_sub_u16_sdwa v178, v172, v174 dst_sel:BYTE_1 dst_unused:UNUSED_PAD src0_sel:BYTE_1 src1_sel:BYTE_1
	v_sub_u16_sdwa v171, v171, v174 dst_sel:BYTE_1 dst_unused:UNUSED_PAD src0_sel:DWORD src1_sel:BYTE_3
	v_sub_u16_sdwa v172, v172, v174 dst_sel:DWORD dst_unused:UNUSED_PAD src0_sel:WORD_1 src1_sel:WORD_1
	v_or_b32_sdwa v177, v177, v178 dst_sel:DWORD dst_unused:UNUSED_PAD src0_sel:BYTE_0 src1_sel:DWORD
	v_or_b32_sdwa v171, v172, v171 dst_sel:WORD_1 dst_unused:UNUSED_PAD src0_sel:BYTE_0 src1_sel:DWORD
	v_ashrrev_i32_e32 v174, s18, v175
	v_or_b32_sdwa v172, v177, v171 dst_sel:DWORD dst_unused:UNUSED_PAD src0_sel:WORD_0 src1_sel:DWORD
	v_ashrrev_i32_e32 v171, s22, v173
	v_lshlrev_b32_e32 v174, 2, v174
	v_and_b32_e32 v173, 0x3030303, v171
	v_bfe_u32 v171, v171, 24, 2
	v_and_b32_e32 v174, 0x4040404, v174
	v_sub_u16_e32 v175, v173, v174
	v_sub_u16_sdwa v177, v173, v174 dst_sel:BYTE_1 dst_unused:UNUSED_PAD src0_sel:BYTE_1 src1_sel:BYTE_1
	v_sub_u16_sdwa v171, v171, v174 dst_sel:BYTE_1 dst_unused:UNUSED_PAD src0_sel:DWORD src1_sel:BYTE_3
	v_sub_u16_sdwa v173, v173, v174 dst_sel:DWORD dst_unused:UNUSED_PAD src0_sel:WORD_1 src1_sel:WORD_1
	v_or_b32_sdwa v175, v175, v177 dst_sel:DWORD dst_unused:UNUSED_PAD src0_sel:BYTE_0 src1_sel:DWORD
	v_or_b32_sdwa v171, v173, v171 dst_sel:WORD_1 dst_unused:UNUSED_PAD src0_sel:BYTE_0 src1_sel:DWORD
	v_or_b32_sdwa v173, v175, v171 dst_sel:DWORD dst_unused:UNUSED_PAD src0_sel:WORD_0 src1_sel:DWORD
	ds_read2_b32 v[174:175], v87 offset0:6 offset1:7
	s_waitcnt lgkmcnt(1)
	v_ashrrev_i32_e32 v192, s18, v192
	v_lshlrev_b32_e32 v192, 2, v192
	v_and_b32_e32 v192, 0x4040404, v192
	s_waitcnt lgkmcnt(0)
	v_ashrrev_i32_e32 v87, s22, v174
	v_add_u32_e32 v174, 0x4218, v176
	ds_read2_b32 v[176:177], v174 offset1:1
	v_and_b32_e32 v171, 0x3030303, v87
	v_bfe_u32 v87, v87, 24, 2
	s_waitcnt lgkmcnt(0)
	v_ashrrev_i32_e32 v174, s18, v176
	v_lshlrev_b32_e32 v174, 2, v174
	v_and_b32_e32 v174, 0x4040404, v174
	v_sub_u16_e32 v176, v171, v174
	v_sub_u16_sdwa v178, v171, v174 dst_sel:BYTE_1 dst_unused:UNUSED_PAD src0_sel:BYTE_1 src1_sel:BYTE_1
	v_sub_u16_sdwa v87, v87, v174 dst_sel:BYTE_1 dst_unused:UNUSED_PAD src0_sel:DWORD src1_sel:BYTE_3
	v_sub_u16_sdwa v171, v171, v174 dst_sel:DWORD dst_unused:UNUSED_PAD src0_sel:WORD_1 src1_sel:WORD_1
	v_or_b32_sdwa v176, v176, v178 dst_sel:DWORD dst_unused:UNUSED_PAD src0_sel:BYTE_0 src1_sel:DWORD
	v_or_b32_sdwa v87, v171, v87 dst_sel:WORD_1 dst_unused:UNUSED_PAD src0_sel:BYTE_0 src1_sel:DWORD
	v_or_b32_sdwa v174, v176, v87 dst_sel:DWORD dst_unused:UNUSED_PAD src0_sel:WORD_0 src1_sel:DWORD
	v_ashrrev_i32_e32 v87, s22, v175
	v_ashrrev_i32_e32 v175, s18, v177
	v_lshlrev_b32_e32 v175, 2, v175
	v_and_b32_e32 v171, 0x3030303, v87
	v_bfe_u32 v87, v87, 24, 2
	v_and_b32_e32 v175, 0x4040404, v175
	v_sub_u16_e32 v176, v171, v175
	v_sub_u16_sdwa v177, v171, v175 dst_sel:BYTE_1 dst_unused:UNUSED_PAD src0_sel:BYTE_1 src1_sel:BYTE_1
	v_sub_u16_sdwa v87, v87, v175 dst_sel:BYTE_1 dst_unused:UNUSED_PAD src0_sel:DWORD src1_sel:BYTE_3
	v_sub_u16_sdwa v171, v171, v175 dst_sel:DWORD dst_unused:UNUSED_PAD src0_sel:WORD_1 src1_sel:WORD_1
	v_or_b32_sdwa v176, v176, v177 dst_sel:DWORD dst_unused:UNUSED_PAD src0_sel:BYTE_0 src1_sel:DWORD
	v_or_b32_sdwa v87, v171, v87 dst_sel:WORD_1 dst_unused:UNUSED_PAD src0_sel:BYTE_0 src1_sel:DWORD
	v_or_b32_sdwa v175, v176, v87 dst_sel:DWORD dst_unused:UNUSED_PAD src0_sel:WORD_0 src1_sel:DWORD
	v_add3_u32 v87, v142, s21, v86
	v_add_u32_e32 v171, s25, v128
	ds_read_b32 v171, v171
	ds_read_u16 v87, v87 offset:8194
	v_mov_b32_e32 v177, 0
	v_dot4c_i32_i8_e32 v177, v167, v4
	v_dot4c_i32_i8_e32 v177, v168, v5
	;; [unrolled: 1-line block ×3, first 2 shown]
	s_waitcnt lgkmcnt(0)
	v_lshrrev_b16_e32 v178, 8, v87
	v_bfe_i32 v176, v87, 0, 8
	v_mov_b32_e32 v87, 0
	v_dot4c_i32_i8_e32 v87, v172, v0
	v_dot4c_i32_i8_e32 v87, v173, v1
	;; [unrolled: 1-line block ×5, first 2 shown]
	v_bfe_i32 v178, v178, 0, 8
	v_mul_lo_u32 v180, v177, v176
	s_nop 0
	v_mad_u64_u32 v[180:181], s[26:27], v87, v178, v[180:181]
	v_cvt_f32_i32_e32 v177, v180
	v_mul_f32_e32 v87, v84, v171
	v_fmac_f32_e32 v119, v87, v177
	v_add_u32_e32 v87, s24, v130
	ds_read2_b32 v[180:181], v87 offset1:1
	s_waitcnt lgkmcnt(0)
	v_ashrrev_i32_e32 v177, s22, v180
	v_add_u32_e32 v180, 0x4200, v188
	ds_read2_b32 v[182:183], v180 offset1:1
	v_and_b32_e32 v179, 0x3030303, v177
	v_bfe_u32 v177, v177, 24, 2
	s_waitcnt lgkmcnt(0)
	v_ashrrev_i32_e32 v180, s18, v182
	v_lshlrev_b32_e32 v180, 2, v180
	v_and_b32_e32 v180, 0x4040404, v180
	v_sub_u16_e32 v182, v179, v180
	v_sub_u16_sdwa v184, v179, v180 dst_sel:BYTE_1 dst_unused:UNUSED_PAD src0_sel:BYTE_1 src1_sel:BYTE_1
	v_sub_u16_sdwa v177, v177, v180 dst_sel:BYTE_1 dst_unused:UNUSED_PAD src0_sel:DWORD src1_sel:BYTE_3
	v_sub_u16_sdwa v179, v179, v180 dst_sel:DWORD dst_unused:UNUSED_PAD src0_sel:WORD_1 src1_sel:WORD_1
	v_or_b32_sdwa v177, v179, v177 dst_sel:WORD_1 dst_unused:UNUSED_PAD src0_sel:BYTE_0 src1_sel:DWORD
	v_ashrrev_i32_e32 v179, s22, v181
	v_ashrrev_i32_e32 v181, s18, v183
	v_lshlrev_b32_e32 v181, 2, v181
	v_or_b32_sdwa v182, v182, v184 dst_sel:DWORD dst_unused:UNUSED_PAD src0_sel:BYTE_0 src1_sel:DWORD
	v_and_b32_e32 v180, 0x3030303, v179
	v_bfe_u32 v179, v179, 24, 2
	v_and_b32_e32 v181, 0x4040404, v181
	v_or_b32_sdwa v177, v182, v177 dst_sel:DWORD dst_unused:UNUSED_PAD src0_sel:WORD_0 src1_sel:DWORD
	v_sub_u16_e32 v182, v180, v181
	v_sub_u16_sdwa v183, v180, v181 dst_sel:BYTE_1 dst_unused:UNUSED_PAD src0_sel:BYTE_1 src1_sel:BYTE_1
	v_sub_u16_sdwa v179, v179, v181 dst_sel:BYTE_1 dst_unused:UNUSED_PAD src0_sel:DWORD src1_sel:BYTE_3
	v_sub_u16_sdwa v180, v180, v181 dst_sel:DWORD dst_unused:UNUSED_PAD src0_sel:WORD_1 src1_sel:WORD_1
	v_or_b32_sdwa v182, v182, v183 dst_sel:DWORD dst_unused:UNUSED_PAD src0_sel:BYTE_0 src1_sel:DWORD
	v_or_b32_sdwa v179, v180, v179 dst_sel:WORD_1 dst_unused:UNUSED_PAD src0_sel:BYTE_0 src1_sel:DWORD
	v_or_b32_sdwa v179, v182, v179 dst_sel:DWORD dst_unused:UNUSED_PAD src0_sel:WORD_0 src1_sel:DWORD
	v_add_u32_e32 v182, 0x4208, v188
	ds_read2_b32 v[180:181], v87 offset0:2 offset1:3
	ds_read2_b32 v[182:183], v182 offset1:1
	s_waitcnt lgkmcnt(1)
	v_ashrrev_i32_e32 v180, s22, v180
	s_waitcnt lgkmcnt(0)
	v_ashrrev_i32_e32 v182, s18, v182
	v_lshlrev_b32_e32 v182, 2, v182
	v_and_b32_e32 v184, 0x3030303, v180
	v_bfe_u32 v180, v180, 24, 2
	v_and_b32_e32 v182, 0x4040404, v182
	v_ashrrev_i32_e32 v183, s18, v183
	v_sub_u16_e32 v185, v184, v182
	v_sub_u16_sdwa v186, v184, v182 dst_sel:BYTE_1 dst_unused:UNUSED_PAD src0_sel:BYTE_1 src1_sel:BYTE_1
	v_sub_u16_sdwa v180, v180, v182 dst_sel:BYTE_1 dst_unused:UNUSED_PAD src0_sel:DWORD src1_sel:BYTE_3
	v_sub_u16_sdwa v182, v184, v182 dst_sel:DWORD dst_unused:UNUSED_PAD src0_sel:WORD_1 src1_sel:WORD_1
	v_ashrrev_i32_e32 v181, s22, v181
	v_lshlrev_b32_e32 v183, 2, v183
	v_or_b32_sdwa v185, v185, v186 dst_sel:DWORD dst_unused:UNUSED_PAD src0_sel:BYTE_0 src1_sel:DWORD
	v_or_b32_sdwa v180, v182, v180 dst_sel:WORD_1 dst_unused:UNUSED_PAD src0_sel:BYTE_0 src1_sel:DWORD
	v_and_b32_e32 v182, 0x3030303, v181
	v_bfe_u32 v181, v181, 24, 2
	v_and_b32_e32 v183, 0x4040404, v183
	v_or_b32_sdwa v180, v185, v180 dst_sel:DWORD dst_unused:UNUSED_PAD src0_sel:WORD_0 src1_sel:DWORD
	v_sub_u16_e32 v184, v182, v183
	v_sub_u16_sdwa v185, v182, v183 dst_sel:BYTE_1 dst_unused:UNUSED_PAD src0_sel:BYTE_1 src1_sel:BYTE_1
	v_sub_u16_sdwa v181, v181, v183 dst_sel:BYTE_1 dst_unused:UNUSED_PAD src0_sel:DWORD src1_sel:BYTE_3
	v_sub_u16_sdwa v182, v182, v183 dst_sel:DWORD dst_unused:UNUSED_PAD src0_sel:WORD_1 src1_sel:WORD_1
	v_or_b32_sdwa v184, v184, v185 dst_sel:DWORD dst_unused:UNUSED_PAD src0_sel:BYTE_0 src1_sel:DWORD
	v_or_b32_sdwa v181, v182, v181 dst_sel:WORD_1 dst_unused:UNUSED_PAD src0_sel:BYTE_0 src1_sel:DWORD
	v_or_b32_sdwa v181, v184, v181 dst_sel:DWORD dst_unused:UNUSED_PAD src0_sel:WORD_0 src1_sel:DWORD
	v_add_u32_e32 v184, 0x4210, v188
	ds_read2_b32 v[182:183], v87 offset0:4 offset1:5
	ds_read2_b32 v[184:185], v184 offset1:1
	s_waitcnt lgkmcnt(1)
	v_ashrrev_i32_e32 v182, s22, v182
	s_waitcnt lgkmcnt(0)
	v_ashrrev_i32_e32 v184, s18, v184
	v_lshlrev_b32_e32 v184, 2, v184
	v_and_b32_e32 v186, 0x3030303, v182
	v_bfe_u32 v182, v182, 24, 2
	v_and_b32_e32 v184, 0x4040404, v184
	v_ashrrev_i32_e32 v185, s18, v185
	v_sub_u16_e32 v187, v186, v184
	v_sub_u16_sdwa v189, v186, v184 dst_sel:BYTE_1 dst_unused:UNUSED_PAD src0_sel:BYTE_1 src1_sel:BYTE_1
	v_sub_u16_sdwa v182, v182, v184 dst_sel:BYTE_1 dst_unused:UNUSED_PAD src0_sel:DWORD src1_sel:BYTE_3
	v_sub_u16_sdwa v184, v186, v184 dst_sel:DWORD dst_unused:UNUSED_PAD src0_sel:WORD_1 src1_sel:WORD_1
	v_ashrrev_i32_e32 v183, s22, v183
	v_lshlrev_b32_e32 v185, 2, v185
	v_or_b32_sdwa v187, v187, v189 dst_sel:DWORD dst_unused:UNUSED_PAD src0_sel:BYTE_0 src1_sel:DWORD
	v_or_b32_sdwa v182, v184, v182 dst_sel:WORD_1 dst_unused:UNUSED_PAD src0_sel:BYTE_0 src1_sel:DWORD
	v_and_b32_e32 v184, 0x3030303, v183
	v_bfe_u32 v183, v183, 24, 2
	v_and_b32_e32 v185, 0x4040404, v185
	v_or_b32_sdwa v182, v187, v182 dst_sel:DWORD dst_unused:UNUSED_PAD src0_sel:WORD_0 src1_sel:DWORD
	v_sub_u16_e32 v186, v184, v185
	v_sub_u16_sdwa v187, v184, v185 dst_sel:BYTE_1 dst_unused:UNUSED_PAD src0_sel:BYTE_1 src1_sel:BYTE_1
	v_sub_u16_sdwa v183, v183, v185 dst_sel:BYTE_1 dst_unused:UNUSED_PAD src0_sel:DWORD src1_sel:BYTE_3
	v_sub_u16_sdwa v184, v184, v185 dst_sel:DWORD dst_unused:UNUSED_PAD src0_sel:WORD_1 src1_sel:WORD_1
	v_or_b32_sdwa v186, v186, v187 dst_sel:DWORD dst_unused:UNUSED_PAD src0_sel:BYTE_0 src1_sel:DWORD
	v_or_b32_sdwa v183, v184, v183 dst_sel:WORD_1 dst_unused:UNUSED_PAD src0_sel:BYTE_0 src1_sel:DWORD
	v_add_u32_e32 v185, 0x4218, v188
	v_or_b32_sdwa v184, v186, v183 dst_sel:DWORD dst_unused:UNUSED_PAD src0_sel:WORD_0 src1_sel:DWORD
	ds_read2_b32 v[186:187], v87 offset0:6 offset1:7
	ds_read2_b32 v[188:189], v185 offset1:1
	s_waitcnt lgkmcnt(1)
	v_ashrrev_i32_e32 v87, s22, v186
	s_waitcnt lgkmcnt(0)
	v_ashrrev_i32_e32 v185, s18, v188
	v_lshlrev_b32_e32 v185, 2, v185
	v_and_b32_e32 v183, 0x3030303, v87
	v_bfe_u32 v87, v87, 24, 2
	v_and_b32_e32 v185, 0x4040404, v185
	v_sub_u16_e32 v186, v183, v185
	v_sub_u16_sdwa v188, v183, v185 dst_sel:BYTE_1 dst_unused:UNUSED_PAD src0_sel:BYTE_1 src1_sel:BYTE_1
	v_sub_u16_sdwa v87, v87, v185 dst_sel:BYTE_1 dst_unused:UNUSED_PAD src0_sel:DWORD src1_sel:BYTE_3
	v_sub_u16_sdwa v183, v183, v185 dst_sel:DWORD dst_unused:UNUSED_PAD src0_sel:WORD_1 src1_sel:WORD_1
	v_or_b32_sdwa v186, v186, v188 dst_sel:DWORD dst_unused:UNUSED_PAD src0_sel:BYTE_0 src1_sel:DWORD
	v_or_b32_sdwa v87, v183, v87 dst_sel:WORD_1 dst_unused:UNUSED_PAD src0_sel:BYTE_0 src1_sel:DWORD
	v_or_b32_sdwa v185, v186, v87 dst_sel:DWORD dst_unused:UNUSED_PAD src0_sel:WORD_0 src1_sel:DWORD
	v_ashrrev_i32_e32 v186, s18, v189
	v_ashrrev_i32_e32 v87, s22, v187
	v_lshlrev_b32_e32 v186, 2, v186
	v_and_b32_e32 v183, 0x3030303, v87
	v_bfe_u32 v87, v87, 24, 2
	v_and_b32_e32 v186, 0x4040404, v186
	v_sub_u16_e32 v187, v183, v186
	v_sub_u16_sdwa v188, v183, v186 dst_sel:BYTE_1 dst_unused:UNUSED_PAD src0_sel:BYTE_1 src1_sel:BYTE_1
	v_sub_u16_sdwa v87, v87, v186 dst_sel:BYTE_1 dst_unused:UNUSED_PAD src0_sel:DWORD src1_sel:BYTE_3
	v_sub_u16_sdwa v183, v183, v186 dst_sel:DWORD dst_unused:UNUSED_PAD src0_sel:WORD_1 src1_sel:WORD_1
	v_or_b32_sdwa v187, v187, v188 dst_sel:DWORD dst_unused:UNUSED_PAD src0_sel:BYTE_0 src1_sel:DWORD
	v_or_b32_sdwa v87, v183, v87 dst_sel:WORD_1 dst_unused:UNUSED_PAD src0_sel:BYTE_0 src1_sel:DWORD
	v_or_b32_sdwa v186, v187, v87 dst_sel:DWORD dst_unused:UNUSED_PAD src0_sel:WORD_0 src1_sel:DWORD
	v_add3_u32 v87, v144, s21, v86
	v_add_u32_e32 v183, s25, v131
	ds_read_b32 v183, v183
	ds_read_u16 v87, v87 offset:9218
	v_mov_b32_e32 v188, 0
	v_dot4c_i32_i8_e32 v188, v177, v4
	v_dot4c_i32_i8_e32 v188, v179, v5
	;; [unrolled: 1-line block ×3, first 2 shown]
	s_waitcnt lgkmcnt(0)
	v_lshrrev_b16_e32 v189, 8, v87
	v_bfe_i32 v187, v87, 0, 8
	v_mov_b32_e32 v87, 0
	v_dot4c_i32_i8_e32 v87, v182, v0
	v_dot4c_i32_i8_e32 v87, v184, v1
	;; [unrolled: 1-line block ×5, first 2 shown]
	v_bfe_i32 v189, v189, 0, 8
	v_mul_lo_u32 v188, v188, v187
	s_nop 0
	v_mad_u64_u32 v[190:191], s[26:27], v87, v189, v[188:189]
	v_cvt_f32_i32_e32 v188, v190
	v_mul_f32_e32 v87, v84, v183
	v_fmac_f32_e32 v109, v87, v188
	v_add_u32_e32 v87, s24, v133
	ds_read2_b32 v[190:191], v87 offset1:1
	s_waitcnt lgkmcnt(0)
	v_ashrrev_i32_e32 v188, s22, v190
	v_and_b32_e32 v190, 0x3030303, v188
	v_bfe_u32 v188, v188, 24, 2
	v_sub_u16_e32 v194, v190, v192
	v_sub_u16_sdwa v195, v190, v192 dst_sel:BYTE_1 dst_unused:UNUSED_PAD src0_sel:BYTE_1 src1_sel:BYTE_1
	v_sub_u16_sdwa v188, v188, v192 dst_sel:BYTE_1 dst_unused:UNUSED_PAD src0_sel:DWORD src1_sel:BYTE_3
	v_sub_u16_sdwa v190, v190, v192 dst_sel:DWORD dst_unused:UNUSED_PAD src0_sel:WORD_1 src1_sel:WORD_1
	v_ashrrev_i32_e32 v192, s18, v193
	v_or_b32_sdwa v188, v190, v188 dst_sel:WORD_1 dst_unused:UNUSED_PAD src0_sel:BYTE_0 src1_sel:DWORD
	v_ashrrev_i32_e32 v190, s22, v191
	v_lshlrev_b32_e32 v192, 2, v192
	v_or_b32_sdwa v194, v194, v195 dst_sel:DWORD dst_unused:UNUSED_PAD src0_sel:BYTE_0 src1_sel:DWORD
	v_and_b32_e32 v191, 0x3030303, v190
	v_bfe_u32 v190, v190, 24, 2
	v_and_b32_e32 v192, 0x4040404, v192
	v_or_b32_sdwa v188, v194, v188 dst_sel:DWORD dst_unused:UNUSED_PAD src0_sel:WORD_0 src1_sel:DWORD
	v_sub_u16_e32 v193, v191, v192
	v_sub_u16_sdwa v194, v191, v192 dst_sel:BYTE_1 dst_unused:UNUSED_PAD src0_sel:BYTE_1 src1_sel:BYTE_1
	v_sub_u16_sdwa v190, v190, v192 dst_sel:BYTE_1 dst_unused:UNUSED_PAD src0_sel:DWORD src1_sel:BYTE_3
	v_sub_u16_sdwa v191, v191, v192 dst_sel:DWORD dst_unused:UNUSED_PAD src0_sel:WORD_1 src1_sel:WORD_1
	v_or_b32_sdwa v193, v193, v194 dst_sel:DWORD dst_unused:UNUSED_PAD src0_sel:BYTE_0 src1_sel:DWORD
	v_or_b32_sdwa v190, v191, v190 dst_sel:WORD_1 dst_unused:UNUSED_PAD src0_sel:BYTE_0 src1_sel:DWORD
	v_add_u32_e32 v194, 0x4208, v198
	v_or_b32_sdwa v190, v193, v190 dst_sel:DWORD dst_unused:UNUSED_PAD src0_sel:WORD_0 src1_sel:DWORD
	ds_read2_b32 v[192:193], v87 offset0:2 offset1:3
	ds_read2_b32 v[194:195], v194 offset1:1
	s_waitcnt lgkmcnt(1)
	v_ashrrev_i32_e32 v191, s22, v192
	s_waitcnt lgkmcnt(0)
	v_ashrrev_i32_e32 v194, s18, v194
	v_lshlrev_b32_e32 v194, 2, v194
	v_and_b32_e32 v192, 0x3030303, v191
	v_bfe_u32 v191, v191, 24, 2
	v_and_b32_e32 v194, 0x4040404, v194
	v_sub_u16_e32 v196, v192, v194
	v_sub_u16_sdwa v197, v192, v194 dst_sel:BYTE_1 dst_unused:UNUSED_PAD src0_sel:BYTE_1 src1_sel:BYTE_1
	v_sub_u16_sdwa v191, v191, v194 dst_sel:BYTE_1 dst_unused:UNUSED_PAD src0_sel:DWORD src1_sel:BYTE_3
	v_sub_u16_sdwa v192, v192, v194 dst_sel:DWORD dst_unused:UNUSED_PAD src0_sel:WORD_1 src1_sel:WORD_1
	v_ashrrev_i32_e32 v194, s18, v195
	v_or_b32_sdwa v191, v192, v191 dst_sel:WORD_1 dst_unused:UNUSED_PAD src0_sel:BYTE_0 src1_sel:DWORD
	v_ashrrev_i32_e32 v192, s22, v193
	v_lshlrev_b32_e32 v194, 2, v194
	v_or_b32_sdwa v196, v196, v197 dst_sel:DWORD dst_unused:UNUSED_PAD src0_sel:BYTE_0 src1_sel:DWORD
	v_and_b32_e32 v193, 0x3030303, v192
	v_bfe_u32 v192, v192, 24, 2
	v_and_b32_e32 v194, 0x4040404, v194
	v_or_b32_sdwa v191, v196, v191 dst_sel:DWORD dst_unused:UNUSED_PAD src0_sel:WORD_0 src1_sel:DWORD
	v_sub_u16_e32 v195, v193, v194
	v_sub_u16_sdwa v196, v193, v194 dst_sel:BYTE_1 dst_unused:UNUSED_PAD src0_sel:BYTE_1 src1_sel:BYTE_1
	v_sub_u16_sdwa v192, v192, v194 dst_sel:BYTE_1 dst_unused:UNUSED_PAD src0_sel:DWORD src1_sel:BYTE_3
	v_sub_u16_sdwa v193, v193, v194 dst_sel:DWORD dst_unused:UNUSED_PAD src0_sel:WORD_1 src1_sel:WORD_1
	v_or_b32_sdwa v195, v195, v196 dst_sel:DWORD dst_unused:UNUSED_PAD src0_sel:BYTE_0 src1_sel:DWORD
	v_or_b32_sdwa v192, v193, v192 dst_sel:WORD_1 dst_unused:UNUSED_PAD src0_sel:BYTE_0 src1_sel:DWORD
	v_add_u32_e32 v196, 0x4210, v198
	v_or_b32_sdwa v192, v195, v192 dst_sel:DWORD dst_unused:UNUSED_PAD src0_sel:WORD_0 src1_sel:DWORD
	ds_read2_b32 v[194:195], v87 offset0:4 offset1:5
	ds_read2_b32 v[196:197], v196 offset1:1
	s_waitcnt lgkmcnt(1)
	v_ashrrev_i32_e32 v193, s22, v194
	s_waitcnt lgkmcnt(0)
	v_ashrrev_i32_e32 v196, s18, v196
	v_lshlrev_b32_e32 v196, 2, v196
	v_and_b32_e32 v194, 0x3030303, v193
	v_bfe_u32 v193, v193, 24, 2
	v_and_b32_e32 v196, 0x4040404, v196
	v_sub_u16_e32 v199, v194, v196
	v_sub_u16_sdwa v200, v194, v196 dst_sel:BYTE_1 dst_unused:UNUSED_PAD src0_sel:BYTE_1 src1_sel:BYTE_1
	v_sub_u16_sdwa v193, v193, v196 dst_sel:BYTE_1 dst_unused:UNUSED_PAD src0_sel:DWORD src1_sel:BYTE_3
	v_sub_u16_sdwa v194, v194, v196 dst_sel:DWORD dst_unused:UNUSED_PAD src0_sel:WORD_1 src1_sel:WORD_1
	v_ashrrev_i32_e32 v196, s18, v197
	v_or_b32_sdwa v193, v194, v193 dst_sel:WORD_1 dst_unused:UNUSED_PAD src0_sel:BYTE_0 src1_sel:DWORD
	v_ashrrev_i32_e32 v194, s22, v195
	v_lshlrev_b32_e32 v196, 2, v196
	v_or_b32_sdwa v199, v199, v200 dst_sel:DWORD dst_unused:UNUSED_PAD src0_sel:BYTE_0 src1_sel:DWORD
	v_and_b32_e32 v195, 0x3030303, v194
	v_bfe_u32 v194, v194, 24, 2
	v_and_b32_e32 v196, 0x4040404, v196
	v_or_b32_sdwa v193, v199, v193 dst_sel:DWORD dst_unused:UNUSED_PAD src0_sel:WORD_0 src1_sel:DWORD
	v_sub_u16_e32 v197, v195, v196
	v_sub_u16_sdwa v199, v195, v196 dst_sel:BYTE_1 dst_unused:UNUSED_PAD src0_sel:BYTE_1 src1_sel:BYTE_1
	v_sub_u16_sdwa v194, v194, v196 dst_sel:BYTE_1 dst_unused:UNUSED_PAD src0_sel:DWORD src1_sel:BYTE_3
	v_sub_u16_sdwa v195, v195, v196 dst_sel:DWORD dst_unused:UNUSED_PAD src0_sel:WORD_1 src1_sel:WORD_1
	v_or_b32_sdwa v197, v197, v199 dst_sel:DWORD dst_unused:UNUSED_PAD src0_sel:BYTE_0 src1_sel:DWORD
	v_or_b32_sdwa v194, v195, v194 dst_sel:WORD_1 dst_unused:UNUSED_PAD src0_sel:BYTE_0 src1_sel:DWORD
	v_or_b32_sdwa v195, v197, v194 dst_sel:DWORD dst_unused:UNUSED_PAD src0_sel:WORD_0 src1_sel:DWORD
	ds_read2_b32 v[196:197], v87 offset0:6 offset1:7
	s_waitcnt lgkmcnt(0)
	v_ashrrev_i32_e32 v87, s22, v196
	v_add_u32_e32 v196, 0x4218, v198
	ds_read2_b32 v[198:199], v196 offset1:1
	v_and_b32_e32 v194, 0x3030303, v87
	v_bfe_u32 v87, v87, 24, 2
	s_waitcnt lgkmcnt(0)
	v_ashrrev_i32_e32 v196, s18, v198
	v_lshlrev_b32_e32 v196, 2, v196
	v_and_b32_e32 v196, 0x4040404, v196
	v_sub_u16_e32 v198, v194, v196
	v_sub_u16_sdwa v200, v194, v196 dst_sel:BYTE_1 dst_unused:UNUSED_PAD src0_sel:BYTE_1 src1_sel:BYTE_1
	v_sub_u16_sdwa v87, v87, v196 dst_sel:BYTE_1 dst_unused:UNUSED_PAD src0_sel:DWORD src1_sel:BYTE_3
	v_sub_u16_sdwa v194, v194, v196 dst_sel:DWORD dst_unused:UNUSED_PAD src0_sel:WORD_1 src1_sel:WORD_1
	v_or_b32_sdwa v198, v198, v200 dst_sel:DWORD dst_unused:UNUSED_PAD src0_sel:BYTE_0 src1_sel:DWORD
	v_or_b32_sdwa v87, v194, v87 dst_sel:WORD_1 dst_unused:UNUSED_PAD src0_sel:BYTE_0 src1_sel:DWORD
	v_or_b32_sdwa v196, v198, v87 dst_sel:DWORD dst_unused:UNUSED_PAD src0_sel:WORD_0 src1_sel:DWORD
	v_ashrrev_i32_e32 v87, s22, v197
	v_ashrrev_i32_e32 v197, s18, v199
	v_lshlrev_b32_e32 v197, 2, v197
	v_and_b32_e32 v194, 0x3030303, v87
	v_bfe_u32 v87, v87, 24, 2
	v_and_b32_e32 v197, 0x4040404, v197
	v_sub_u16_e32 v198, v194, v197
	v_sub_u16_sdwa v199, v194, v197 dst_sel:BYTE_1 dst_unused:UNUSED_PAD src0_sel:BYTE_1 src1_sel:BYTE_1
	v_sub_u16_sdwa v87, v87, v197 dst_sel:BYTE_1 dst_unused:UNUSED_PAD src0_sel:DWORD src1_sel:BYTE_3
	v_sub_u16_sdwa v194, v194, v197 dst_sel:DWORD dst_unused:UNUSED_PAD src0_sel:WORD_1 src1_sel:WORD_1
	v_or_b32_sdwa v198, v198, v199 dst_sel:DWORD dst_unused:UNUSED_PAD src0_sel:BYTE_0 src1_sel:DWORD
	v_or_b32_sdwa v87, v194, v87 dst_sel:WORD_1 dst_unused:UNUSED_PAD src0_sel:BYTE_0 src1_sel:DWORD
	v_or_b32_sdwa v197, v198, v87 dst_sel:DWORD dst_unused:UNUSED_PAD src0_sel:WORD_0 src1_sel:DWORD
	v_add3_u32 v87, v146, s21, v86
	v_add_u32_e32 v194, s25, v134
	ds_read_b32 v194, v194
	ds_read_u16 v87, v87 offset:10242
	v_mov_b32_e32 v199, 0
	v_dot4c_i32_i8_e32 v199, v188, v4
	v_dot4c_i32_i8_e32 v199, v190, v5
	;; [unrolled: 1-line block ×3, first 2 shown]
	s_waitcnt lgkmcnt(0)
	v_lshrrev_b16_e32 v200, 8, v87
	v_bfe_i32 v198, v87, 0, 8
	v_mov_b32_e32 v87, 0
	v_dot4c_i32_i8_e32 v87, v193, v0
	v_dot4c_i32_i8_e32 v87, v195, v1
	;; [unrolled: 1-line block ×5, first 2 shown]
	v_bfe_i32 v200, v200, 0, 8
	v_mul_lo_u32 v202, v199, v198
	v_add3_u32 v86, v148, s21, v86
	v_mad_u64_u32 v[202:203], s[26:27], v87, v200, v[202:203]
	v_cvt_f32_i32_e32 v199, v202
	v_mul_f32_e32 v87, v84, v194
	s_mov_b32 s21, s20
	v_fmac_f32_e32 v104, v87, v199
	v_add_u32_e32 v87, s24, v136
	ds_read2_b32 v[202:203], v87 offset1:1
	s_waitcnt lgkmcnt(0)
	v_ashrrev_i32_e32 v199, s22, v202
	v_add_u32_e32 v202, 0x4200, v210
	ds_read2_b32 v[204:205], v202 offset1:1
	v_and_b32_e32 v201, 0x3030303, v199
	v_bfe_u32 v199, v199, 24, 2
	s_waitcnt lgkmcnt(0)
	v_ashrrev_i32_e32 v202, s18, v204
	v_lshlrev_b32_e32 v202, 2, v202
	v_and_b32_e32 v202, 0x4040404, v202
	v_sub_u16_e32 v204, v201, v202
	v_sub_u16_sdwa v206, v201, v202 dst_sel:BYTE_1 dst_unused:UNUSED_PAD src0_sel:BYTE_1 src1_sel:BYTE_1
	v_sub_u16_sdwa v199, v199, v202 dst_sel:BYTE_1 dst_unused:UNUSED_PAD src0_sel:DWORD src1_sel:BYTE_3
	v_sub_u16_sdwa v201, v201, v202 dst_sel:DWORD dst_unused:UNUSED_PAD src0_sel:WORD_1 src1_sel:WORD_1
	v_or_b32_sdwa v199, v201, v199 dst_sel:WORD_1 dst_unused:UNUSED_PAD src0_sel:BYTE_0 src1_sel:DWORD
	v_ashrrev_i32_e32 v201, s22, v203
	v_ashrrev_i32_e32 v203, s18, v205
	v_lshlrev_b32_e32 v203, 2, v203
	v_or_b32_sdwa v204, v204, v206 dst_sel:DWORD dst_unused:UNUSED_PAD src0_sel:BYTE_0 src1_sel:DWORD
	v_and_b32_e32 v202, 0x3030303, v201
	v_bfe_u32 v201, v201, 24, 2
	v_and_b32_e32 v203, 0x4040404, v203
	v_or_b32_sdwa v199, v204, v199 dst_sel:DWORD dst_unused:UNUSED_PAD src0_sel:WORD_0 src1_sel:DWORD
	v_sub_u16_e32 v204, v202, v203
	v_sub_u16_sdwa v205, v202, v203 dst_sel:BYTE_1 dst_unused:UNUSED_PAD src0_sel:BYTE_1 src1_sel:BYTE_1
	v_sub_u16_sdwa v201, v201, v203 dst_sel:BYTE_1 dst_unused:UNUSED_PAD src0_sel:DWORD src1_sel:BYTE_3
	v_sub_u16_sdwa v202, v202, v203 dst_sel:DWORD dst_unused:UNUSED_PAD src0_sel:WORD_1 src1_sel:WORD_1
	v_or_b32_sdwa v204, v204, v205 dst_sel:DWORD dst_unused:UNUSED_PAD src0_sel:BYTE_0 src1_sel:DWORD
	v_or_b32_sdwa v201, v202, v201 dst_sel:WORD_1 dst_unused:UNUSED_PAD src0_sel:BYTE_0 src1_sel:DWORD
	v_or_b32_sdwa v201, v204, v201 dst_sel:DWORD dst_unused:UNUSED_PAD src0_sel:WORD_0 src1_sel:DWORD
	v_add_u32_e32 v204, 0x4208, v210
	ds_read2_b32 v[202:203], v87 offset0:2 offset1:3
	ds_read2_b32 v[204:205], v204 offset1:1
	s_waitcnt lgkmcnt(1)
	v_ashrrev_i32_e32 v202, s22, v202
	s_waitcnt lgkmcnt(0)
	v_ashrrev_i32_e32 v204, s18, v204
	v_lshlrev_b32_e32 v204, 2, v204
	v_and_b32_e32 v206, 0x3030303, v202
	v_bfe_u32 v202, v202, 24, 2
	v_and_b32_e32 v204, 0x4040404, v204
	v_ashrrev_i32_e32 v205, s18, v205
	v_sub_u16_e32 v207, v206, v204
	v_sub_u16_sdwa v208, v206, v204 dst_sel:BYTE_1 dst_unused:UNUSED_PAD src0_sel:BYTE_1 src1_sel:BYTE_1
	v_sub_u16_sdwa v202, v202, v204 dst_sel:BYTE_1 dst_unused:UNUSED_PAD src0_sel:DWORD src1_sel:BYTE_3
	v_sub_u16_sdwa v204, v206, v204 dst_sel:DWORD dst_unused:UNUSED_PAD src0_sel:WORD_1 src1_sel:WORD_1
	v_ashrrev_i32_e32 v203, s22, v203
	v_lshlrev_b32_e32 v205, 2, v205
	v_or_b32_sdwa v207, v207, v208 dst_sel:DWORD dst_unused:UNUSED_PAD src0_sel:BYTE_0 src1_sel:DWORD
	v_or_b32_sdwa v202, v204, v202 dst_sel:WORD_1 dst_unused:UNUSED_PAD src0_sel:BYTE_0 src1_sel:DWORD
	v_and_b32_e32 v204, 0x3030303, v203
	v_bfe_u32 v203, v203, 24, 2
	v_and_b32_e32 v205, 0x4040404, v205
	v_or_b32_sdwa v202, v207, v202 dst_sel:DWORD dst_unused:UNUSED_PAD src0_sel:WORD_0 src1_sel:DWORD
	v_sub_u16_e32 v206, v204, v205
	v_sub_u16_sdwa v207, v204, v205 dst_sel:BYTE_1 dst_unused:UNUSED_PAD src0_sel:BYTE_1 src1_sel:BYTE_1
	v_sub_u16_sdwa v203, v203, v205 dst_sel:BYTE_1 dst_unused:UNUSED_PAD src0_sel:DWORD src1_sel:BYTE_3
	v_sub_u16_sdwa v204, v204, v205 dst_sel:DWORD dst_unused:UNUSED_PAD src0_sel:WORD_1 src1_sel:WORD_1
	v_or_b32_sdwa v206, v206, v207 dst_sel:DWORD dst_unused:UNUSED_PAD src0_sel:BYTE_0 src1_sel:DWORD
	v_or_b32_sdwa v203, v204, v203 dst_sel:WORD_1 dst_unused:UNUSED_PAD src0_sel:BYTE_0 src1_sel:DWORD
	v_or_b32_sdwa v203, v206, v203 dst_sel:DWORD dst_unused:UNUSED_PAD src0_sel:WORD_0 src1_sel:DWORD
	v_add_u32_e32 v206, 0x4210, v210
	ds_read2_b32 v[204:205], v87 offset0:4 offset1:5
	ds_read2_b32 v[206:207], v206 offset1:1
	s_waitcnt lgkmcnt(1)
	v_ashrrev_i32_e32 v204, s22, v204
	s_waitcnt lgkmcnt(0)
	v_ashrrev_i32_e32 v206, s18, v206
	v_lshlrev_b32_e32 v206, 2, v206
	v_and_b32_e32 v208, 0x3030303, v204
	v_bfe_u32 v204, v204, 24, 2
	v_and_b32_e32 v206, 0x4040404, v206
	v_ashrrev_i32_e32 v207, s18, v207
	v_sub_u16_e32 v209, v208, v206
	v_sub_u16_sdwa v211, v208, v206 dst_sel:BYTE_1 dst_unused:UNUSED_PAD src0_sel:BYTE_1 src1_sel:BYTE_1
	v_sub_u16_sdwa v204, v204, v206 dst_sel:BYTE_1 dst_unused:UNUSED_PAD src0_sel:DWORD src1_sel:BYTE_3
	v_sub_u16_sdwa v206, v208, v206 dst_sel:DWORD dst_unused:UNUSED_PAD src0_sel:WORD_1 src1_sel:WORD_1
	v_ashrrev_i32_e32 v205, s22, v205
	v_lshlrev_b32_e32 v207, 2, v207
	v_or_b32_sdwa v209, v209, v211 dst_sel:DWORD dst_unused:UNUSED_PAD src0_sel:BYTE_0 src1_sel:DWORD
	v_or_b32_sdwa v204, v206, v204 dst_sel:WORD_1 dst_unused:UNUSED_PAD src0_sel:BYTE_0 src1_sel:DWORD
	v_and_b32_e32 v206, 0x3030303, v205
	v_bfe_u32 v205, v205, 24, 2
	v_and_b32_e32 v207, 0x4040404, v207
	v_or_b32_sdwa v204, v209, v204 dst_sel:DWORD dst_unused:UNUSED_PAD src0_sel:WORD_0 src1_sel:DWORD
	v_sub_u16_e32 v208, v206, v207
	v_sub_u16_sdwa v209, v206, v207 dst_sel:BYTE_1 dst_unused:UNUSED_PAD src0_sel:BYTE_1 src1_sel:BYTE_1
	v_sub_u16_sdwa v205, v205, v207 dst_sel:BYTE_1 dst_unused:UNUSED_PAD src0_sel:DWORD src1_sel:BYTE_3
	v_sub_u16_sdwa v206, v206, v207 dst_sel:DWORD dst_unused:UNUSED_PAD src0_sel:WORD_1 src1_sel:WORD_1
	v_or_b32_sdwa v208, v208, v209 dst_sel:DWORD dst_unused:UNUSED_PAD src0_sel:BYTE_0 src1_sel:DWORD
	v_or_b32_sdwa v205, v206, v205 dst_sel:WORD_1 dst_unused:UNUSED_PAD src0_sel:BYTE_0 src1_sel:DWORD
	v_add_u32_e32 v207, 0x4218, v210
	v_or_b32_sdwa v206, v208, v205 dst_sel:DWORD dst_unused:UNUSED_PAD src0_sel:WORD_0 src1_sel:DWORD
	ds_read2_b32 v[208:209], v87 offset0:6 offset1:7
	ds_read2_b32 v[210:211], v207 offset1:1
	s_waitcnt lgkmcnt(1)
	v_ashrrev_i32_e32 v87, s22, v208
	s_waitcnt lgkmcnt(0)
	v_ashrrev_i32_e32 v207, s18, v210
	v_lshlrev_b32_e32 v207, 2, v207
	v_and_b32_e32 v205, 0x3030303, v87
	v_bfe_u32 v87, v87, 24, 2
	v_and_b32_e32 v207, 0x4040404, v207
	v_sub_u16_e32 v208, v205, v207
	v_sub_u16_sdwa v210, v205, v207 dst_sel:BYTE_1 dst_unused:UNUSED_PAD src0_sel:BYTE_1 src1_sel:BYTE_1
	v_sub_u16_sdwa v87, v87, v207 dst_sel:BYTE_1 dst_unused:UNUSED_PAD src0_sel:DWORD src1_sel:BYTE_3
	v_sub_u16_sdwa v205, v205, v207 dst_sel:DWORD dst_unused:UNUSED_PAD src0_sel:WORD_1 src1_sel:WORD_1
	v_or_b32_sdwa v208, v208, v210 dst_sel:DWORD dst_unused:UNUSED_PAD src0_sel:BYTE_0 src1_sel:DWORD
	v_or_b32_sdwa v87, v205, v87 dst_sel:WORD_1 dst_unused:UNUSED_PAD src0_sel:BYTE_0 src1_sel:DWORD
	v_or_b32_sdwa v207, v208, v87 dst_sel:DWORD dst_unused:UNUSED_PAD src0_sel:WORD_0 src1_sel:DWORD
	v_ashrrev_i32_e32 v208, s18, v211
	v_ashrrev_i32_e32 v87, s22, v209
	v_lshlrev_b32_e32 v208, 2, v208
	v_and_b32_e32 v205, 0x3030303, v87
	v_bfe_u32 v87, v87, 24, 2
	v_and_b32_e32 v208, 0x4040404, v208
	v_sub_u16_e32 v209, v205, v208
	v_sub_u16_sdwa v210, v205, v208 dst_sel:BYTE_1 dst_unused:UNUSED_PAD src0_sel:BYTE_1 src1_sel:BYTE_1
	v_sub_u16_sdwa v87, v87, v208 dst_sel:BYTE_1 dst_unused:UNUSED_PAD src0_sel:DWORD src1_sel:BYTE_3
	v_sub_u16_sdwa v205, v205, v208 dst_sel:DWORD dst_unused:UNUSED_PAD src0_sel:WORD_1 src1_sel:WORD_1
	v_or_b32_sdwa v209, v209, v210 dst_sel:DWORD dst_unused:UNUSED_PAD src0_sel:BYTE_0 src1_sel:DWORD
	v_or_b32_sdwa v87, v205, v87 dst_sel:WORD_1 dst_unused:UNUSED_PAD src0_sel:BYTE_0 src1_sel:DWORD
	v_or_b32_sdwa v208, v209, v87 dst_sel:DWORD dst_unused:UNUSED_PAD src0_sel:WORD_0 src1_sel:DWORD
	v_add_u32_e32 v87, s25, v137
	ds_read_b32 v205, v87
	v_mov_b32_e32 v87, 0
	v_dot4c_i32_i8_e32 v87, v199, v4
	ds_read_u16 v4, v86 offset:11266
	v_dot4c_i32_i8_e32 v87, v201, v5
	v_dot4c_i32_i8_e32 v87, v202, v6
	v_mov_b32_e32 v6, 0
	v_dot4c_i32_i8_e32 v6, v204, v0
	v_dot4c_i32_i8_e32 v6, v206, v1
	;; [unrolled: 1-line block ×3, first 2 shown]
	s_waitcnt lgkmcnt(0)
	v_lshrrev_b16_e32 v5, 8, v4
	v_bfe_i32 v209, v4, 0, 8
	v_dot4c_i32_i8_e32 v6, v207, v2
	v_mul_lo_u32 v4, v87, v209
	v_dot4c_i32_i8_e32 v6, v208, v3
	v_bfe_i32 v210, v5, 0, 8
	v_mov_b32_e32 v86, 0
	s_add_i32 s18, s18, 1
	v_mad_u64_u32 v[0:1], s[22:23], v6, v210, v[4:5]
	v_cvt_f32_i32_e32 v0, v0
	v_mul_f32_e32 v1, v84, v205
	v_mov_b32_e32 v84, 0
	s_cmp_lt_u32 s20, 14
	v_fmac_f32_e32 v103, v1, v0
	ds_read_b128 v[0:3], v165 offset:26368
	ds_read_b128 v[4:7], v165 offset:26384
	s_waitcnt lgkmcnt(1)
	v_dot4c_i32_i8_e32 v84, v167, v0
	v_dot4c_i32_i8_e32 v84, v168, v1
	s_waitcnt lgkmcnt(0)
	v_dot4c_i32_i8_e32 v86, v172, v4
	v_dot4c_i32_i8_e32 v84, v169, v2
	;; [unrolled: 1-line block ×6, first 2 shown]
	s_nop 0
	v_mul_lo_u32 v84, v84, v176
	s_nop 0
	v_mad_u64_u32 v[86:87], s[22:23], v86, v178, v[84:85]
	v_cvt_f32_i32_e32 v86, v86
	v_mul_f32_e32 v84, v171, v85
	v_fmac_f32_e32 v99, v84, v86
	v_mov_b32_e32 v84, 0
	v_dot4c_i32_i8_e32 v84, v177, v0
	v_mov_b32_e32 v86, 0
	v_dot4c_i32_i8_e32 v84, v179, v1
	v_dot4c_i32_i8_e32 v86, v182, v4
	;; [unrolled: 1-line block ×7, first 2 shown]
	s_nop 0
	v_mul_lo_u32 v84, v84, v187
	s_nop 0
	v_mad_u64_u32 v[86:87], s[22:23], v86, v189, v[84:85]
	v_cvt_f32_i32_e32 v86, v86
	v_mul_f32_e32 v84, v183, v85
	v_fmac_f32_e32 v98, v84, v86
	v_mov_b32_e32 v84, 0
	v_dot4c_i32_i8_e32 v84, v188, v0
	v_mov_b32_e32 v86, 0
	v_dot4c_i32_i8_e32 v84, v190, v1
	v_dot4c_i32_i8_e32 v86, v193, v4
	;; [unrolled: 1-line block ×7, first 2 shown]
	s_nop 0
	v_mul_lo_u32 v84, v84, v198
	s_nop 0
	v_mad_u64_u32 v[86:87], s[22:23], v86, v200, v[84:85]
	v_cvt_f32_i32_e32 v86, v86
	v_mul_f32_e32 v84, v194, v85
	v_fmac_f32_e32 v97, v84, v86
	v_mov_b32_e32 v84, 0
	v_dot4c_i32_i8_e32 v84, v199, v0
	v_dot4c_i32_i8_e32 v84, v201, v1
	v_mov_b32_e32 v1, 0
	v_dot4c_i32_i8_e32 v1, v204, v4
	v_dot4c_i32_i8_e32 v84, v202, v2
	;; [unrolled: 1-line block ×6, first 2 shown]
	s_nop 0
	v_mul_lo_u32 v0, v84, v209
	s_nop 0
	v_mad_u64_u32 v[0:1], s[22:23], v1, v210, v[0:1]
	v_cvt_f32_i32_e32 v0, v0
	v_mul_f32_e32 v1, v205, v85
	v_fmac_f32_e32 v83, v1, v0
	v_add_u32_e32 v0, 0x9800, v166
	ds_read2_b32 v[6:7], v0 offset0:40 offset1:72
	ds_read_b128 v[2:5], v165 offset:27392
	ds_read_b128 v[84:87], v165 offset:27408
	v_mov_b32_e32 v1, 0
	v_add_u32_e32 v166, 4, v166
	s_waitcnt lgkmcnt(1)
	v_dot4c_i32_i8_e32 v1, v167, v2
	v_dot4c_i32_i8_e32 v1, v168, v3
	;; [unrolled: 1-line block ×4, first 2 shown]
	s_nop 2
	v_mul_lo_u32 v212, v1, v176
	v_mov_b32_e32 v1, 0
	s_waitcnt lgkmcnt(0)
	v_dot4c_i32_i8_e32 v1, v172, v84
	v_dot4c_i32_i8_e32 v1, v173, v85
	;; [unrolled: 1-line block ×4, first 2 shown]
	s_nop 2
	v_mad_u64_u32 v[212:213], s[22:23], v1, v178, v[212:213]
	v_cvt_f32_i32_e32 v211, v212
	v_mul_f32_e32 v1, v171, v6
	v_fmac_f32_e32 v77, v1, v211
	v_mov_b32_e32 v1, 0
	v_dot4c_i32_i8_e32 v1, v177, v2
	v_dot4c_i32_i8_e32 v1, v179, v3
	;; [unrolled: 1-line block ×4, first 2 shown]
	s_nop 2
	v_mul_lo_u32 v212, v1, v187
	v_mov_b32_e32 v1, 0
	v_dot4c_i32_i8_e32 v1, v182, v84
	v_dot4c_i32_i8_e32 v1, v184, v85
	;; [unrolled: 1-line block ×4, first 2 shown]
	s_nop 2
	v_mad_u64_u32 v[212:213], s[22:23], v1, v189, v[212:213]
	v_cvt_f32_i32_e32 v211, v212
	v_mul_f32_e32 v1, v183, v6
	v_fmac_f32_e32 v61, v1, v211
	v_mov_b32_e32 v1, 0
	v_dot4c_i32_i8_e32 v1, v188, v2
	v_dot4c_i32_i8_e32 v1, v190, v3
	;; [unrolled: 1-line block ×4, first 2 shown]
	s_nop 2
	v_mul_lo_u32 v212, v1, v198
	v_mov_b32_e32 v1, 0
	v_dot4c_i32_i8_e32 v1, v193, v84
	v_dot4c_i32_i8_e32 v1, v195, v85
	;; [unrolled: 1-line block ×4, first 2 shown]
	s_nop 2
	v_mad_u64_u32 v[212:213], s[22:23], v1, v200, v[212:213]
	v_cvt_f32_i32_e32 v211, v212
	v_mul_f32_e32 v1, v194, v6
	v_fmac_f32_e32 v55, v1, v211
	v_mov_b32_e32 v1, 0
	v_dot4c_i32_i8_e32 v1, v199, v2
	v_dot4c_i32_i8_e32 v1, v201, v3
	v_dot4c_i32_i8_e32 v1, v202, v4
	v_dot4c_i32_i8_e32 v1, v203, v5
                                        ; kill: def $vgpr3 killed $sgpr0 killed $exec
	s_nop 2
	v_mul_lo_u32 v2, v1, v209
	v_mov_b32_e32 v1, 0
	v_dot4c_i32_i8_e32 v1, v204, v84
	v_dot4c_i32_i8_e32 v1, v206, v85
	;; [unrolled: 1-line block ×4, first 2 shown]
	s_nop 2
	v_mad_u64_u32 v[2:3], s[22:23], v1, v210, v[2:3]
	v_cvt_f32_i32_e32 v2, v2
	v_mul_f32_e32 v1, v205, v6
	v_fmac_f32_e32 v53, v1, v2
	ds_read_b128 v[2:5], v165 offset:28416
	ds_read_b128 v[84:87], v165 offset:28432
	v_mov_b32_e32 v1, 0
	s_waitcnt lgkmcnt(1)
	v_dot4c_i32_i8_e32 v1, v167, v2
	v_dot4c_i32_i8_e32 v1, v168, v3
	;; [unrolled: 1-line block ×4, first 2 shown]
	s_nop 2
	v_mul_lo_u32 v6, v1, v176
	v_mov_b32_e32 v1, 0
	s_waitcnt lgkmcnt(0)
	v_dot4c_i32_i8_e32 v1, v172, v84
	v_dot4c_i32_i8_e32 v1, v173, v85
	;; [unrolled: 1-line block ×4, first 2 shown]
	s_nop 2
	v_mad_u64_u32 v[212:213], s[22:23], v1, v178, v[6:7]
	v_cvt_f32_i32_e32 v6, v212
	v_mul_f32_e32 v1, v171, v7
	v_fmac_f32_e32 v51, v1, v6
	v_mov_b32_e32 v1, 0
	v_dot4c_i32_i8_e32 v1, v177, v2
	v_dot4c_i32_i8_e32 v1, v179, v3
	;; [unrolled: 1-line block ×4, first 2 shown]
	s_nop 2
	v_mul_lo_u32 v6, v1, v187
	v_mov_b32_e32 v1, 0
	v_dot4c_i32_i8_e32 v1, v182, v84
	v_dot4c_i32_i8_e32 v1, v184, v85
	;; [unrolled: 1-line block ×4, first 2 shown]
	s_nop 2
	v_mad_u64_u32 v[212:213], s[22:23], v1, v189, v[6:7]
	v_cvt_f32_i32_e32 v6, v212
	v_mul_f32_e32 v1, v183, v7
	v_fmac_f32_e32 v49, v1, v6
	v_mov_b32_e32 v1, 0
	v_dot4c_i32_i8_e32 v1, v188, v2
	v_dot4c_i32_i8_e32 v1, v190, v3
	;; [unrolled: 1-line block ×4, first 2 shown]
	s_nop 2
	v_mul_lo_u32 v6, v1, v198
	v_mov_b32_e32 v1, 0
	v_dot4c_i32_i8_e32 v1, v193, v84
	v_dot4c_i32_i8_e32 v1, v195, v85
	;; [unrolled: 1-line block ×4, first 2 shown]
	s_nop 2
	v_mad_u64_u32 v[212:213], s[22:23], v1, v200, v[6:7]
	v_cvt_f32_i32_e32 v6, v212
	v_mul_f32_e32 v1, v194, v7
	v_fmac_f32_e32 v47, v1, v6
	v_mov_b32_e32 v1, 0
	v_dot4c_i32_i8_e32 v1, v199, v2
	v_dot4c_i32_i8_e32 v1, v201, v3
	v_dot4c_i32_i8_e32 v1, v202, v4
	v_dot4c_i32_i8_e32 v1, v203, v5
                                        ; kill: def $vgpr3 killed $sgpr0 killed $exec
	s_nop 2
	v_mul_lo_u32 v2, v1, v209
	v_mov_b32_e32 v1, 0
	v_dot4c_i32_i8_e32 v1, v204, v84
	v_dot4c_i32_i8_e32 v1, v206, v85
	;; [unrolled: 1-line block ×4, first 2 shown]
	s_nop 2
	v_mad_u64_u32 v[2:3], s[22:23], v1, v210, v[2:3]
	v_cvt_f32_i32_e32 v2, v2
	v_mul_f32_e32 v1, v205, v7
	v_fmac_f32_e32 v43, v1, v2
	ds_read2_b32 v[6:7], v0 offset0:104 offset1:136
	ds_read_b128 v[2:5], v165 offset:29440
	ds_read_b128 v[84:87], v165 offset:29456
	v_mov_b32_e32 v1, 0
	s_waitcnt lgkmcnt(1)
	v_dot4c_i32_i8_e32 v1, v167, v2
	v_dot4c_i32_i8_e32 v1, v168, v3
	;; [unrolled: 1-line block ×4, first 2 shown]
	s_nop 2
	v_mul_lo_u32 v212, v1, v176
	v_mov_b32_e32 v1, 0
	s_waitcnt lgkmcnt(0)
	v_dot4c_i32_i8_e32 v1, v172, v84
	v_dot4c_i32_i8_e32 v1, v173, v85
	;; [unrolled: 1-line block ×4, first 2 shown]
	s_nop 2
	v_mad_u64_u32 v[212:213], s[22:23], v1, v178, v[212:213]
	v_cvt_f32_i32_e32 v211, v212
	v_mul_f32_e32 v1, v171, v6
	v_fmac_f32_e32 v39, v1, v211
	v_mov_b32_e32 v1, 0
	v_dot4c_i32_i8_e32 v1, v177, v2
	v_dot4c_i32_i8_e32 v1, v179, v3
	;; [unrolled: 1-line block ×4, first 2 shown]
	s_nop 2
	v_mul_lo_u32 v212, v1, v187
	v_mov_b32_e32 v1, 0
	v_dot4c_i32_i8_e32 v1, v182, v84
	v_dot4c_i32_i8_e32 v1, v184, v85
	;; [unrolled: 1-line block ×4, first 2 shown]
	s_nop 2
	v_mad_u64_u32 v[212:213], s[22:23], v1, v189, v[212:213]
	v_cvt_f32_i32_e32 v211, v212
	v_mul_f32_e32 v1, v183, v6
	v_fmac_f32_e32 v37, v1, v211
	v_mov_b32_e32 v1, 0
	v_dot4c_i32_i8_e32 v1, v188, v2
	v_dot4c_i32_i8_e32 v1, v190, v3
	;; [unrolled: 1-line block ×4, first 2 shown]
	s_nop 2
	v_mul_lo_u32 v212, v1, v198
	v_mov_b32_e32 v1, 0
	v_dot4c_i32_i8_e32 v1, v193, v84
	v_dot4c_i32_i8_e32 v1, v195, v85
	;; [unrolled: 1-line block ×4, first 2 shown]
	s_nop 2
	v_mad_u64_u32 v[212:213], s[22:23], v1, v200, v[212:213]
	v_cvt_f32_i32_e32 v211, v212
	v_mul_f32_e32 v1, v194, v6
	v_fmac_f32_e32 v35, v1, v211
	v_mov_b32_e32 v1, 0
	v_dot4c_i32_i8_e32 v1, v199, v2
	v_dot4c_i32_i8_e32 v1, v201, v3
	v_dot4c_i32_i8_e32 v1, v202, v4
	v_dot4c_i32_i8_e32 v1, v203, v5
                                        ; kill: def $vgpr3 killed $sgpr0 killed $exec
	s_nop 2
	v_mul_lo_u32 v2, v1, v209
	v_mov_b32_e32 v1, 0
	v_dot4c_i32_i8_e32 v1, v204, v84
	v_dot4c_i32_i8_e32 v1, v206, v85
	;; [unrolled: 1-line block ×4, first 2 shown]
	s_nop 2
	v_mad_u64_u32 v[2:3], s[22:23], v1, v210, v[2:3]
	v_cvt_f32_i32_e32 v2, v2
	v_mul_f32_e32 v1, v205, v6
	v_fmac_f32_e32 v33, v1, v2
	ds_read_b128 v[2:5], v165 offset:30464
	ds_read_b128 v[84:87], v165 offset:30480
	v_mov_b32_e32 v1, 0
	s_waitcnt lgkmcnt(1)
	v_dot4c_i32_i8_e32 v1, v167, v2
	v_dot4c_i32_i8_e32 v1, v168, v3
	;; [unrolled: 1-line block ×4, first 2 shown]
	s_nop 2
	v_mul_lo_u32 v6, v1, v176
	v_mov_b32_e32 v1, 0
	s_waitcnt lgkmcnt(0)
	v_dot4c_i32_i8_e32 v1, v172, v84
	v_dot4c_i32_i8_e32 v1, v173, v85
	;; [unrolled: 1-line block ×4, first 2 shown]
	s_nop 2
	v_mad_u64_u32 v[212:213], s[22:23], v1, v178, v[6:7]
	v_cvt_f32_i32_e32 v6, v212
	v_mul_f32_e32 v1, v171, v7
	v_fmac_f32_e32 v31, v1, v6
	v_mov_b32_e32 v1, 0
	v_dot4c_i32_i8_e32 v1, v177, v2
	v_dot4c_i32_i8_e32 v1, v179, v3
	;; [unrolled: 1-line block ×4, first 2 shown]
	s_nop 2
	v_mul_lo_u32 v6, v1, v187
	v_mov_b32_e32 v1, 0
	v_dot4c_i32_i8_e32 v1, v182, v84
	v_dot4c_i32_i8_e32 v1, v184, v85
	v_dot4c_i32_i8_e32 v1, v185, v86
	v_dot4c_i32_i8_e32 v1, v186, v87
	s_nop 2
	v_mad_u64_u32 v[212:213], s[22:23], v1, v189, v[6:7]
	v_cvt_f32_i32_e32 v6, v212
	v_mul_f32_e32 v1, v183, v7
	v_fmac_f32_e32 v29, v1, v6
	v_mov_b32_e32 v1, 0
	v_dot4c_i32_i8_e32 v1, v188, v2
	v_dot4c_i32_i8_e32 v1, v190, v3
	;; [unrolled: 1-line block ×4, first 2 shown]
	s_nop 2
	v_mul_lo_u32 v6, v1, v198
	v_mov_b32_e32 v1, 0
	v_dot4c_i32_i8_e32 v1, v193, v84
	v_dot4c_i32_i8_e32 v1, v195, v85
	;; [unrolled: 1-line block ×4, first 2 shown]
	s_nop 2
	v_mad_u64_u32 v[212:213], s[22:23], v1, v200, v[6:7]
	v_cvt_f32_i32_e32 v6, v212
	v_mul_f32_e32 v1, v194, v7
	v_fmac_f32_e32 v27, v1, v6
	v_mov_b32_e32 v1, 0
	v_dot4c_i32_i8_e32 v1, v199, v2
	v_dot4c_i32_i8_e32 v1, v201, v3
	;; [unrolled: 1-line block ×4, first 2 shown]
                                        ; kill: def $vgpr3 killed $sgpr0 killed $exec
	s_nop 2
	v_mul_lo_u32 v2, v1, v209
	v_mov_b32_e32 v1, 0
	v_dot4c_i32_i8_e32 v1, v204, v84
	v_dot4c_i32_i8_e32 v1, v206, v85
	;; [unrolled: 1-line block ×4, first 2 shown]
	v_mov_b32_e32 v86, 0
	v_mov_b32_e32 v87, 0
	s_nop 0
	v_mad_u64_u32 v[2:3], s[22:23], v1, v210, v[2:3]
	v_cvt_f32_i32_e32 v2, v2
	v_mul_f32_e32 v1, v205, v7
	v_fmac_f32_e32 v25, v1, v2
	ds_read2_b32 v[84:85], v0 offset0:168 offset1:200
	ds_read_b128 v[4:7], v165 offset:31488
	ds_read_b128 v[0:3], v165 offset:31504
	s_waitcnt lgkmcnt(1)
	v_dot4c_i32_i8_e32 v86, v167, v4
	v_dot4c_i32_i8_e32 v86, v168, v5
	s_waitcnt lgkmcnt(0)
	v_dot4c_i32_i8_e32 v87, v172, v0
	v_dot4c_i32_i8_e32 v86, v169, v6
	;; [unrolled: 1-line block ×6, first 2 shown]
	s_nop 0
	v_mul_lo_u32 v86, v86, v176
	s_nop 0
	v_mad_u64_u32 v[86:87], s[22:23], v87, v178, v[86:87]
	v_cvt_f32_i32_e32 v86, v86
	v_mul_f32_e32 v87, v171, v84
	v_fmac_f32_e32 v23, v87, v86
	v_mov_b32_e32 v86, 0
	v_dot4c_i32_i8_e32 v86, v177, v4
	v_mov_b32_e32 v87, 0
	v_dot4c_i32_i8_e32 v86, v179, v5
	v_dot4c_i32_i8_e32 v87, v182, v0
	;; [unrolled: 1-line block ×7, first 2 shown]
	s_nop 0
	v_mul_lo_u32 v86, v86, v187
	s_nop 0
	v_mad_u64_u32 v[86:87], s[22:23], v87, v189, v[86:87]
	v_cvt_f32_i32_e32 v86, v86
	v_mul_f32_e32 v87, v183, v84
	v_fmac_f32_e32 v21, v87, v86
	v_mov_b32_e32 v86, 0
	v_dot4c_i32_i8_e32 v86, v188, v4
	v_mov_b32_e32 v87, 0
	v_dot4c_i32_i8_e32 v86, v190, v5
	v_dot4c_i32_i8_e32 v87, v193, v0
	;; [unrolled: 1-line block ×7, first 2 shown]
	s_nop 0
	v_mul_lo_u32 v86, v86, v198
	s_nop 0
	v_mad_u64_u32 v[86:87], s[22:23], v87, v200, v[86:87]
	v_cvt_f32_i32_e32 v86, v86
	v_mul_f32_e32 v87, v194, v84
	v_fmac_f32_e32 v19, v87, v86
	v_mov_b32_e32 v86, 0
	v_dot4c_i32_i8_e32 v86, v199, v4
	v_dot4c_i32_i8_e32 v86, v201, v5
	v_mov_b32_e32 v5, 0
	v_dot4c_i32_i8_e32 v5, v204, v0
	v_dot4c_i32_i8_e32 v86, v202, v6
	;; [unrolled: 1-line block ×6, first 2 shown]
	s_nop 0
	v_mul_lo_u32 v4, v86, v209
	v_mov_b32_e32 v86, 0
	v_mad_u64_u32 v[0:1], s[22:23], v5, v210, v[4:5]
	v_cvt_f32_i32_e32 v0, v0
	v_mul_f32_e32 v1, v205, v84
	v_mov_b32_e32 v84, 0
	v_fmac_f32_e32 v17, v1, v0
	ds_read_b128 v[0:3], v165 offset:32512
	ds_read_b128 v[4:7], v165 offset:32528
	v_add_u32_e32 v165, 32, v165
	s_waitcnt lgkmcnt(1)
	v_dot4c_i32_i8_e32 v84, v167, v0
	v_dot4c_i32_i8_e32 v84, v168, v1
	s_waitcnt lgkmcnt(0)
	v_dot4c_i32_i8_e32 v86, v172, v4
	v_dot4c_i32_i8_e32 v84, v169, v2
	v_dot4c_i32_i8_e32 v86, v173, v5
	v_dot4c_i32_i8_e32 v84, v170, v3
	v_dot4c_i32_i8_e32 v86, v174, v6
	v_dot4c_i32_i8_e32 v86, v175, v7
	s_nop 0
	v_mul_lo_u32 v84, v84, v176
	s_nop 0
	v_mad_u64_u32 v[86:87], s[22:23], v86, v178, v[84:85]
	v_cvt_f32_i32_e32 v86, v86
	v_mul_f32_e32 v84, v171, v85
	v_fmac_f32_e32 v15, v84, v86
	v_mov_b32_e32 v84, 0
	v_dot4c_i32_i8_e32 v84, v177, v0
	v_mov_b32_e32 v86, 0
	v_dot4c_i32_i8_e32 v84, v179, v1
	v_dot4c_i32_i8_e32 v86, v182, v4
	;; [unrolled: 1-line block ×7, first 2 shown]
	s_nop 0
	v_mul_lo_u32 v84, v84, v187
	s_nop 0
	v_mad_u64_u32 v[86:87], s[22:23], v86, v189, v[84:85]
	v_cvt_f32_i32_e32 v86, v86
	v_mul_f32_e32 v84, v183, v85
	v_fmac_f32_e32 v13, v84, v86
	v_mov_b32_e32 v84, 0
	v_dot4c_i32_i8_e32 v84, v188, v0
	v_mov_b32_e32 v86, 0
	v_dot4c_i32_i8_e32 v84, v190, v1
	v_dot4c_i32_i8_e32 v86, v193, v4
	;; [unrolled: 1-line block ×7, first 2 shown]
	s_nop 0
	v_mul_lo_u32 v84, v84, v198
	s_nop 0
	v_mad_u64_u32 v[86:87], s[22:23], v86, v200, v[84:85]
	v_cvt_f32_i32_e32 v86, v86
	v_mul_f32_e32 v84, v194, v85
	v_fmac_f32_e32 v11, v84, v86
	v_mov_b32_e32 v84, 0
	v_dot4c_i32_i8_e32 v84, v199, v0
	v_dot4c_i32_i8_e32 v84, v201, v1
	v_mov_b32_e32 v1, 0
	v_dot4c_i32_i8_e32 v1, v204, v4
	v_dot4c_i32_i8_e32 v84, v202, v2
	;; [unrolled: 1-line block ×6, first 2 shown]
	s_nop 0
	v_mul_lo_u32 v0, v84, v209
	s_nop 0
	v_mad_u64_u32 v[0:1], s[22:23], v1, v210, v[0:1]
	v_cvt_f32_i32_e32 v0, v0
	v_mul_f32_e32 v1, v205, v85
	v_fmac_f32_e32 v9, v1, v0
	s_cbranch_scc1 .LBB149_9
; %bb.10:                               ;   in Loop: Header=BB149_6 Depth=1
	s_or_b32 s18, s7, 1
	s_cmp_ge_i32 s18, s4
	s_barrier
	s_cbranch_scc1 .LBB149_5
; %bb.11:                               ;   in Loop: Header=BB149_6 Depth=1
	v_add_u32_e32 v165, s17, v139
	v_add_u32_e32 v0, v165, v106
	;; [unrolled: 1-line block ×9, first 2 shown]
	v_mad_i64_i32 v[168:169], s[18:19], v165, 36, v[80:81]
	v_add_u32_e32 v165, 8, v164
	v_mad_i64_i32 v[0:1], s[18:19], v0, 36, v[80:81]
	v_mad_i64_i32 v[2:3], s[18:19], v2, 36, v[80:81]
	;; [unrolled: 1-line block ×4, first 2 shown]
	v_mad_u64_u32 v[170:171], s[18:19], v165, 36, s[2:3]
	v_mad_i64_i32 v[84:85], s[18:19], v84, 36, v[80:81]
	v_mad_i64_i32 v[86:87], s[18:19], v86, 36, v[80:81]
	v_mad_i64_i32 v[166:167], s[18:19], v166, 36, v[80:81]
	global_load_dword v170, v[170:171], off
	s_nop 0
	global_load_dword v0, v[0:1], off offset:4
	s_nop 0
	global_load_dword v1, v[2:3], off offset:4
	;; [unrolled: 2-line block ×3, first 2 shown]
	global_load_dword v3, v[6:7], off offset:4
	s_nop 0
	global_load_dword v4, v[84:85], off offset:4
	global_load_dword v5, v[86:87], off offset:4
	;; [unrolled: 1-line block ×4, first 2 shown]
	s_mov_b32 s18, 16
	s_mov_b32 s21, 14
	;; [unrolled: 1-line block ×3, first 2 shown]
	v_mov_b32_e32 v165, v150
	v_mov_b32_e32 v166, v149
	s_waitcnt vmcnt(8)
	v_cvt_f32_f16_e32 v84, v170
	s_waitcnt vmcnt(7)
	ds_write_b32 v108, v0
	s_waitcnt vmcnt(6)
	ds_write_b32 v111, v1
	s_waitcnt vmcnt(5)
	ds_write_b32 v113, v2
	s_waitcnt vmcnt(4)
	ds_write_b32 v115, v3
	s_waitcnt vmcnt(3)
	ds_write_b32 v117, v4
	s_waitcnt vmcnt(2)
	ds_write_b32 v120, v5
	s_waitcnt vmcnt(1)
	ds_write_b32 v122, v6
	s_waitcnt vmcnt(0)
	ds_write_b32 v124, v7
	ds_write_b32 v105, v84
	s_waitcnt lgkmcnt(0)
	s_barrier
.LBB149_12:                             ;   Parent Loop BB149_6 Depth=1
                                        ; =>  This Inner Loop Header: Depth=2
	s_add_i32 s20, s21, 2
	s_lshr_b32 s25, s20, 4
	s_and_b32 s24, s20, 0x3ffffff8
	s_lshl_b32 s23, s25, 3
	s_lshl_b32 s24, s24, 2
	v_add_lshl_u32 v176, v126, s23, 2
	v_add_u32_e32 v87, s24, v127
	v_add_u32_e32 v170, 0x4200, v176
	ds_read2_b32 v[84:85], v166 offset1:32
	ds_read_b128 v[4:7], v165
	ds_read_b128 v[0:3], v165 offset:16
	ds_read2_b32 v[168:169], v87 offset1:1
	ds_read2_b32 v[170:171], v170 offset1:1
	s_and_b32 s22, s18, -16
	v_add_u32_e32 v86, s22, v125
	s_add_i32 s22, s21, -14
	s_waitcnt lgkmcnt(1)
	v_ashrrev_i32_e32 v167, s22, v168
	s_waitcnt lgkmcnt(0)
	v_ashrrev_i32_e32 v170, s19, v170
	v_lshlrev_b32_e32 v170, 2, v170
	v_and_b32_e32 v168, 0x3030303, v167
	v_bfe_u32 v167, v167, 24, 2
	v_and_b32_e32 v170, 0x4040404, v170
	v_sub_u16_e32 v172, v168, v170
	v_sub_u16_sdwa v173, v168, v170 dst_sel:BYTE_1 dst_unused:UNUSED_PAD src0_sel:BYTE_1 src1_sel:BYTE_1
	v_sub_u16_sdwa v167, v167, v170 dst_sel:BYTE_1 dst_unused:UNUSED_PAD src0_sel:DWORD src1_sel:BYTE_3
	v_sub_u16_sdwa v168, v168, v170 dst_sel:DWORD dst_unused:UNUSED_PAD src0_sel:WORD_1 src1_sel:WORD_1
	v_ashrrev_i32_e32 v170, s19, v171
	v_or_b32_sdwa v167, v168, v167 dst_sel:WORD_1 dst_unused:UNUSED_PAD src0_sel:BYTE_0 src1_sel:DWORD
	v_ashrrev_i32_e32 v168, s22, v169
	v_lshlrev_b32_e32 v170, 2, v170
	v_or_b32_sdwa v172, v172, v173 dst_sel:DWORD dst_unused:UNUSED_PAD src0_sel:BYTE_0 src1_sel:DWORD
	v_and_b32_e32 v169, 0x3030303, v168
	v_bfe_u32 v168, v168, 24, 2
	v_and_b32_e32 v170, 0x4040404, v170
	v_or_b32_sdwa v167, v172, v167 dst_sel:DWORD dst_unused:UNUSED_PAD src0_sel:WORD_0 src1_sel:DWORD
	v_sub_u16_e32 v171, v169, v170
	v_sub_u16_sdwa v172, v169, v170 dst_sel:BYTE_1 dst_unused:UNUSED_PAD src0_sel:BYTE_1 src1_sel:BYTE_1
	v_sub_u16_sdwa v168, v168, v170 dst_sel:BYTE_1 dst_unused:UNUSED_PAD src0_sel:DWORD src1_sel:BYTE_3
	v_sub_u16_sdwa v169, v169, v170 dst_sel:DWORD dst_unused:UNUSED_PAD src0_sel:WORD_1 src1_sel:WORD_1
	v_or_b32_sdwa v171, v171, v172 dst_sel:DWORD dst_unused:UNUSED_PAD src0_sel:BYTE_0 src1_sel:DWORD
	v_or_b32_sdwa v168, v169, v168 dst_sel:WORD_1 dst_unused:UNUSED_PAD src0_sel:BYTE_0 src1_sel:DWORD
	v_add_u32_e32 v172, 0x4208, v176
	v_or_b32_sdwa v168, v171, v168 dst_sel:DWORD dst_unused:UNUSED_PAD src0_sel:WORD_0 src1_sel:DWORD
	ds_read2_b32 v[170:171], v87 offset0:2 offset1:3
	ds_read2_b32 v[172:173], v172 offset1:1
	s_lshl_b32 s25, s25, 2
	v_add_lshl_u32 v198, v132, s23, 2
	v_add_lshl_u32 v188, v129, s23, 2
	s_waitcnt lgkmcnt(1)
	v_ashrrev_i32_e32 v169, s22, v170
	s_waitcnt lgkmcnt(0)
	v_ashrrev_i32_e32 v172, s19, v172
	v_lshlrev_b32_e32 v172, 2, v172
	v_and_b32_e32 v170, 0x3030303, v169
	v_bfe_u32 v169, v169, 24, 2
	v_and_b32_e32 v172, 0x4040404, v172
	v_sub_u16_e32 v174, v170, v172
	v_sub_u16_sdwa v175, v170, v172 dst_sel:BYTE_1 dst_unused:UNUSED_PAD src0_sel:BYTE_1 src1_sel:BYTE_1
	v_sub_u16_sdwa v169, v169, v172 dst_sel:BYTE_1 dst_unused:UNUSED_PAD src0_sel:DWORD src1_sel:BYTE_3
	v_sub_u16_sdwa v170, v170, v172 dst_sel:DWORD dst_unused:UNUSED_PAD src0_sel:WORD_1 src1_sel:WORD_1
	v_ashrrev_i32_e32 v172, s19, v173
	v_or_b32_sdwa v169, v170, v169 dst_sel:WORD_1 dst_unused:UNUSED_PAD src0_sel:BYTE_0 src1_sel:DWORD
	v_ashrrev_i32_e32 v170, s22, v171
	v_lshlrev_b32_e32 v172, 2, v172
	v_or_b32_sdwa v174, v174, v175 dst_sel:DWORD dst_unused:UNUSED_PAD src0_sel:BYTE_0 src1_sel:DWORD
	v_and_b32_e32 v171, 0x3030303, v170
	v_bfe_u32 v170, v170, 24, 2
	v_and_b32_e32 v172, 0x4040404, v172
	v_or_b32_sdwa v169, v174, v169 dst_sel:DWORD dst_unused:UNUSED_PAD src0_sel:WORD_0 src1_sel:DWORD
	v_sub_u16_e32 v173, v171, v172
	v_sub_u16_sdwa v174, v171, v172 dst_sel:BYTE_1 dst_unused:UNUSED_PAD src0_sel:BYTE_1 src1_sel:BYTE_1
	v_sub_u16_sdwa v170, v170, v172 dst_sel:BYTE_1 dst_unused:UNUSED_PAD src0_sel:DWORD src1_sel:BYTE_3
	v_sub_u16_sdwa v171, v171, v172 dst_sel:DWORD dst_unused:UNUSED_PAD src0_sel:WORD_1 src1_sel:WORD_1
	v_or_b32_sdwa v173, v173, v174 dst_sel:DWORD dst_unused:UNUSED_PAD src0_sel:BYTE_0 src1_sel:DWORD
	v_or_b32_sdwa v170, v171, v170 dst_sel:WORD_1 dst_unused:UNUSED_PAD src0_sel:BYTE_0 src1_sel:DWORD
	v_add_u32_e32 v174, 0x4210, v176
	v_or_b32_sdwa v170, v173, v170 dst_sel:DWORD dst_unused:UNUSED_PAD src0_sel:WORD_0 src1_sel:DWORD
	ds_read2_b32 v[172:173], v87 offset0:4 offset1:5
	ds_read2_b32 v[174:175], v174 offset1:1
	v_add_u32_e32 v192, 0x4200, v198
	v_add_lshl_u32 v210, v135, s23, 2
	s_add_i32 s18, s18, 2
	s_waitcnt lgkmcnt(1)
	v_ashrrev_i32_e32 v171, s22, v172
	s_waitcnt lgkmcnt(0)
	v_ashrrev_i32_e32 v174, s19, v174
	v_lshlrev_b32_e32 v174, 2, v174
	v_and_b32_e32 v172, 0x3030303, v171
	v_bfe_u32 v171, v171, 24, 2
	v_and_b32_e32 v174, 0x4040404, v174
	v_sub_u16_e32 v177, v172, v174
	v_sub_u16_sdwa v178, v172, v174 dst_sel:BYTE_1 dst_unused:UNUSED_PAD src0_sel:BYTE_1 src1_sel:BYTE_1
	v_sub_u16_sdwa v171, v171, v174 dst_sel:BYTE_1 dst_unused:UNUSED_PAD src0_sel:DWORD src1_sel:BYTE_3
	v_sub_u16_sdwa v172, v172, v174 dst_sel:DWORD dst_unused:UNUSED_PAD src0_sel:WORD_1 src1_sel:WORD_1
	v_or_b32_sdwa v177, v177, v178 dst_sel:DWORD dst_unused:UNUSED_PAD src0_sel:BYTE_0 src1_sel:DWORD
	v_or_b32_sdwa v171, v172, v171 dst_sel:WORD_1 dst_unused:UNUSED_PAD src0_sel:BYTE_0 src1_sel:DWORD
	v_ashrrev_i32_e32 v174, s19, v175
	v_or_b32_sdwa v172, v177, v171 dst_sel:DWORD dst_unused:UNUSED_PAD src0_sel:WORD_0 src1_sel:DWORD
	v_ashrrev_i32_e32 v171, s22, v173
	v_lshlrev_b32_e32 v174, 2, v174
	v_and_b32_e32 v173, 0x3030303, v171
	v_bfe_u32 v171, v171, 24, 2
	v_and_b32_e32 v174, 0x4040404, v174
	v_sub_u16_e32 v175, v173, v174
	v_sub_u16_sdwa v177, v173, v174 dst_sel:BYTE_1 dst_unused:UNUSED_PAD src0_sel:BYTE_1 src1_sel:BYTE_1
	v_sub_u16_sdwa v171, v171, v174 dst_sel:BYTE_1 dst_unused:UNUSED_PAD src0_sel:DWORD src1_sel:BYTE_3
	v_sub_u16_sdwa v173, v173, v174 dst_sel:DWORD dst_unused:UNUSED_PAD src0_sel:WORD_1 src1_sel:WORD_1
	v_or_b32_sdwa v175, v175, v177 dst_sel:DWORD dst_unused:UNUSED_PAD src0_sel:BYTE_0 src1_sel:DWORD
	v_or_b32_sdwa v171, v173, v171 dst_sel:WORD_1 dst_unused:UNUSED_PAD src0_sel:BYTE_0 src1_sel:DWORD
	v_or_b32_sdwa v173, v175, v171 dst_sel:DWORD dst_unused:UNUSED_PAD src0_sel:WORD_0 src1_sel:DWORD
	ds_read2_b32 v[174:175], v87 offset0:6 offset1:7
	ds_read2_b32 v[192:193], v192 offset1:1
	s_waitcnt lgkmcnt(1)
	v_ashrrev_i32_e32 v87, s22, v174
	v_add_u32_e32 v174, 0x4218, v176
	ds_read2_b32 v[176:177], v174 offset1:1
	v_and_b32_e32 v171, 0x3030303, v87
	v_bfe_u32 v87, v87, 24, 2
	s_waitcnt lgkmcnt(1)
	v_ashrrev_i32_e32 v192, s19, v192
	v_lshlrev_b32_e32 v192, 2, v192
	s_waitcnt lgkmcnt(0)
	v_ashrrev_i32_e32 v174, s19, v176
	v_lshlrev_b32_e32 v174, 2, v174
	v_and_b32_e32 v174, 0x4040404, v174
	v_sub_u16_e32 v176, v171, v174
	v_sub_u16_sdwa v178, v171, v174 dst_sel:BYTE_1 dst_unused:UNUSED_PAD src0_sel:BYTE_1 src1_sel:BYTE_1
	v_sub_u16_sdwa v87, v87, v174 dst_sel:BYTE_1 dst_unused:UNUSED_PAD src0_sel:DWORD src1_sel:BYTE_3
	v_sub_u16_sdwa v171, v171, v174 dst_sel:DWORD dst_unused:UNUSED_PAD src0_sel:WORD_1 src1_sel:WORD_1
	v_or_b32_sdwa v176, v176, v178 dst_sel:DWORD dst_unused:UNUSED_PAD src0_sel:BYTE_0 src1_sel:DWORD
	v_or_b32_sdwa v87, v171, v87 dst_sel:WORD_1 dst_unused:UNUSED_PAD src0_sel:BYTE_0 src1_sel:DWORD
	v_or_b32_sdwa v174, v176, v87 dst_sel:DWORD dst_unused:UNUSED_PAD src0_sel:WORD_0 src1_sel:DWORD
	v_ashrrev_i32_e32 v87, s22, v175
	v_ashrrev_i32_e32 v175, s19, v177
	v_lshlrev_b32_e32 v175, 2, v175
	v_and_b32_e32 v171, 0x3030303, v87
	v_bfe_u32 v87, v87, 24, 2
	v_and_b32_e32 v175, 0x4040404, v175
	v_sub_u16_e32 v176, v171, v175
	v_sub_u16_sdwa v177, v171, v175 dst_sel:BYTE_1 dst_unused:UNUSED_PAD src0_sel:BYTE_1 src1_sel:BYTE_1
	v_sub_u16_sdwa v87, v87, v175 dst_sel:BYTE_1 dst_unused:UNUSED_PAD src0_sel:DWORD src1_sel:BYTE_3
	v_sub_u16_sdwa v171, v171, v175 dst_sel:DWORD dst_unused:UNUSED_PAD src0_sel:WORD_1 src1_sel:WORD_1
	v_or_b32_sdwa v176, v176, v177 dst_sel:DWORD dst_unused:UNUSED_PAD src0_sel:BYTE_0 src1_sel:DWORD
	v_or_b32_sdwa v87, v171, v87 dst_sel:WORD_1 dst_unused:UNUSED_PAD src0_sel:BYTE_0 src1_sel:DWORD
	v_or_b32_sdwa v175, v176, v87 dst_sel:DWORD dst_unused:UNUSED_PAD src0_sel:WORD_0 src1_sel:DWORD
	v_add3_u32 v87, v141, s21, v86
	v_add_u32_e32 v171, s25, v128
	ds_read_b32 v171, v171
	ds_read_u16 v87, v87 offset:33522
	v_mov_b32_e32 v177, 0
	v_dot4c_i32_i8_e32 v177, v167, v4
	v_dot4c_i32_i8_e32 v177, v168, v5
	;; [unrolled: 1-line block ×3, first 2 shown]
	s_waitcnt lgkmcnt(0)
	v_lshrrev_b16_e32 v178, 8, v87
	v_bfe_i32 v176, v87, 0, 8
	v_mov_b32_e32 v87, 0
	v_dot4c_i32_i8_e32 v87, v172, v0
	v_dot4c_i32_i8_e32 v87, v173, v1
	;; [unrolled: 1-line block ×5, first 2 shown]
	v_bfe_i32 v178, v178, 0, 8
	v_mul_lo_u32 v180, v177, v176
	v_and_b32_e32 v192, 0x4040404, v192
	v_mad_u64_u32 v[180:181], s[26:27], v87, v178, v[180:181]
	v_cvt_f32_i32_e32 v177, v180
	v_mul_f32_e32 v87, v84, v171
	v_fmac_f32_e32 v119, v87, v177
	v_add_u32_e32 v87, s24, v130
	ds_read2_b32 v[180:181], v87 offset1:1
	s_waitcnt lgkmcnt(0)
	v_ashrrev_i32_e32 v177, s22, v180
	v_add_u32_e32 v180, 0x4200, v188
	ds_read2_b32 v[182:183], v180 offset1:1
	v_and_b32_e32 v179, 0x3030303, v177
	v_bfe_u32 v177, v177, 24, 2
	s_waitcnt lgkmcnt(0)
	v_ashrrev_i32_e32 v180, s19, v182
	v_lshlrev_b32_e32 v180, 2, v180
	v_and_b32_e32 v180, 0x4040404, v180
	v_sub_u16_e32 v182, v179, v180
	v_sub_u16_sdwa v184, v179, v180 dst_sel:BYTE_1 dst_unused:UNUSED_PAD src0_sel:BYTE_1 src1_sel:BYTE_1
	v_sub_u16_sdwa v177, v177, v180 dst_sel:BYTE_1 dst_unused:UNUSED_PAD src0_sel:DWORD src1_sel:BYTE_3
	v_sub_u16_sdwa v179, v179, v180 dst_sel:DWORD dst_unused:UNUSED_PAD src0_sel:WORD_1 src1_sel:WORD_1
	v_or_b32_sdwa v177, v179, v177 dst_sel:WORD_1 dst_unused:UNUSED_PAD src0_sel:BYTE_0 src1_sel:DWORD
	v_ashrrev_i32_e32 v179, s22, v181
	v_ashrrev_i32_e32 v181, s19, v183
	v_lshlrev_b32_e32 v181, 2, v181
	v_or_b32_sdwa v182, v182, v184 dst_sel:DWORD dst_unused:UNUSED_PAD src0_sel:BYTE_0 src1_sel:DWORD
	v_and_b32_e32 v180, 0x3030303, v179
	v_bfe_u32 v179, v179, 24, 2
	v_and_b32_e32 v181, 0x4040404, v181
	v_or_b32_sdwa v177, v182, v177 dst_sel:DWORD dst_unused:UNUSED_PAD src0_sel:WORD_0 src1_sel:DWORD
	v_sub_u16_e32 v182, v180, v181
	v_sub_u16_sdwa v183, v180, v181 dst_sel:BYTE_1 dst_unused:UNUSED_PAD src0_sel:BYTE_1 src1_sel:BYTE_1
	v_sub_u16_sdwa v179, v179, v181 dst_sel:BYTE_1 dst_unused:UNUSED_PAD src0_sel:DWORD src1_sel:BYTE_3
	v_sub_u16_sdwa v180, v180, v181 dst_sel:DWORD dst_unused:UNUSED_PAD src0_sel:WORD_1 src1_sel:WORD_1
	v_or_b32_sdwa v182, v182, v183 dst_sel:DWORD dst_unused:UNUSED_PAD src0_sel:BYTE_0 src1_sel:DWORD
	v_or_b32_sdwa v179, v180, v179 dst_sel:WORD_1 dst_unused:UNUSED_PAD src0_sel:BYTE_0 src1_sel:DWORD
	v_or_b32_sdwa v179, v182, v179 dst_sel:DWORD dst_unused:UNUSED_PAD src0_sel:WORD_0 src1_sel:DWORD
	v_add_u32_e32 v182, 0x4208, v188
	ds_read2_b32 v[180:181], v87 offset0:2 offset1:3
	ds_read2_b32 v[182:183], v182 offset1:1
	s_waitcnt lgkmcnt(1)
	v_ashrrev_i32_e32 v180, s22, v180
	s_waitcnt lgkmcnt(0)
	v_ashrrev_i32_e32 v182, s19, v182
	v_lshlrev_b32_e32 v182, 2, v182
	v_and_b32_e32 v184, 0x3030303, v180
	v_bfe_u32 v180, v180, 24, 2
	v_and_b32_e32 v182, 0x4040404, v182
	v_ashrrev_i32_e32 v183, s19, v183
	v_sub_u16_e32 v185, v184, v182
	v_sub_u16_sdwa v186, v184, v182 dst_sel:BYTE_1 dst_unused:UNUSED_PAD src0_sel:BYTE_1 src1_sel:BYTE_1
	v_sub_u16_sdwa v180, v180, v182 dst_sel:BYTE_1 dst_unused:UNUSED_PAD src0_sel:DWORD src1_sel:BYTE_3
	v_sub_u16_sdwa v182, v184, v182 dst_sel:DWORD dst_unused:UNUSED_PAD src0_sel:WORD_1 src1_sel:WORD_1
	v_ashrrev_i32_e32 v181, s22, v181
	v_lshlrev_b32_e32 v183, 2, v183
	v_or_b32_sdwa v185, v185, v186 dst_sel:DWORD dst_unused:UNUSED_PAD src0_sel:BYTE_0 src1_sel:DWORD
	v_or_b32_sdwa v180, v182, v180 dst_sel:WORD_1 dst_unused:UNUSED_PAD src0_sel:BYTE_0 src1_sel:DWORD
	v_and_b32_e32 v182, 0x3030303, v181
	v_bfe_u32 v181, v181, 24, 2
	v_and_b32_e32 v183, 0x4040404, v183
	v_or_b32_sdwa v180, v185, v180 dst_sel:DWORD dst_unused:UNUSED_PAD src0_sel:WORD_0 src1_sel:DWORD
	v_sub_u16_e32 v184, v182, v183
	v_sub_u16_sdwa v185, v182, v183 dst_sel:BYTE_1 dst_unused:UNUSED_PAD src0_sel:BYTE_1 src1_sel:BYTE_1
	v_sub_u16_sdwa v181, v181, v183 dst_sel:BYTE_1 dst_unused:UNUSED_PAD src0_sel:DWORD src1_sel:BYTE_3
	v_sub_u16_sdwa v182, v182, v183 dst_sel:DWORD dst_unused:UNUSED_PAD src0_sel:WORD_1 src1_sel:WORD_1
	v_or_b32_sdwa v184, v184, v185 dst_sel:DWORD dst_unused:UNUSED_PAD src0_sel:BYTE_0 src1_sel:DWORD
	v_or_b32_sdwa v181, v182, v181 dst_sel:WORD_1 dst_unused:UNUSED_PAD src0_sel:BYTE_0 src1_sel:DWORD
	v_or_b32_sdwa v181, v184, v181 dst_sel:DWORD dst_unused:UNUSED_PAD src0_sel:WORD_0 src1_sel:DWORD
	v_add_u32_e32 v184, 0x4210, v188
	ds_read2_b32 v[182:183], v87 offset0:4 offset1:5
	ds_read2_b32 v[184:185], v184 offset1:1
	s_waitcnt lgkmcnt(1)
	v_ashrrev_i32_e32 v182, s22, v182
	s_waitcnt lgkmcnt(0)
	v_ashrrev_i32_e32 v184, s19, v184
	v_lshlrev_b32_e32 v184, 2, v184
	v_and_b32_e32 v186, 0x3030303, v182
	v_bfe_u32 v182, v182, 24, 2
	v_and_b32_e32 v184, 0x4040404, v184
	v_ashrrev_i32_e32 v185, s19, v185
	v_sub_u16_e32 v187, v186, v184
	v_sub_u16_sdwa v189, v186, v184 dst_sel:BYTE_1 dst_unused:UNUSED_PAD src0_sel:BYTE_1 src1_sel:BYTE_1
	v_sub_u16_sdwa v182, v182, v184 dst_sel:BYTE_1 dst_unused:UNUSED_PAD src0_sel:DWORD src1_sel:BYTE_3
	v_sub_u16_sdwa v184, v186, v184 dst_sel:DWORD dst_unused:UNUSED_PAD src0_sel:WORD_1 src1_sel:WORD_1
	v_ashrrev_i32_e32 v183, s22, v183
	v_lshlrev_b32_e32 v185, 2, v185
	v_or_b32_sdwa v187, v187, v189 dst_sel:DWORD dst_unused:UNUSED_PAD src0_sel:BYTE_0 src1_sel:DWORD
	v_or_b32_sdwa v182, v184, v182 dst_sel:WORD_1 dst_unused:UNUSED_PAD src0_sel:BYTE_0 src1_sel:DWORD
	v_and_b32_e32 v184, 0x3030303, v183
	v_bfe_u32 v183, v183, 24, 2
	v_and_b32_e32 v185, 0x4040404, v185
	v_or_b32_sdwa v182, v187, v182 dst_sel:DWORD dst_unused:UNUSED_PAD src0_sel:WORD_0 src1_sel:DWORD
	v_sub_u16_e32 v186, v184, v185
	v_sub_u16_sdwa v187, v184, v185 dst_sel:BYTE_1 dst_unused:UNUSED_PAD src0_sel:BYTE_1 src1_sel:BYTE_1
	v_sub_u16_sdwa v183, v183, v185 dst_sel:BYTE_1 dst_unused:UNUSED_PAD src0_sel:DWORD src1_sel:BYTE_3
	v_sub_u16_sdwa v184, v184, v185 dst_sel:DWORD dst_unused:UNUSED_PAD src0_sel:WORD_1 src1_sel:WORD_1
	v_or_b32_sdwa v186, v186, v187 dst_sel:DWORD dst_unused:UNUSED_PAD src0_sel:BYTE_0 src1_sel:DWORD
	v_or_b32_sdwa v183, v184, v183 dst_sel:WORD_1 dst_unused:UNUSED_PAD src0_sel:BYTE_0 src1_sel:DWORD
	v_add_u32_e32 v185, 0x4218, v188
	v_or_b32_sdwa v184, v186, v183 dst_sel:DWORD dst_unused:UNUSED_PAD src0_sel:WORD_0 src1_sel:DWORD
	ds_read2_b32 v[186:187], v87 offset0:6 offset1:7
	ds_read2_b32 v[188:189], v185 offset1:1
	s_waitcnt lgkmcnt(1)
	v_ashrrev_i32_e32 v87, s22, v186
	s_waitcnt lgkmcnt(0)
	v_ashrrev_i32_e32 v185, s19, v188
	v_lshlrev_b32_e32 v185, 2, v185
	v_and_b32_e32 v183, 0x3030303, v87
	v_bfe_u32 v87, v87, 24, 2
	v_and_b32_e32 v185, 0x4040404, v185
	v_sub_u16_e32 v186, v183, v185
	v_sub_u16_sdwa v188, v183, v185 dst_sel:BYTE_1 dst_unused:UNUSED_PAD src0_sel:BYTE_1 src1_sel:BYTE_1
	v_sub_u16_sdwa v87, v87, v185 dst_sel:BYTE_1 dst_unused:UNUSED_PAD src0_sel:DWORD src1_sel:BYTE_3
	v_sub_u16_sdwa v183, v183, v185 dst_sel:DWORD dst_unused:UNUSED_PAD src0_sel:WORD_1 src1_sel:WORD_1
	v_or_b32_sdwa v186, v186, v188 dst_sel:DWORD dst_unused:UNUSED_PAD src0_sel:BYTE_0 src1_sel:DWORD
	v_or_b32_sdwa v87, v183, v87 dst_sel:WORD_1 dst_unused:UNUSED_PAD src0_sel:BYTE_0 src1_sel:DWORD
	v_or_b32_sdwa v185, v186, v87 dst_sel:DWORD dst_unused:UNUSED_PAD src0_sel:WORD_0 src1_sel:DWORD
	v_ashrrev_i32_e32 v186, s19, v189
	v_ashrrev_i32_e32 v87, s22, v187
	v_lshlrev_b32_e32 v186, 2, v186
	v_and_b32_e32 v183, 0x3030303, v87
	v_bfe_u32 v87, v87, 24, 2
	v_and_b32_e32 v186, 0x4040404, v186
	v_sub_u16_e32 v187, v183, v186
	v_sub_u16_sdwa v188, v183, v186 dst_sel:BYTE_1 dst_unused:UNUSED_PAD src0_sel:BYTE_1 src1_sel:BYTE_1
	v_sub_u16_sdwa v87, v87, v186 dst_sel:BYTE_1 dst_unused:UNUSED_PAD src0_sel:DWORD src1_sel:BYTE_3
	v_sub_u16_sdwa v183, v183, v186 dst_sel:DWORD dst_unused:UNUSED_PAD src0_sel:WORD_1 src1_sel:WORD_1
	v_or_b32_sdwa v187, v187, v188 dst_sel:DWORD dst_unused:UNUSED_PAD src0_sel:BYTE_0 src1_sel:DWORD
	v_or_b32_sdwa v87, v183, v87 dst_sel:WORD_1 dst_unused:UNUSED_PAD src0_sel:BYTE_0 src1_sel:DWORD
	v_or_b32_sdwa v186, v187, v87 dst_sel:DWORD dst_unused:UNUSED_PAD src0_sel:WORD_0 src1_sel:DWORD
	v_add3_u32 v87, v143, s21, v86
	v_add_u32_e32 v183, s25, v131
	ds_read_b32 v183, v183
	ds_read_u16 v87, v87 offset:34546
	v_mov_b32_e32 v188, 0
	v_dot4c_i32_i8_e32 v188, v177, v4
	v_dot4c_i32_i8_e32 v188, v179, v5
	;; [unrolled: 1-line block ×3, first 2 shown]
	s_waitcnt lgkmcnt(0)
	v_lshrrev_b16_e32 v189, 8, v87
	v_bfe_i32 v187, v87, 0, 8
	v_mov_b32_e32 v87, 0
	v_dot4c_i32_i8_e32 v87, v182, v0
	v_dot4c_i32_i8_e32 v87, v184, v1
	;; [unrolled: 1-line block ×5, first 2 shown]
	v_bfe_i32 v189, v189, 0, 8
	v_mul_lo_u32 v188, v188, v187
	s_nop 0
	v_mad_u64_u32 v[190:191], s[26:27], v87, v189, v[188:189]
	v_cvt_f32_i32_e32 v188, v190
	v_mul_f32_e32 v87, v84, v183
	v_fmac_f32_e32 v109, v87, v188
	v_add_u32_e32 v87, s24, v133
	ds_read2_b32 v[190:191], v87 offset1:1
	s_waitcnt lgkmcnt(0)
	v_ashrrev_i32_e32 v188, s22, v190
	v_and_b32_e32 v190, 0x3030303, v188
	v_bfe_u32 v188, v188, 24, 2
	v_sub_u16_e32 v194, v190, v192
	v_sub_u16_sdwa v195, v190, v192 dst_sel:BYTE_1 dst_unused:UNUSED_PAD src0_sel:BYTE_1 src1_sel:BYTE_1
	v_sub_u16_sdwa v188, v188, v192 dst_sel:BYTE_1 dst_unused:UNUSED_PAD src0_sel:DWORD src1_sel:BYTE_3
	v_sub_u16_sdwa v190, v190, v192 dst_sel:DWORD dst_unused:UNUSED_PAD src0_sel:WORD_1 src1_sel:WORD_1
	v_ashrrev_i32_e32 v192, s19, v193
	v_or_b32_sdwa v188, v190, v188 dst_sel:WORD_1 dst_unused:UNUSED_PAD src0_sel:BYTE_0 src1_sel:DWORD
	v_ashrrev_i32_e32 v190, s22, v191
	v_lshlrev_b32_e32 v192, 2, v192
	v_or_b32_sdwa v194, v194, v195 dst_sel:DWORD dst_unused:UNUSED_PAD src0_sel:BYTE_0 src1_sel:DWORD
	v_and_b32_e32 v191, 0x3030303, v190
	v_bfe_u32 v190, v190, 24, 2
	v_and_b32_e32 v192, 0x4040404, v192
	v_or_b32_sdwa v188, v194, v188 dst_sel:DWORD dst_unused:UNUSED_PAD src0_sel:WORD_0 src1_sel:DWORD
	v_sub_u16_e32 v193, v191, v192
	v_sub_u16_sdwa v194, v191, v192 dst_sel:BYTE_1 dst_unused:UNUSED_PAD src0_sel:BYTE_1 src1_sel:BYTE_1
	v_sub_u16_sdwa v190, v190, v192 dst_sel:BYTE_1 dst_unused:UNUSED_PAD src0_sel:DWORD src1_sel:BYTE_3
	v_sub_u16_sdwa v191, v191, v192 dst_sel:DWORD dst_unused:UNUSED_PAD src0_sel:WORD_1 src1_sel:WORD_1
	v_or_b32_sdwa v193, v193, v194 dst_sel:DWORD dst_unused:UNUSED_PAD src0_sel:BYTE_0 src1_sel:DWORD
	v_or_b32_sdwa v190, v191, v190 dst_sel:WORD_1 dst_unused:UNUSED_PAD src0_sel:BYTE_0 src1_sel:DWORD
	v_add_u32_e32 v194, 0x4208, v198
	v_or_b32_sdwa v190, v193, v190 dst_sel:DWORD dst_unused:UNUSED_PAD src0_sel:WORD_0 src1_sel:DWORD
	ds_read2_b32 v[192:193], v87 offset0:2 offset1:3
	ds_read2_b32 v[194:195], v194 offset1:1
	s_waitcnt lgkmcnt(1)
	v_ashrrev_i32_e32 v191, s22, v192
	s_waitcnt lgkmcnt(0)
	v_ashrrev_i32_e32 v194, s19, v194
	v_lshlrev_b32_e32 v194, 2, v194
	v_and_b32_e32 v192, 0x3030303, v191
	v_bfe_u32 v191, v191, 24, 2
	v_and_b32_e32 v194, 0x4040404, v194
	v_sub_u16_e32 v196, v192, v194
	v_sub_u16_sdwa v197, v192, v194 dst_sel:BYTE_1 dst_unused:UNUSED_PAD src0_sel:BYTE_1 src1_sel:BYTE_1
	v_sub_u16_sdwa v191, v191, v194 dst_sel:BYTE_1 dst_unused:UNUSED_PAD src0_sel:DWORD src1_sel:BYTE_3
	v_sub_u16_sdwa v192, v192, v194 dst_sel:DWORD dst_unused:UNUSED_PAD src0_sel:WORD_1 src1_sel:WORD_1
	v_ashrrev_i32_e32 v194, s19, v195
	v_or_b32_sdwa v191, v192, v191 dst_sel:WORD_1 dst_unused:UNUSED_PAD src0_sel:BYTE_0 src1_sel:DWORD
	v_ashrrev_i32_e32 v192, s22, v193
	v_lshlrev_b32_e32 v194, 2, v194
	v_or_b32_sdwa v196, v196, v197 dst_sel:DWORD dst_unused:UNUSED_PAD src0_sel:BYTE_0 src1_sel:DWORD
	v_and_b32_e32 v193, 0x3030303, v192
	v_bfe_u32 v192, v192, 24, 2
	v_and_b32_e32 v194, 0x4040404, v194
	v_or_b32_sdwa v191, v196, v191 dst_sel:DWORD dst_unused:UNUSED_PAD src0_sel:WORD_0 src1_sel:DWORD
	v_sub_u16_e32 v195, v193, v194
	v_sub_u16_sdwa v196, v193, v194 dst_sel:BYTE_1 dst_unused:UNUSED_PAD src0_sel:BYTE_1 src1_sel:BYTE_1
	v_sub_u16_sdwa v192, v192, v194 dst_sel:BYTE_1 dst_unused:UNUSED_PAD src0_sel:DWORD src1_sel:BYTE_3
	v_sub_u16_sdwa v193, v193, v194 dst_sel:DWORD dst_unused:UNUSED_PAD src0_sel:WORD_1 src1_sel:WORD_1
	v_or_b32_sdwa v195, v195, v196 dst_sel:DWORD dst_unused:UNUSED_PAD src0_sel:BYTE_0 src1_sel:DWORD
	v_or_b32_sdwa v192, v193, v192 dst_sel:WORD_1 dst_unused:UNUSED_PAD src0_sel:BYTE_0 src1_sel:DWORD
	v_add_u32_e32 v196, 0x4210, v198
	v_or_b32_sdwa v192, v195, v192 dst_sel:DWORD dst_unused:UNUSED_PAD src0_sel:WORD_0 src1_sel:DWORD
	ds_read2_b32 v[194:195], v87 offset0:4 offset1:5
	ds_read2_b32 v[196:197], v196 offset1:1
	s_waitcnt lgkmcnt(1)
	v_ashrrev_i32_e32 v193, s22, v194
	s_waitcnt lgkmcnt(0)
	v_ashrrev_i32_e32 v196, s19, v196
	v_lshlrev_b32_e32 v196, 2, v196
	v_and_b32_e32 v194, 0x3030303, v193
	v_bfe_u32 v193, v193, 24, 2
	v_and_b32_e32 v196, 0x4040404, v196
	v_sub_u16_e32 v199, v194, v196
	v_sub_u16_sdwa v200, v194, v196 dst_sel:BYTE_1 dst_unused:UNUSED_PAD src0_sel:BYTE_1 src1_sel:BYTE_1
	v_sub_u16_sdwa v193, v193, v196 dst_sel:BYTE_1 dst_unused:UNUSED_PAD src0_sel:DWORD src1_sel:BYTE_3
	v_sub_u16_sdwa v194, v194, v196 dst_sel:DWORD dst_unused:UNUSED_PAD src0_sel:WORD_1 src1_sel:WORD_1
	v_ashrrev_i32_e32 v196, s19, v197
	v_or_b32_sdwa v193, v194, v193 dst_sel:WORD_1 dst_unused:UNUSED_PAD src0_sel:BYTE_0 src1_sel:DWORD
	v_ashrrev_i32_e32 v194, s22, v195
	v_lshlrev_b32_e32 v196, 2, v196
	v_or_b32_sdwa v199, v199, v200 dst_sel:DWORD dst_unused:UNUSED_PAD src0_sel:BYTE_0 src1_sel:DWORD
	v_and_b32_e32 v195, 0x3030303, v194
	v_bfe_u32 v194, v194, 24, 2
	v_and_b32_e32 v196, 0x4040404, v196
	v_or_b32_sdwa v193, v199, v193 dst_sel:DWORD dst_unused:UNUSED_PAD src0_sel:WORD_0 src1_sel:DWORD
	v_sub_u16_e32 v197, v195, v196
	v_sub_u16_sdwa v199, v195, v196 dst_sel:BYTE_1 dst_unused:UNUSED_PAD src0_sel:BYTE_1 src1_sel:BYTE_1
	v_sub_u16_sdwa v194, v194, v196 dst_sel:BYTE_1 dst_unused:UNUSED_PAD src0_sel:DWORD src1_sel:BYTE_3
	v_sub_u16_sdwa v195, v195, v196 dst_sel:DWORD dst_unused:UNUSED_PAD src0_sel:WORD_1 src1_sel:WORD_1
	v_or_b32_sdwa v197, v197, v199 dst_sel:DWORD dst_unused:UNUSED_PAD src0_sel:BYTE_0 src1_sel:DWORD
	v_or_b32_sdwa v194, v195, v194 dst_sel:WORD_1 dst_unused:UNUSED_PAD src0_sel:BYTE_0 src1_sel:DWORD
	v_or_b32_sdwa v195, v197, v194 dst_sel:DWORD dst_unused:UNUSED_PAD src0_sel:WORD_0 src1_sel:DWORD
	ds_read2_b32 v[196:197], v87 offset0:6 offset1:7
	s_waitcnt lgkmcnt(0)
	v_ashrrev_i32_e32 v87, s22, v196
	v_add_u32_e32 v196, 0x4218, v198
	ds_read2_b32 v[198:199], v196 offset1:1
	v_and_b32_e32 v194, 0x3030303, v87
	v_bfe_u32 v87, v87, 24, 2
	s_waitcnt lgkmcnt(0)
	v_ashrrev_i32_e32 v196, s19, v198
	v_lshlrev_b32_e32 v196, 2, v196
	v_and_b32_e32 v196, 0x4040404, v196
	v_sub_u16_e32 v198, v194, v196
	v_sub_u16_sdwa v200, v194, v196 dst_sel:BYTE_1 dst_unused:UNUSED_PAD src0_sel:BYTE_1 src1_sel:BYTE_1
	v_sub_u16_sdwa v87, v87, v196 dst_sel:BYTE_1 dst_unused:UNUSED_PAD src0_sel:DWORD src1_sel:BYTE_3
	v_sub_u16_sdwa v194, v194, v196 dst_sel:DWORD dst_unused:UNUSED_PAD src0_sel:WORD_1 src1_sel:WORD_1
	v_or_b32_sdwa v198, v198, v200 dst_sel:DWORD dst_unused:UNUSED_PAD src0_sel:BYTE_0 src1_sel:DWORD
	v_or_b32_sdwa v87, v194, v87 dst_sel:WORD_1 dst_unused:UNUSED_PAD src0_sel:BYTE_0 src1_sel:DWORD
	v_or_b32_sdwa v196, v198, v87 dst_sel:DWORD dst_unused:UNUSED_PAD src0_sel:WORD_0 src1_sel:DWORD
	v_ashrrev_i32_e32 v87, s22, v197
	v_ashrrev_i32_e32 v197, s19, v199
	v_lshlrev_b32_e32 v197, 2, v197
	v_and_b32_e32 v194, 0x3030303, v87
	v_bfe_u32 v87, v87, 24, 2
	v_and_b32_e32 v197, 0x4040404, v197
	v_sub_u16_e32 v198, v194, v197
	v_sub_u16_sdwa v199, v194, v197 dst_sel:BYTE_1 dst_unused:UNUSED_PAD src0_sel:BYTE_1 src1_sel:BYTE_1
	v_sub_u16_sdwa v87, v87, v197 dst_sel:BYTE_1 dst_unused:UNUSED_PAD src0_sel:DWORD src1_sel:BYTE_3
	v_sub_u16_sdwa v194, v194, v197 dst_sel:DWORD dst_unused:UNUSED_PAD src0_sel:WORD_1 src1_sel:WORD_1
	v_or_b32_sdwa v198, v198, v199 dst_sel:DWORD dst_unused:UNUSED_PAD src0_sel:BYTE_0 src1_sel:DWORD
	v_or_b32_sdwa v87, v194, v87 dst_sel:WORD_1 dst_unused:UNUSED_PAD src0_sel:BYTE_0 src1_sel:DWORD
	v_or_b32_sdwa v197, v198, v87 dst_sel:DWORD dst_unused:UNUSED_PAD src0_sel:WORD_0 src1_sel:DWORD
	v_add3_u32 v87, v145, s21, v86
	v_add_u32_e32 v194, s25, v134
	ds_read_b32 v194, v194
	ds_read_u16 v87, v87 offset:35570
	v_mov_b32_e32 v199, 0
	v_dot4c_i32_i8_e32 v199, v188, v4
	v_dot4c_i32_i8_e32 v199, v190, v5
	;; [unrolled: 1-line block ×3, first 2 shown]
	s_waitcnt lgkmcnt(0)
	v_lshrrev_b16_e32 v200, 8, v87
	v_bfe_i32 v198, v87, 0, 8
	v_mov_b32_e32 v87, 0
	v_dot4c_i32_i8_e32 v87, v193, v0
	v_dot4c_i32_i8_e32 v87, v195, v1
	;; [unrolled: 1-line block ×5, first 2 shown]
	v_bfe_i32 v200, v200, 0, 8
	v_mul_lo_u32 v202, v199, v198
	v_add3_u32 v86, v147, s21, v86
	v_mad_u64_u32 v[202:203], s[26:27], v87, v200, v[202:203]
	v_cvt_f32_i32_e32 v199, v202
	v_mul_f32_e32 v87, v84, v194
	s_mov_b32 s21, s20
	v_fmac_f32_e32 v104, v87, v199
	v_add_u32_e32 v87, s24, v136
	ds_read2_b32 v[202:203], v87 offset1:1
	s_waitcnt lgkmcnt(0)
	v_ashrrev_i32_e32 v199, s22, v202
	v_add_u32_e32 v202, 0x4200, v210
	ds_read2_b32 v[204:205], v202 offset1:1
	v_and_b32_e32 v201, 0x3030303, v199
	v_bfe_u32 v199, v199, 24, 2
	s_waitcnt lgkmcnt(0)
	v_ashrrev_i32_e32 v202, s19, v204
	v_lshlrev_b32_e32 v202, 2, v202
	v_and_b32_e32 v202, 0x4040404, v202
	v_sub_u16_e32 v204, v201, v202
	v_sub_u16_sdwa v206, v201, v202 dst_sel:BYTE_1 dst_unused:UNUSED_PAD src0_sel:BYTE_1 src1_sel:BYTE_1
	v_sub_u16_sdwa v199, v199, v202 dst_sel:BYTE_1 dst_unused:UNUSED_PAD src0_sel:DWORD src1_sel:BYTE_3
	v_sub_u16_sdwa v201, v201, v202 dst_sel:DWORD dst_unused:UNUSED_PAD src0_sel:WORD_1 src1_sel:WORD_1
	v_or_b32_sdwa v199, v201, v199 dst_sel:WORD_1 dst_unused:UNUSED_PAD src0_sel:BYTE_0 src1_sel:DWORD
	v_ashrrev_i32_e32 v201, s22, v203
	v_ashrrev_i32_e32 v203, s19, v205
	v_lshlrev_b32_e32 v203, 2, v203
	v_or_b32_sdwa v204, v204, v206 dst_sel:DWORD dst_unused:UNUSED_PAD src0_sel:BYTE_0 src1_sel:DWORD
	v_and_b32_e32 v202, 0x3030303, v201
	v_bfe_u32 v201, v201, 24, 2
	v_and_b32_e32 v203, 0x4040404, v203
	v_or_b32_sdwa v199, v204, v199 dst_sel:DWORD dst_unused:UNUSED_PAD src0_sel:WORD_0 src1_sel:DWORD
	v_sub_u16_e32 v204, v202, v203
	v_sub_u16_sdwa v205, v202, v203 dst_sel:BYTE_1 dst_unused:UNUSED_PAD src0_sel:BYTE_1 src1_sel:BYTE_1
	v_sub_u16_sdwa v201, v201, v203 dst_sel:BYTE_1 dst_unused:UNUSED_PAD src0_sel:DWORD src1_sel:BYTE_3
	v_sub_u16_sdwa v202, v202, v203 dst_sel:DWORD dst_unused:UNUSED_PAD src0_sel:WORD_1 src1_sel:WORD_1
	v_or_b32_sdwa v204, v204, v205 dst_sel:DWORD dst_unused:UNUSED_PAD src0_sel:BYTE_0 src1_sel:DWORD
	v_or_b32_sdwa v201, v202, v201 dst_sel:WORD_1 dst_unused:UNUSED_PAD src0_sel:BYTE_0 src1_sel:DWORD
	v_or_b32_sdwa v201, v204, v201 dst_sel:DWORD dst_unused:UNUSED_PAD src0_sel:WORD_0 src1_sel:DWORD
	v_add_u32_e32 v204, 0x4208, v210
	ds_read2_b32 v[202:203], v87 offset0:2 offset1:3
	ds_read2_b32 v[204:205], v204 offset1:1
	s_waitcnt lgkmcnt(1)
	v_ashrrev_i32_e32 v202, s22, v202
	s_waitcnt lgkmcnt(0)
	v_ashrrev_i32_e32 v204, s19, v204
	v_lshlrev_b32_e32 v204, 2, v204
	v_and_b32_e32 v206, 0x3030303, v202
	v_bfe_u32 v202, v202, 24, 2
	v_and_b32_e32 v204, 0x4040404, v204
	v_ashrrev_i32_e32 v205, s19, v205
	v_sub_u16_e32 v207, v206, v204
	v_sub_u16_sdwa v208, v206, v204 dst_sel:BYTE_1 dst_unused:UNUSED_PAD src0_sel:BYTE_1 src1_sel:BYTE_1
	v_sub_u16_sdwa v202, v202, v204 dst_sel:BYTE_1 dst_unused:UNUSED_PAD src0_sel:DWORD src1_sel:BYTE_3
	v_sub_u16_sdwa v204, v206, v204 dst_sel:DWORD dst_unused:UNUSED_PAD src0_sel:WORD_1 src1_sel:WORD_1
	v_ashrrev_i32_e32 v203, s22, v203
	v_lshlrev_b32_e32 v205, 2, v205
	v_or_b32_sdwa v207, v207, v208 dst_sel:DWORD dst_unused:UNUSED_PAD src0_sel:BYTE_0 src1_sel:DWORD
	v_or_b32_sdwa v202, v204, v202 dst_sel:WORD_1 dst_unused:UNUSED_PAD src0_sel:BYTE_0 src1_sel:DWORD
	v_and_b32_e32 v204, 0x3030303, v203
	v_bfe_u32 v203, v203, 24, 2
	v_and_b32_e32 v205, 0x4040404, v205
	v_or_b32_sdwa v202, v207, v202 dst_sel:DWORD dst_unused:UNUSED_PAD src0_sel:WORD_0 src1_sel:DWORD
	v_sub_u16_e32 v206, v204, v205
	v_sub_u16_sdwa v207, v204, v205 dst_sel:BYTE_1 dst_unused:UNUSED_PAD src0_sel:BYTE_1 src1_sel:BYTE_1
	v_sub_u16_sdwa v203, v203, v205 dst_sel:BYTE_1 dst_unused:UNUSED_PAD src0_sel:DWORD src1_sel:BYTE_3
	v_sub_u16_sdwa v204, v204, v205 dst_sel:DWORD dst_unused:UNUSED_PAD src0_sel:WORD_1 src1_sel:WORD_1
	v_or_b32_sdwa v206, v206, v207 dst_sel:DWORD dst_unused:UNUSED_PAD src0_sel:BYTE_0 src1_sel:DWORD
	v_or_b32_sdwa v203, v204, v203 dst_sel:WORD_1 dst_unused:UNUSED_PAD src0_sel:BYTE_0 src1_sel:DWORD
	v_or_b32_sdwa v203, v206, v203 dst_sel:DWORD dst_unused:UNUSED_PAD src0_sel:WORD_0 src1_sel:DWORD
	v_add_u32_e32 v206, 0x4210, v210
	ds_read2_b32 v[204:205], v87 offset0:4 offset1:5
	ds_read2_b32 v[206:207], v206 offset1:1
	s_waitcnt lgkmcnt(1)
	v_ashrrev_i32_e32 v204, s22, v204
	s_waitcnt lgkmcnt(0)
	v_ashrrev_i32_e32 v206, s19, v206
	v_lshlrev_b32_e32 v206, 2, v206
	v_and_b32_e32 v208, 0x3030303, v204
	v_bfe_u32 v204, v204, 24, 2
	v_and_b32_e32 v206, 0x4040404, v206
	v_ashrrev_i32_e32 v207, s19, v207
	v_sub_u16_e32 v209, v208, v206
	v_sub_u16_sdwa v211, v208, v206 dst_sel:BYTE_1 dst_unused:UNUSED_PAD src0_sel:BYTE_1 src1_sel:BYTE_1
	v_sub_u16_sdwa v204, v204, v206 dst_sel:BYTE_1 dst_unused:UNUSED_PAD src0_sel:DWORD src1_sel:BYTE_3
	v_sub_u16_sdwa v206, v208, v206 dst_sel:DWORD dst_unused:UNUSED_PAD src0_sel:WORD_1 src1_sel:WORD_1
	v_ashrrev_i32_e32 v205, s22, v205
	v_lshlrev_b32_e32 v207, 2, v207
	v_or_b32_sdwa v209, v209, v211 dst_sel:DWORD dst_unused:UNUSED_PAD src0_sel:BYTE_0 src1_sel:DWORD
	v_or_b32_sdwa v204, v206, v204 dst_sel:WORD_1 dst_unused:UNUSED_PAD src0_sel:BYTE_0 src1_sel:DWORD
	v_and_b32_e32 v206, 0x3030303, v205
	v_bfe_u32 v205, v205, 24, 2
	v_and_b32_e32 v207, 0x4040404, v207
	v_or_b32_sdwa v204, v209, v204 dst_sel:DWORD dst_unused:UNUSED_PAD src0_sel:WORD_0 src1_sel:DWORD
	v_sub_u16_e32 v208, v206, v207
	v_sub_u16_sdwa v209, v206, v207 dst_sel:BYTE_1 dst_unused:UNUSED_PAD src0_sel:BYTE_1 src1_sel:BYTE_1
	v_sub_u16_sdwa v205, v205, v207 dst_sel:BYTE_1 dst_unused:UNUSED_PAD src0_sel:DWORD src1_sel:BYTE_3
	v_sub_u16_sdwa v206, v206, v207 dst_sel:DWORD dst_unused:UNUSED_PAD src0_sel:WORD_1 src1_sel:WORD_1
	v_or_b32_sdwa v208, v208, v209 dst_sel:DWORD dst_unused:UNUSED_PAD src0_sel:BYTE_0 src1_sel:DWORD
	v_or_b32_sdwa v205, v206, v205 dst_sel:WORD_1 dst_unused:UNUSED_PAD src0_sel:BYTE_0 src1_sel:DWORD
	v_add_u32_e32 v207, 0x4218, v210
	v_or_b32_sdwa v206, v208, v205 dst_sel:DWORD dst_unused:UNUSED_PAD src0_sel:WORD_0 src1_sel:DWORD
	ds_read2_b32 v[208:209], v87 offset0:6 offset1:7
	ds_read2_b32 v[210:211], v207 offset1:1
	s_waitcnt lgkmcnt(1)
	v_ashrrev_i32_e32 v87, s22, v208
	s_waitcnt lgkmcnt(0)
	v_ashrrev_i32_e32 v207, s19, v210
	v_lshlrev_b32_e32 v207, 2, v207
	v_and_b32_e32 v205, 0x3030303, v87
	v_bfe_u32 v87, v87, 24, 2
	v_and_b32_e32 v207, 0x4040404, v207
	v_sub_u16_e32 v208, v205, v207
	v_sub_u16_sdwa v210, v205, v207 dst_sel:BYTE_1 dst_unused:UNUSED_PAD src0_sel:BYTE_1 src1_sel:BYTE_1
	v_sub_u16_sdwa v87, v87, v207 dst_sel:BYTE_1 dst_unused:UNUSED_PAD src0_sel:DWORD src1_sel:BYTE_3
	v_sub_u16_sdwa v205, v205, v207 dst_sel:DWORD dst_unused:UNUSED_PAD src0_sel:WORD_1 src1_sel:WORD_1
	v_or_b32_sdwa v208, v208, v210 dst_sel:DWORD dst_unused:UNUSED_PAD src0_sel:BYTE_0 src1_sel:DWORD
	v_or_b32_sdwa v87, v205, v87 dst_sel:WORD_1 dst_unused:UNUSED_PAD src0_sel:BYTE_0 src1_sel:DWORD
	v_or_b32_sdwa v207, v208, v87 dst_sel:DWORD dst_unused:UNUSED_PAD src0_sel:WORD_0 src1_sel:DWORD
	v_ashrrev_i32_e32 v208, s19, v211
	v_ashrrev_i32_e32 v87, s22, v209
	v_lshlrev_b32_e32 v208, 2, v208
	v_and_b32_e32 v205, 0x3030303, v87
	v_bfe_u32 v87, v87, 24, 2
	v_and_b32_e32 v208, 0x4040404, v208
	v_sub_u16_e32 v209, v205, v208
	v_sub_u16_sdwa v210, v205, v208 dst_sel:BYTE_1 dst_unused:UNUSED_PAD src0_sel:BYTE_1 src1_sel:BYTE_1
	v_sub_u16_sdwa v87, v87, v208 dst_sel:BYTE_1 dst_unused:UNUSED_PAD src0_sel:DWORD src1_sel:BYTE_3
	v_sub_u16_sdwa v205, v205, v208 dst_sel:DWORD dst_unused:UNUSED_PAD src0_sel:WORD_1 src1_sel:WORD_1
	v_or_b32_sdwa v209, v209, v210 dst_sel:DWORD dst_unused:UNUSED_PAD src0_sel:BYTE_0 src1_sel:DWORD
	v_or_b32_sdwa v87, v205, v87 dst_sel:WORD_1 dst_unused:UNUSED_PAD src0_sel:BYTE_0 src1_sel:DWORD
	v_or_b32_sdwa v208, v209, v87 dst_sel:DWORD dst_unused:UNUSED_PAD src0_sel:WORD_0 src1_sel:DWORD
	v_add_u32_e32 v87, s25, v137
	ds_read_b32 v205, v87
	v_mov_b32_e32 v87, 0
	v_dot4c_i32_i8_e32 v87, v199, v4
	ds_read_u16 v4, v86 offset:36594
	v_dot4c_i32_i8_e32 v87, v201, v5
	v_dot4c_i32_i8_e32 v87, v202, v6
	v_mov_b32_e32 v6, 0
	v_dot4c_i32_i8_e32 v6, v204, v0
	v_dot4c_i32_i8_e32 v6, v206, v1
	;; [unrolled: 1-line block ×3, first 2 shown]
	s_waitcnt lgkmcnt(0)
	v_lshrrev_b16_e32 v5, 8, v4
	v_bfe_i32 v209, v4, 0, 8
	v_dot4c_i32_i8_e32 v6, v207, v2
	v_mul_lo_u32 v4, v87, v209
	v_dot4c_i32_i8_e32 v6, v208, v3
	v_bfe_i32 v210, v5, 0, 8
	v_mov_b32_e32 v86, 0
	s_add_i32 s19, s19, 1
	v_mad_u64_u32 v[0:1], s[22:23], v6, v210, v[4:5]
	v_cvt_f32_i32_e32 v0, v0
	v_mul_f32_e32 v1, v84, v205
	v_mov_b32_e32 v84, 0
	s_cmp_lt_u32 s20, 22
	v_fmac_f32_e32 v103, v1, v0
	ds_read_b128 v[0:3], v165 offset:1024
	ds_read_b128 v[4:7], v165 offset:1040
	s_waitcnt lgkmcnt(1)
	v_dot4c_i32_i8_e32 v84, v167, v0
	v_dot4c_i32_i8_e32 v84, v168, v1
	s_waitcnt lgkmcnt(0)
	v_dot4c_i32_i8_e32 v86, v172, v4
	v_dot4c_i32_i8_e32 v84, v169, v2
	;; [unrolled: 1-line block ×6, first 2 shown]
	s_nop 0
	v_mul_lo_u32 v84, v84, v176
	s_nop 0
	v_mad_u64_u32 v[86:87], s[22:23], v86, v178, v[84:85]
	v_cvt_f32_i32_e32 v86, v86
	v_mul_f32_e32 v84, v171, v85
	v_fmac_f32_e32 v99, v84, v86
	v_mov_b32_e32 v84, 0
	v_dot4c_i32_i8_e32 v84, v177, v0
	v_mov_b32_e32 v86, 0
	v_dot4c_i32_i8_e32 v84, v179, v1
	v_dot4c_i32_i8_e32 v86, v182, v4
	;; [unrolled: 1-line block ×7, first 2 shown]
	s_nop 0
	v_mul_lo_u32 v84, v84, v187
	s_nop 0
	v_mad_u64_u32 v[86:87], s[22:23], v86, v189, v[84:85]
	v_cvt_f32_i32_e32 v86, v86
	v_mul_f32_e32 v84, v183, v85
	v_fmac_f32_e32 v98, v84, v86
	v_mov_b32_e32 v84, 0
	v_dot4c_i32_i8_e32 v84, v188, v0
	v_mov_b32_e32 v86, 0
	v_dot4c_i32_i8_e32 v84, v190, v1
	v_dot4c_i32_i8_e32 v86, v193, v4
	;; [unrolled: 1-line block ×7, first 2 shown]
	s_nop 0
	v_mul_lo_u32 v84, v84, v198
	s_nop 0
	v_mad_u64_u32 v[86:87], s[22:23], v86, v200, v[84:85]
	v_cvt_f32_i32_e32 v86, v86
	v_mul_f32_e32 v84, v194, v85
	v_mov_b32_e32 v87, 0
	v_fmac_f32_e32 v97, v84, v86
	v_mov_b32_e32 v84, 0
	v_dot4c_i32_i8_e32 v84, v199, v0
	v_dot4c_i32_i8_e32 v84, v201, v1
	v_mov_b32_e32 v1, 0
	v_dot4c_i32_i8_e32 v1, v204, v4
	v_dot4c_i32_i8_e32 v84, v202, v2
	;; [unrolled: 1-line block ×6, first 2 shown]
	v_mov_b32_e32 v86, 0
	v_mul_lo_u32 v0, v84, v209
	s_nop 0
	v_mad_u64_u32 v[0:1], s[22:23], v1, v210, v[0:1]
	v_cvt_f32_i32_e32 v0, v0
	v_mul_f32_e32 v1, v205, v85
	v_fmac_f32_e32 v83, v1, v0
	ds_read2_b32 v[84:85], v166 offset0:64 offset1:96
	ds_read_b128 v[0:3], v165 offset:2048
	ds_read_b128 v[4:7], v165 offset:2064
	s_waitcnt lgkmcnt(1)
	v_dot4c_i32_i8_e32 v86, v167, v0
	v_dot4c_i32_i8_e32 v86, v168, v1
	s_waitcnt lgkmcnt(0)
	v_dot4c_i32_i8_e32 v87, v172, v4
	v_dot4c_i32_i8_e32 v86, v169, v2
	;; [unrolled: 1-line block ×6, first 2 shown]
	s_nop 0
	v_mul_lo_u32 v86, v86, v176
	s_nop 0
	v_mad_u64_u32 v[86:87], s[22:23], v87, v178, v[86:87]
	v_cvt_f32_i32_e32 v86, v86
	v_mul_f32_e32 v87, v171, v84
	v_fmac_f32_e32 v77, v87, v86
	v_mov_b32_e32 v86, 0
	v_dot4c_i32_i8_e32 v86, v177, v0
	v_mov_b32_e32 v87, 0
	v_dot4c_i32_i8_e32 v86, v179, v1
	v_dot4c_i32_i8_e32 v87, v182, v4
	;; [unrolled: 1-line block ×7, first 2 shown]
	s_nop 0
	v_mul_lo_u32 v86, v86, v187
	s_nop 0
	v_mad_u64_u32 v[86:87], s[22:23], v87, v189, v[86:87]
	v_cvt_f32_i32_e32 v86, v86
	v_mul_f32_e32 v87, v183, v84
	v_fmac_f32_e32 v61, v87, v86
	v_mov_b32_e32 v86, 0
	v_dot4c_i32_i8_e32 v86, v188, v0
	v_mov_b32_e32 v87, 0
	v_dot4c_i32_i8_e32 v86, v190, v1
	v_dot4c_i32_i8_e32 v87, v193, v4
	v_dot4c_i32_i8_e32 v86, v191, v2
	v_dot4c_i32_i8_e32 v87, v195, v5
	v_dot4c_i32_i8_e32 v86, v192, v3
	v_dot4c_i32_i8_e32 v87, v196, v6
	v_dot4c_i32_i8_e32 v87, v197, v7
	s_nop 0
	v_mul_lo_u32 v86, v86, v198
	s_nop 0
	v_mad_u64_u32 v[86:87], s[22:23], v87, v200, v[86:87]
	v_cvt_f32_i32_e32 v86, v86
	v_mul_f32_e32 v87, v194, v84
	v_fmac_f32_e32 v55, v87, v86
	v_mov_b32_e32 v86, 0
	v_dot4c_i32_i8_e32 v86, v199, v0
	v_dot4c_i32_i8_e32 v86, v201, v1
	v_mov_b32_e32 v1, 0
	v_dot4c_i32_i8_e32 v1, v204, v4
	v_dot4c_i32_i8_e32 v86, v202, v2
	;; [unrolled: 1-line block ×6, first 2 shown]
	s_nop 0
	v_mul_lo_u32 v0, v86, v209
	v_mov_b32_e32 v86, 0
	v_mad_u64_u32 v[0:1], s[22:23], v1, v210, v[0:1]
	v_cvt_f32_i32_e32 v0, v0
	v_mul_f32_e32 v1, v205, v84
	v_mov_b32_e32 v84, 0
	v_fmac_f32_e32 v53, v1, v0
	ds_read_b128 v[0:3], v165 offset:3072
	ds_read_b128 v[4:7], v165 offset:3088
	s_waitcnt lgkmcnt(1)
	v_dot4c_i32_i8_e32 v84, v167, v0
	v_dot4c_i32_i8_e32 v84, v168, v1
	s_waitcnt lgkmcnt(0)
	v_dot4c_i32_i8_e32 v86, v172, v4
	v_dot4c_i32_i8_e32 v84, v169, v2
	;; [unrolled: 1-line block ×6, first 2 shown]
	s_nop 0
	v_mul_lo_u32 v84, v84, v176
	s_nop 0
	v_mad_u64_u32 v[86:87], s[22:23], v86, v178, v[84:85]
	v_cvt_f32_i32_e32 v86, v86
	v_mul_f32_e32 v84, v171, v85
	v_fmac_f32_e32 v51, v84, v86
	v_mov_b32_e32 v84, 0
	v_dot4c_i32_i8_e32 v84, v177, v0
	v_mov_b32_e32 v86, 0
	v_dot4c_i32_i8_e32 v84, v179, v1
	v_dot4c_i32_i8_e32 v86, v182, v4
	;; [unrolled: 1-line block ×7, first 2 shown]
	s_nop 0
	v_mul_lo_u32 v84, v84, v187
	s_nop 0
	v_mad_u64_u32 v[86:87], s[22:23], v86, v189, v[84:85]
	v_cvt_f32_i32_e32 v86, v86
	v_mul_f32_e32 v84, v183, v85
	v_fmac_f32_e32 v49, v84, v86
	v_mov_b32_e32 v84, 0
	v_dot4c_i32_i8_e32 v84, v188, v0
	v_mov_b32_e32 v86, 0
	v_dot4c_i32_i8_e32 v84, v190, v1
	v_dot4c_i32_i8_e32 v86, v193, v4
	;; [unrolled: 1-line block ×7, first 2 shown]
	s_nop 0
	v_mul_lo_u32 v84, v84, v198
	s_nop 0
	v_mad_u64_u32 v[86:87], s[22:23], v86, v200, v[84:85]
	v_cvt_f32_i32_e32 v86, v86
	v_mul_f32_e32 v84, v194, v85
	v_mov_b32_e32 v87, 0
	v_fmac_f32_e32 v47, v84, v86
	v_mov_b32_e32 v84, 0
	v_dot4c_i32_i8_e32 v84, v199, v0
	v_dot4c_i32_i8_e32 v84, v201, v1
	v_mov_b32_e32 v1, 0
	v_dot4c_i32_i8_e32 v1, v204, v4
	v_dot4c_i32_i8_e32 v84, v202, v2
	;; [unrolled: 1-line block ×6, first 2 shown]
	v_mov_b32_e32 v86, 0
	v_mul_lo_u32 v0, v84, v209
	s_nop 0
	v_mad_u64_u32 v[0:1], s[22:23], v1, v210, v[0:1]
	v_cvt_f32_i32_e32 v0, v0
	v_mul_f32_e32 v1, v205, v85
	v_fmac_f32_e32 v43, v1, v0
	ds_read2_b32 v[84:85], v166 offset0:128 offset1:160
	ds_read_b128 v[0:3], v165 offset:4096
	ds_read_b128 v[4:7], v165 offset:4112
	s_waitcnt lgkmcnt(1)
	v_dot4c_i32_i8_e32 v86, v167, v0
	v_dot4c_i32_i8_e32 v86, v168, v1
	s_waitcnt lgkmcnt(0)
	v_dot4c_i32_i8_e32 v87, v172, v4
	v_dot4c_i32_i8_e32 v86, v169, v2
	;; [unrolled: 1-line block ×6, first 2 shown]
	s_nop 0
	v_mul_lo_u32 v86, v86, v176
	s_nop 0
	v_mad_u64_u32 v[86:87], s[22:23], v87, v178, v[86:87]
	v_cvt_f32_i32_e32 v86, v86
	v_mul_f32_e32 v87, v171, v84
	v_fmac_f32_e32 v39, v87, v86
	v_mov_b32_e32 v86, 0
	v_dot4c_i32_i8_e32 v86, v177, v0
	v_mov_b32_e32 v87, 0
	v_dot4c_i32_i8_e32 v86, v179, v1
	v_dot4c_i32_i8_e32 v87, v182, v4
	;; [unrolled: 1-line block ×7, first 2 shown]
	s_nop 0
	v_mul_lo_u32 v86, v86, v187
	s_nop 0
	v_mad_u64_u32 v[86:87], s[22:23], v87, v189, v[86:87]
	v_cvt_f32_i32_e32 v86, v86
	v_mul_f32_e32 v87, v183, v84
	v_fmac_f32_e32 v37, v87, v86
	v_mov_b32_e32 v86, 0
	v_dot4c_i32_i8_e32 v86, v188, v0
	v_mov_b32_e32 v87, 0
	v_dot4c_i32_i8_e32 v86, v190, v1
	v_dot4c_i32_i8_e32 v87, v193, v4
	v_dot4c_i32_i8_e32 v86, v191, v2
	v_dot4c_i32_i8_e32 v87, v195, v5
	v_dot4c_i32_i8_e32 v86, v192, v3
	v_dot4c_i32_i8_e32 v87, v196, v6
	v_dot4c_i32_i8_e32 v87, v197, v7
	s_nop 0
	v_mul_lo_u32 v86, v86, v198
	s_nop 0
	v_mad_u64_u32 v[86:87], s[22:23], v87, v200, v[86:87]
	v_cvt_f32_i32_e32 v86, v86
	v_mul_f32_e32 v87, v194, v84
	v_fmac_f32_e32 v35, v87, v86
	v_mov_b32_e32 v86, 0
	v_dot4c_i32_i8_e32 v86, v199, v0
	v_dot4c_i32_i8_e32 v86, v201, v1
	v_mov_b32_e32 v1, 0
	v_dot4c_i32_i8_e32 v1, v204, v4
	v_dot4c_i32_i8_e32 v86, v202, v2
	;; [unrolled: 1-line block ×6, first 2 shown]
	s_nop 0
	v_mul_lo_u32 v0, v86, v209
	v_mov_b32_e32 v86, 0
	v_mad_u64_u32 v[0:1], s[22:23], v1, v210, v[0:1]
	v_cvt_f32_i32_e32 v0, v0
	v_mul_f32_e32 v1, v205, v84
	v_mov_b32_e32 v84, 0
	v_fmac_f32_e32 v33, v1, v0
	ds_read_b128 v[0:3], v165 offset:5120
	ds_read_b128 v[4:7], v165 offset:5136
	s_waitcnt lgkmcnt(1)
	v_dot4c_i32_i8_e32 v84, v167, v0
	v_dot4c_i32_i8_e32 v84, v168, v1
	s_waitcnt lgkmcnt(0)
	v_dot4c_i32_i8_e32 v86, v172, v4
	v_dot4c_i32_i8_e32 v84, v169, v2
	;; [unrolled: 1-line block ×6, first 2 shown]
	s_nop 0
	v_mul_lo_u32 v84, v84, v176
	s_nop 0
	v_mad_u64_u32 v[86:87], s[22:23], v86, v178, v[84:85]
	v_cvt_f32_i32_e32 v86, v86
	v_mul_f32_e32 v84, v171, v85
	v_fmac_f32_e32 v31, v84, v86
	v_mov_b32_e32 v84, 0
	v_dot4c_i32_i8_e32 v84, v177, v0
	v_mov_b32_e32 v86, 0
	v_dot4c_i32_i8_e32 v84, v179, v1
	v_dot4c_i32_i8_e32 v86, v182, v4
	;; [unrolled: 1-line block ×7, first 2 shown]
	s_nop 0
	v_mul_lo_u32 v84, v84, v187
	s_nop 0
	v_mad_u64_u32 v[86:87], s[22:23], v86, v189, v[84:85]
	v_cvt_f32_i32_e32 v86, v86
	v_mul_f32_e32 v84, v183, v85
	v_fmac_f32_e32 v29, v84, v86
	v_mov_b32_e32 v84, 0
	v_dot4c_i32_i8_e32 v84, v188, v0
	v_mov_b32_e32 v86, 0
	v_dot4c_i32_i8_e32 v84, v190, v1
	v_dot4c_i32_i8_e32 v86, v193, v4
	;; [unrolled: 1-line block ×7, first 2 shown]
	s_nop 0
	v_mul_lo_u32 v84, v84, v198
	s_nop 0
	v_mad_u64_u32 v[86:87], s[22:23], v86, v200, v[84:85]
	v_cvt_f32_i32_e32 v86, v86
	v_mul_f32_e32 v84, v194, v85
	v_mov_b32_e32 v87, 0
	v_fmac_f32_e32 v27, v84, v86
	v_mov_b32_e32 v84, 0
	v_dot4c_i32_i8_e32 v84, v199, v0
	v_dot4c_i32_i8_e32 v84, v201, v1
	v_mov_b32_e32 v1, 0
	v_dot4c_i32_i8_e32 v1, v204, v4
	v_dot4c_i32_i8_e32 v84, v202, v2
	;; [unrolled: 1-line block ×6, first 2 shown]
	v_mov_b32_e32 v86, 0
	v_mul_lo_u32 v0, v84, v209
	s_nop 0
	v_mad_u64_u32 v[0:1], s[22:23], v1, v210, v[0:1]
	v_cvt_f32_i32_e32 v0, v0
	v_mul_f32_e32 v1, v205, v85
	v_fmac_f32_e32 v25, v1, v0
	ds_read2_b32 v[84:85], v166 offset0:192 offset1:224
	ds_read_b128 v[4:7], v165 offset:6144
	ds_read_b128 v[0:3], v165 offset:6160
	v_add_u32_e32 v166, 4, v166
	s_waitcnt lgkmcnt(1)
	v_dot4c_i32_i8_e32 v86, v167, v4
	v_dot4c_i32_i8_e32 v86, v168, v5
	s_waitcnt lgkmcnt(0)
	v_dot4c_i32_i8_e32 v87, v172, v0
	v_dot4c_i32_i8_e32 v86, v169, v6
	;; [unrolled: 1-line block ×6, first 2 shown]
	s_nop 0
	v_mul_lo_u32 v86, v86, v176
	s_nop 0
	v_mad_u64_u32 v[86:87], s[22:23], v87, v178, v[86:87]
	v_cvt_f32_i32_e32 v86, v86
	v_mul_f32_e32 v87, v171, v84
	v_fmac_f32_e32 v23, v87, v86
	v_mov_b32_e32 v86, 0
	v_dot4c_i32_i8_e32 v86, v177, v4
	v_mov_b32_e32 v87, 0
	v_dot4c_i32_i8_e32 v86, v179, v5
	v_dot4c_i32_i8_e32 v87, v182, v0
	;; [unrolled: 1-line block ×7, first 2 shown]
	s_nop 0
	v_mul_lo_u32 v86, v86, v187
	s_nop 0
	v_mad_u64_u32 v[86:87], s[22:23], v87, v189, v[86:87]
	v_cvt_f32_i32_e32 v86, v86
	v_mul_f32_e32 v87, v183, v84
	v_fmac_f32_e32 v21, v87, v86
	v_mov_b32_e32 v86, 0
	v_dot4c_i32_i8_e32 v86, v188, v4
	v_mov_b32_e32 v87, 0
	v_dot4c_i32_i8_e32 v86, v190, v5
	v_dot4c_i32_i8_e32 v87, v193, v0
	;; [unrolled: 1-line block ×7, first 2 shown]
	s_nop 0
	v_mul_lo_u32 v86, v86, v198
	s_nop 0
	v_mad_u64_u32 v[86:87], s[22:23], v87, v200, v[86:87]
	v_cvt_f32_i32_e32 v86, v86
	v_mul_f32_e32 v87, v194, v84
	v_fmac_f32_e32 v19, v87, v86
	v_mov_b32_e32 v86, 0
	v_dot4c_i32_i8_e32 v86, v199, v4
	v_dot4c_i32_i8_e32 v86, v201, v5
	v_mov_b32_e32 v5, 0
	v_dot4c_i32_i8_e32 v5, v204, v0
	v_dot4c_i32_i8_e32 v86, v202, v6
	;; [unrolled: 1-line block ×6, first 2 shown]
	s_nop 0
	v_mul_lo_u32 v4, v86, v209
	v_mov_b32_e32 v86, 0
	v_mad_u64_u32 v[0:1], s[22:23], v5, v210, v[4:5]
	v_cvt_f32_i32_e32 v0, v0
	v_mul_f32_e32 v1, v205, v84
	v_mov_b32_e32 v84, 0
	v_fmac_f32_e32 v17, v1, v0
	ds_read_b128 v[0:3], v165 offset:7168
	ds_read_b128 v[4:7], v165 offset:7184
	v_add_u32_e32 v165, 32, v165
	s_waitcnt lgkmcnt(1)
	v_dot4c_i32_i8_e32 v84, v167, v0
	v_dot4c_i32_i8_e32 v84, v168, v1
	s_waitcnt lgkmcnt(0)
	v_dot4c_i32_i8_e32 v86, v172, v4
	v_dot4c_i32_i8_e32 v84, v169, v2
	;; [unrolled: 1-line block ×6, first 2 shown]
	s_nop 0
	v_mul_lo_u32 v84, v84, v176
	s_nop 0
	v_mad_u64_u32 v[86:87], s[22:23], v86, v178, v[84:85]
	v_cvt_f32_i32_e32 v86, v86
	v_mul_f32_e32 v84, v171, v85
	v_fmac_f32_e32 v15, v84, v86
	v_mov_b32_e32 v84, 0
	v_dot4c_i32_i8_e32 v84, v177, v0
	v_mov_b32_e32 v86, 0
	v_dot4c_i32_i8_e32 v84, v179, v1
	v_dot4c_i32_i8_e32 v86, v182, v4
	;; [unrolled: 1-line block ×7, first 2 shown]
	s_nop 0
	v_mul_lo_u32 v84, v84, v187
	s_nop 0
	v_mad_u64_u32 v[86:87], s[22:23], v86, v189, v[84:85]
	v_cvt_f32_i32_e32 v86, v86
	v_mul_f32_e32 v84, v183, v85
	v_fmac_f32_e32 v13, v84, v86
	v_mov_b32_e32 v84, 0
	v_dot4c_i32_i8_e32 v84, v188, v0
	v_mov_b32_e32 v86, 0
	v_dot4c_i32_i8_e32 v84, v190, v1
	v_dot4c_i32_i8_e32 v86, v193, v4
	;; [unrolled: 1-line block ×7, first 2 shown]
	s_nop 0
	v_mul_lo_u32 v84, v84, v198
	s_nop 0
	v_mad_u64_u32 v[86:87], s[22:23], v86, v200, v[84:85]
	v_cvt_f32_i32_e32 v86, v86
	v_mul_f32_e32 v84, v194, v85
	v_fmac_f32_e32 v11, v84, v86
	v_mov_b32_e32 v84, 0
	v_dot4c_i32_i8_e32 v84, v199, v0
	v_dot4c_i32_i8_e32 v84, v201, v1
	v_mov_b32_e32 v1, 0
	v_dot4c_i32_i8_e32 v1, v204, v4
	v_dot4c_i32_i8_e32 v84, v202, v2
	;; [unrolled: 1-line block ×6, first 2 shown]
	s_nop 0
	v_mul_lo_u32 v0, v84, v209
	s_nop 0
	v_mad_u64_u32 v[0:1], s[22:23], v1, v210, v[0:1]
	v_cvt_f32_i32_e32 v0, v0
	v_mul_f32_e32 v1, v205, v85
	v_fmac_f32_e32 v9, v1, v0
	s_cbranch_scc1 .LBB149_12
; %bb.13:                               ;   in Loop: Header=BB149_6 Depth=1
	v_add_u32_e32 v165, s17, v140
	v_add_u32_e32 v0, v165, v106
	;; [unrolled: 1-line block ×10, first 2 shown]
	v_mad_i64_i32 v[0:1], s[18:19], v0, 36, v[80:81]
	v_mad_i64_i32 v[2:3], s[18:19], v2, 36, v[80:81]
	;; [unrolled: 1-line block ×5, first 2 shown]
	v_mad_u64_u32 v[164:165], s[18:19], v164, 36, s[2:3]
	s_barrier
	v_mad_i64_i32 v[84:85], s[18:19], v84, 36, v[80:81]
	v_mad_i64_i32 v[86:87], s[18:19], v86, 36, v[80:81]
	;; [unrolled: 1-line block ×3, first 2 shown]
	global_load_dword v165, v[164:165], off
	s_nop 0
	global_load_dword v0, v[0:1], off offset:4
	s_nop 0
	global_load_dword v1, v[2:3], off offset:4
	;; [unrolled: 2-line block ×3, first 2 shown]
	global_load_dword v3, v[6:7], off offset:4
	s_nop 0
	global_load_dword v4, v[84:85], off offset:4
	global_load_dword v5, v[86:87], off offset:4
	;; [unrolled: 1-line block ×4, first 2 shown]
	s_mov_b32 s17, 24
	s_mov_b32 s20, 22
	;; [unrolled: 1-line block ×3, first 2 shown]
	v_mov_b32_e32 v164, v150
	s_waitcnt vmcnt(8)
	v_cvt_f32_f16_e32 v84, v165
	v_mov_b32_e32 v165, v149
	s_waitcnt vmcnt(7)
	ds_write_b32 v108, v0
	s_waitcnt vmcnt(6)
	ds_write_b32 v111, v1
	;; [unrolled: 2-line block ×8, first 2 shown]
	ds_write_b32 v105, v84
	s_waitcnt lgkmcnt(0)
	s_barrier
.LBB149_14:                             ;   Parent Loop BB149_6 Depth=1
                                        ; =>  This Inner Loop Header: Depth=2
	s_add_i32 s19, s20, 2
	s_lshr_b32 s24, s19, 4
	s_and_b32 s23, s19, 0x3ffffff8
	s_lshl_b32 s22, s24, 3
	s_lshl_b32 s23, s23, 2
	v_add_lshl_u32 v176, v126, s22, 2
	v_add_u32_e32 v87, s23, v127
	v_add_u32_e32 v168, 0x4200, v176
	ds_read2_b32 v[84:85], v165 offset1:32
	ds_read_b128 v[4:7], v164
	ds_read_b128 v[0:3], v164 offset:16
	ds_read2_b32 v[166:167], v87 offset1:1
	ds_read2_b32 v[168:169], v168 offset1:1
	s_and_b32 s21, s17, -16
	v_add_u32_e32 v86, s21, v125
	s_sub_i32 s21, s20, 22
	s_waitcnt lgkmcnt(1)
	v_ashrrev_i32_e32 v166, s21, v166
	s_waitcnt lgkmcnt(0)
	v_ashrrev_i32_e32 v168, s18, v168
	v_lshlrev_b32_e32 v168, 2, v168
	v_and_b32_e32 v170, 0x3030303, v166
	v_bfe_u32 v166, v166, 24, 2
	v_and_b32_e32 v168, 0x4040404, v168
	v_ashrrev_i32_e32 v169, s18, v169
	v_sub_u16_e32 v171, v170, v168
	v_sub_u16_sdwa v172, v170, v168 dst_sel:BYTE_1 dst_unused:UNUSED_PAD src0_sel:BYTE_1 src1_sel:BYTE_1
	v_sub_u16_sdwa v166, v166, v168 dst_sel:BYTE_1 dst_unused:UNUSED_PAD src0_sel:DWORD src1_sel:BYTE_3
	v_sub_u16_sdwa v168, v170, v168 dst_sel:DWORD dst_unused:UNUSED_PAD src0_sel:WORD_1 src1_sel:WORD_1
	v_ashrrev_i32_e32 v167, s21, v167
	v_lshlrev_b32_e32 v169, 2, v169
	v_or_b32_sdwa v171, v171, v172 dst_sel:DWORD dst_unused:UNUSED_PAD src0_sel:BYTE_0 src1_sel:DWORD
	v_or_b32_sdwa v166, v168, v166 dst_sel:WORD_1 dst_unused:UNUSED_PAD src0_sel:BYTE_0 src1_sel:DWORD
	v_and_b32_e32 v168, 0x3030303, v167
	v_bfe_u32 v167, v167, 24, 2
	v_and_b32_e32 v169, 0x4040404, v169
	v_or_b32_sdwa v166, v171, v166 dst_sel:DWORD dst_unused:UNUSED_PAD src0_sel:WORD_0 src1_sel:DWORD
	v_sub_u16_e32 v170, v168, v169
	v_sub_u16_sdwa v171, v168, v169 dst_sel:BYTE_1 dst_unused:UNUSED_PAD src0_sel:BYTE_1 src1_sel:BYTE_1
	v_sub_u16_sdwa v167, v167, v169 dst_sel:BYTE_1 dst_unused:UNUSED_PAD src0_sel:DWORD src1_sel:BYTE_3
	v_sub_u16_sdwa v168, v168, v169 dst_sel:DWORD dst_unused:UNUSED_PAD src0_sel:WORD_1 src1_sel:WORD_1
	v_or_b32_sdwa v170, v170, v171 dst_sel:DWORD dst_unused:UNUSED_PAD src0_sel:BYTE_0 src1_sel:DWORD
	v_or_b32_sdwa v167, v168, v167 dst_sel:WORD_1 dst_unused:UNUSED_PAD src0_sel:BYTE_0 src1_sel:DWORD
	v_or_b32_sdwa v167, v170, v167 dst_sel:DWORD dst_unused:UNUSED_PAD src0_sel:WORD_0 src1_sel:DWORD
	v_add_u32_e32 v170, 0x4208, v176
	ds_read2_b32 v[168:169], v87 offset0:2 offset1:3
	ds_read2_b32 v[170:171], v170 offset1:1
	s_lshl_b32 s24, s24, 2
	v_add_lshl_u32 v186, v129, s22, 2
	v_add_u32_e32 v180, 0x4200, v186
	s_waitcnt lgkmcnt(1)
	v_ashrrev_i32_e32 v168, s21, v168
	s_waitcnt lgkmcnt(0)
	v_ashrrev_i32_e32 v170, s18, v170
	v_lshlrev_b32_e32 v170, 2, v170
	v_and_b32_e32 v172, 0x3030303, v168
	v_bfe_u32 v168, v168, 24, 2
	v_and_b32_e32 v170, 0x4040404, v170
	v_ashrrev_i32_e32 v171, s18, v171
	v_sub_u16_e32 v173, v172, v170
	v_sub_u16_sdwa v174, v172, v170 dst_sel:BYTE_1 dst_unused:UNUSED_PAD src0_sel:BYTE_1 src1_sel:BYTE_1
	v_sub_u16_sdwa v168, v168, v170 dst_sel:BYTE_1 dst_unused:UNUSED_PAD src0_sel:DWORD src1_sel:BYTE_3
	v_sub_u16_sdwa v170, v172, v170 dst_sel:DWORD dst_unused:UNUSED_PAD src0_sel:WORD_1 src1_sel:WORD_1
	v_ashrrev_i32_e32 v169, s21, v169
	v_lshlrev_b32_e32 v171, 2, v171
	v_or_b32_sdwa v173, v173, v174 dst_sel:DWORD dst_unused:UNUSED_PAD src0_sel:BYTE_0 src1_sel:DWORD
	v_or_b32_sdwa v168, v170, v168 dst_sel:WORD_1 dst_unused:UNUSED_PAD src0_sel:BYTE_0 src1_sel:DWORD
	v_and_b32_e32 v170, 0x3030303, v169
	v_bfe_u32 v169, v169, 24, 2
	v_and_b32_e32 v171, 0x4040404, v171
	v_or_b32_sdwa v168, v173, v168 dst_sel:DWORD dst_unused:UNUSED_PAD src0_sel:WORD_0 src1_sel:DWORD
	v_sub_u16_e32 v172, v170, v171
	v_sub_u16_sdwa v173, v170, v171 dst_sel:BYTE_1 dst_unused:UNUSED_PAD src0_sel:BYTE_1 src1_sel:BYTE_1
	v_sub_u16_sdwa v169, v169, v171 dst_sel:BYTE_1 dst_unused:UNUSED_PAD src0_sel:DWORD src1_sel:BYTE_3
	v_sub_u16_sdwa v170, v170, v171 dst_sel:DWORD dst_unused:UNUSED_PAD src0_sel:WORD_1 src1_sel:WORD_1
	v_or_b32_sdwa v172, v172, v173 dst_sel:DWORD dst_unused:UNUSED_PAD src0_sel:BYTE_0 src1_sel:DWORD
	v_or_b32_sdwa v169, v170, v169 dst_sel:WORD_1 dst_unused:UNUSED_PAD src0_sel:BYTE_0 src1_sel:DWORD
	v_or_b32_sdwa v169, v172, v169 dst_sel:DWORD dst_unused:UNUSED_PAD src0_sel:WORD_0 src1_sel:DWORD
	ds_read2_b32 v[172:173], v87 offset0:4 offset1:5
	v_add_lshl_u32 v208, v135, s22, 2
	v_add_lshl_u32 v198, v132, s22, 2
	v_add_u32_e32 v202, 0x4200, v208
	s_add_i32 s17, s17, 2
	s_waitcnt lgkmcnt(0)
	v_ashrrev_i32_e32 v170, s21, v172
	v_add_u32_e32 v172, 0x4210, v176
	ds_read2_b32 v[174:175], v172 offset1:1
	v_and_b32_e32 v171, 0x3030303, v170
	v_bfe_u32 v170, v170, 24, 2
	ds_read2_b32 v[180:181], v180 offset1:1
	ds_read2_b32 v[202:203], v202 offset1:1
	s_waitcnt lgkmcnt(2)
	v_ashrrev_i32_e32 v172, s18, v174
	v_lshlrev_b32_e32 v172, 2, v172
	v_and_b32_e32 v172, 0x4040404, v172
	v_sub_u16_e32 v174, v171, v172
	v_sub_u16_sdwa v177, v171, v172 dst_sel:BYTE_1 dst_unused:UNUSED_PAD src0_sel:BYTE_1 src1_sel:BYTE_1
	v_sub_u16_sdwa v170, v170, v172 dst_sel:BYTE_1 dst_unused:UNUSED_PAD src0_sel:DWORD src1_sel:BYTE_3
	v_sub_u16_sdwa v171, v171, v172 dst_sel:DWORD dst_unused:UNUSED_PAD src0_sel:WORD_1 src1_sel:WORD_1
	v_or_b32_sdwa v174, v174, v177 dst_sel:DWORD dst_unused:UNUSED_PAD src0_sel:BYTE_0 src1_sel:DWORD
	v_or_b32_sdwa v170, v171, v170 dst_sel:WORD_1 dst_unused:UNUSED_PAD src0_sel:BYTE_0 src1_sel:DWORD
	v_or_b32_sdwa v171, v174, v170 dst_sel:DWORD dst_unused:UNUSED_PAD src0_sel:WORD_0 src1_sel:DWORD
	v_ashrrev_i32_e32 v170, s21, v173
	v_ashrrev_i32_e32 v173, s18, v175
	v_lshlrev_b32_e32 v173, 2, v173
	v_and_b32_e32 v172, 0x3030303, v170
	v_bfe_u32 v170, v170, 24, 2
	v_and_b32_e32 v173, 0x4040404, v173
	v_sub_u16_e32 v174, v172, v173
	v_sub_u16_sdwa v175, v172, v173 dst_sel:BYTE_1 dst_unused:UNUSED_PAD src0_sel:BYTE_1 src1_sel:BYTE_1
	v_sub_u16_sdwa v170, v170, v173 dst_sel:BYTE_1 dst_unused:UNUSED_PAD src0_sel:DWORD src1_sel:BYTE_3
	v_sub_u16_sdwa v172, v172, v173 dst_sel:DWORD dst_unused:UNUSED_PAD src0_sel:WORD_1 src1_sel:WORD_1
	v_or_b32_sdwa v174, v174, v175 dst_sel:DWORD dst_unused:UNUSED_PAD src0_sel:BYTE_0 src1_sel:DWORD
	v_or_b32_sdwa v170, v172, v170 dst_sel:WORD_1 dst_unused:UNUSED_PAD src0_sel:BYTE_0 src1_sel:DWORD
	v_add_u32_e32 v173, 0x4218, v176
	v_or_b32_sdwa v172, v174, v170 dst_sel:DWORD dst_unused:UNUSED_PAD src0_sel:WORD_0 src1_sel:DWORD
	ds_read2_b32 v[174:175], v87 offset0:6 offset1:7
	ds_read2_b32 v[176:177], v173 offset1:1
	s_waitcnt lgkmcnt(3)
	v_ashrrev_i32_e32 v180, s18, v180
	v_lshlrev_b32_e32 v180, 2, v180
	v_and_b32_e32 v180, 0x4040404, v180
	s_waitcnt lgkmcnt(1)
	v_ashrrev_i32_e32 v87, s21, v174
	s_waitcnt lgkmcnt(0)
	v_ashrrev_i32_e32 v173, s18, v176
	v_lshlrev_b32_e32 v173, 2, v173
	v_and_b32_e32 v170, 0x3030303, v87
	v_bfe_u32 v87, v87, 24, 2
	v_and_b32_e32 v173, 0x4040404, v173
	v_sub_u16_e32 v174, v170, v173
	v_sub_u16_sdwa v176, v170, v173 dst_sel:BYTE_1 dst_unused:UNUSED_PAD src0_sel:BYTE_1 src1_sel:BYTE_1
	v_sub_u16_sdwa v87, v87, v173 dst_sel:BYTE_1 dst_unused:UNUSED_PAD src0_sel:DWORD src1_sel:BYTE_3
	v_sub_u16_sdwa v170, v170, v173 dst_sel:DWORD dst_unused:UNUSED_PAD src0_sel:WORD_1 src1_sel:WORD_1
	v_or_b32_sdwa v174, v174, v176 dst_sel:DWORD dst_unused:UNUSED_PAD src0_sel:BYTE_0 src1_sel:DWORD
	v_or_b32_sdwa v87, v170, v87 dst_sel:WORD_1 dst_unused:UNUSED_PAD src0_sel:BYTE_0 src1_sel:DWORD
	v_or_b32_sdwa v173, v174, v87 dst_sel:DWORD dst_unused:UNUSED_PAD src0_sel:WORD_0 src1_sel:DWORD
	v_ashrrev_i32_e32 v174, s18, v177
	v_ashrrev_i32_e32 v87, s21, v175
	v_lshlrev_b32_e32 v174, 2, v174
	v_and_b32_e32 v170, 0x3030303, v87
	v_bfe_u32 v87, v87, 24, 2
	v_and_b32_e32 v174, 0x4040404, v174
	v_sub_u16_e32 v175, v170, v174
	v_sub_u16_sdwa v176, v170, v174 dst_sel:BYTE_1 dst_unused:UNUSED_PAD src0_sel:BYTE_1 src1_sel:BYTE_1
	v_sub_u16_sdwa v87, v87, v174 dst_sel:BYTE_1 dst_unused:UNUSED_PAD src0_sel:DWORD src1_sel:BYTE_3
	v_sub_u16_sdwa v170, v170, v174 dst_sel:DWORD dst_unused:UNUSED_PAD src0_sel:WORD_1 src1_sel:WORD_1
	v_or_b32_sdwa v175, v175, v176 dst_sel:DWORD dst_unused:UNUSED_PAD src0_sel:BYTE_0 src1_sel:DWORD
	v_or_b32_sdwa v87, v170, v87 dst_sel:WORD_1 dst_unused:UNUSED_PAD src0_sel:BYTE_0 src1_sel:DWORD
	v_or_b32_sdwa v174, v175, v87 dst_sel:DWORD dst_unused:UNUSED_PAD src0_sel:WORD_0 src1_sel:DWORD
	v_add3_u32 v87, v141, s20, v86
	v_add_u32_e32 v170, s24, v128
	ds_read_b32 v170, v170
	ds_read_u16 v87, v87 offset:33522
	v_mov_b32_e32 v176, 0
	v_dot4c_i32_i8_e32 v176, v166, v4
	v_dot4c_i32_i8_e32 v176, v167, v5
	;; [unrolled: 1-line block ×3, first 2 shown]
	s_waitcnt lgkmcnt(0)
	v_lshrrev_b16_e32 v177, 8, v87
	v_bfe_i32 v175, v87, 0, 8
	v_mov_b32_e32 v87, 0
	v_dot4c_i32_i8_e32 v87, v171, v0
	v_dot4c_i32_i8_e32 v87, v172, v1
	;; [unrolled: 1-line block ×5, first 2 shown]
	v_bfe_i32 v177, v177, 0, 8
	v_mul_lo_u32 v176, v176, v175
	v_ashrrev_i32_e32 v202, s18, v202
	v_mad_u64_u32 v[178:179], s[26:27], v87, v177, v[176:177]
	v_cvt_f32_i32_e32 v176, v178
	v_mul_f32_e32 v87, v84, v170
	v_lshlrev_b32_e32 v202, 2, v202
	v_and_b32_e32 v202, 0x4040404, v202
	v_fmac_f32_e32 v119, v87, v176
	v_add_u32_e32 v87, s23, v130
	ds_read2_b32 v[178:179], v87 offset1:1
	s_waitcnt lgkmcnt(0)
	v_ashrrev_i32_e32 v176, s21, v178
	v_and_b32_e32 v178, 0x3030303, v176
	v_bfe_u32 v176, v176, 24, 2
	v_sub_u16_e32 v182, v178, v180
	v_sub_u16_sdwa v183, v178, v180 dst_sel:BYTE_1 dst_unused:UNUSED_PAD src0_sel:BYTE_1 src1_sel:BYTE_1
	v_sub_u16_sdwa v176, v176, v180 dst_sel:BYTE_1 dst_unused:UNUSED_PAD src0_sel:DWORD src1_sel:BYTE_3
	v_sub_u16_sdwa v178, v178, v180 dst_sel:DWORD dst_unused:UNUSED_PAD src0_sel:WORD_1 src1_sel:WORD_1
	v_ashrrev_i32_e32 v180, s18, v181
	v_or_b32_sdwa v176, v178, v176 dst_sel:WORD_1 dst_unused:UNUSED_PAD src0_sel:BYTE_0 src1_sel:DWORD
	v_ashrrev_i32_e32 v178, s21, v179
	v_lshlrev_b32_e32 v180, 2, v180
	v_or_b32_sdwa v182, v182, v183 dst_sel:DWORD dst_unused:UNUSED_PAD src0_sel:BYTE_0 src1_sel:DWORD
	v_and_b32_e32 v179, 0x3030303, v178
	v_bfe_u32 v178, v178, 24, 2
	v_and_b32_e32 v180, 0x4040404, v180
	v_or_b32_sdwa v176, v182, v176 dst_sel:DWORD dst_unused:UNUSED_PAD src0_sel:WORD_0 src1_sel:DWORD
	v_sub_u16_e32 v181, v179, v180
	v_sub_u16_sdwa v182, v179, v180 dst_sel:BYTE_1 dst_unused:UNUSED_PAD src0_sel:BYTE_1 src1_sel:BYTE_1
	v_sub_u16_sdwa v178, v178, v180 dst_sel:BYTE_1 dst_unused:UNUSED_PAD src0_sel:DWORD src1_sel:BYTE_3
	v_sub_u16_sdwa v179, v179, v180 dst_sel:DWORD dst_unused:UNUSED_PAD src0_sel:WORD_1 src1_sel:WORD_1
	v_or_b32_sdwa v181, v181, v182 dst_sel:DWORD dst_unused:UNUSED_PAD src0_sel:BYTE_0 src1_sel:DWORD
	v_or_b32_sdwa v178, v179, v178 dst_sel:WORD_1 dst_unused:UNUSED_PAD src0_sel:BYTE_0 src1_sel:DWORD
	v_add_u32_e32 v182, 0x4208, v186
	v_or_b32_sdwa v178, v181, v178 dst_sel:DWORD dst_unused:UNUSED_PAD src0_sel:WORD_0 src1_sel:DWORD
	ds_read2_b32 v[180:181], v87 offset0:2 offset1:3
	ds_read2_b32 v[182:183], v182 offset1:1
	s_waitcnt lgkmcnt(1)
	v_ashrrev_i32_e32 v179, s21, v180
	s_waitcnt lgkmcnt(0)
	v_ashrrev_i32_e32 v182, s18, v182
	v_lshlrev_b32_e32 v182, 2, v182
	v_and_b32_e32 v180, 0x3030303, v179
	v_bfe_u32 v179, v179, 24, 2
	v_and_b32_e32 v182, 0x4040404, v182
	v_sub_u16_e32 v184, v180, v182
	v_sub_u16_sdwa v185, v180, v182 dst_sel:BYTE_1 dst_unused:UNUSED_PAD src0_sel:BYTE_1 src1_sel:BYTE_1
	v_sub_u16_sdwa v179, v179, v182 dst_sel:BYTE_1 dst_unused:UNUSED_PAD src0_sel:DWORD src1_sel:BYTE_3
	v_sub_u16_sdwa v180, v180, v182 dst_sel:DWORD dst_unused:UNUSED_PAD src0_sel:WORD_1 src1_sel:WORD_1
	v_ashrrev_i32_e32 v182, s18, v183
	v_or_b32_sdwa v179, v180, v179 dst_sel:WORD_1 dst_unused:UNUSED_PAD src0_sel:BYTE_0 src1_sel:DWORD
	v_ashrrev_i32_e32 v180, s21, v181
	v_lshlrev_b32_e32 v182, 2, v182
	v_or_b32_sdwa v184, v184, v185 dst_sel:DWORD dst_unused:UNUSED_PAD src0_sel:BYTE_0 src1_sel:DWORD
	v_and_b32_e32 v181, 0x3030303, v180
	v_bfe_u32 v180, v180, 24, 2
	v_and_b32_e32 v182, 0x4040404, v182
	v_or_b32_sdwa v179, v184, v179 dst_sel:DWORD dst_unused:UNUSED_PAD src0_sel:WORD_0 src1_sel:DWORD
	v_sub_u16_e32 v183, v181, v182
	v_sub_u16_sdwa v184, v181, v182 dst_sel:BYTE_1 dst_unused:UNUSED_PAD src0_sel:BYTE_1 src1_sel:BYTE_1
	v_sub_u16_sdwa v180, v180, v182 dst_sel:BYTE_1 dst_unused:UNUSED_PAD src0_sel:DWORD src1_sel:BYTE_3
	v_sub_u16_sdwa v181, v181, v182 dst_sel:DWORD dst_unused:UNUSED_PAD src0_sel:WORD_1 src1_sel:WORD_1
	v_or_b32_sdwa v183, v183, v184 dst_sel:DWORD dst_unused:UNUSED_PAD src0_sel:BYTE_0 src1_sel:DWORD
	v_or_b32_sdwa v180, v181, v180 dst_sel:WORD_1 dst_unused:UNUSED_PAD src0_sel:BYTE_0 src1_sel:DWORD
	v_add_u32_e32 v184, 0x4210, v186
	v_or_b32_sdwa v180, v183, v180 dst_sel:DWORD dst_unused:UNUSED_PAD src0_sel:WORD_0 src1_sel:DWORD
	ds_read2_b32 v[182:183], v87 offset0:4 offset1:5
	ds_read2_b32 v[184:185], v184 offset1:1
	s_waitcnt lgkmcnt(1)
	v_ashrrev_i32_e32 v181, s21, v182
	s_waitcnt lgkmcnt(0)
	v_ashrrev_i32_e32 v184, s18, v184
	v_lshlrev_b32_e32 v184, 2, v184
	v_and_b32_e32 v182, 0x3030303, v181
	v_bfe_u32 v181, v181, 24, 2
	v_and_b32_e32 v184, 0x4040404, v184
	v_sub_u16_e32 v187, v182, v184
	v_sub_u16_sdwa v188, v182, v184 dst_sel:BYTE_1 dst_unused:UNUSED_PAD src0_sel:BYTE_1 src1_sel:BYTE_1
	v_sub_u16_sdwa v181, v181, v184 dst_sel:BYTE_1 dst_unused:UNUSED_PAD src0_sel:DWORD src1_sel:BYTE_3
	v_sub_u16_sdwa v182, v182, v184 dst_sel:DWORD dst_unused:UNUSED_PAD src0_sel:WORD_1 src1_sel:WORD_1
	v_ashrrev_i32_e32 v184, s18, v185
	v_or_b32_sdwa v181, v182, v181 dst_sel:WORD_1 dst_unused:UNUSED_PAD src0_sel:BYTE_0 src1_sel:DWORD
	v_ashrrev_i32_e32 v182, s21, v183
	v_lshlrev_b32_e32 v184, 2, v184
	v_or_b32_sdwa v187, v187, v188 dst_sel:DWORD dst_unused:UNUSED_PAD src0_sel:BYTE_0 src1_sel:DWORD
	v_and_b32_e32 v183, 0x3030303, v182
	v_bfe_u32 v182, v182, 24, 2
	v_and_b32_e32 v184, 0x4040404, v184
	v_or_b32_sdwa v181, v187, v181 dst_sel:DWORD dst_unused:UNUSED_PAD src0_sel:WORD_0 src1_sel:DWORD
	v_sub_u16_e32 v185, v183, v184
	v_sub_u16_sdwa v187, v183, v184 dst_sel:BYTE_1 dst_unused:UNUSED_PAD src0_sel:BYTE_1 src1_sel:BYTE_1
	v_sub_u16_sdwa v182, v182, v184 dst_sel:BYTE_1 dst_unused:UNUSED_PAD src0_sel:DWORD src1_sel:BYTE_3
	v_sub_u16_sdwa v183, v183, v184 dst_sel:DWORD dst_unused:UNUSED_PAD src0_sel:WORD_1 src1_sel:WORD_1
	v_or_b32_sdwa v185, v185, v187 dst_sel:DWORD dst_unused:UNUSED_PAD src0_sel:BYTE_0 src1_sel:DWORD
	v_or_b32_sdwa v182, v183, v182 dst_sel:WORD_1 dst_unused:UNUSED_PAD src0_sel:BYTE_0 src1_sel:DWORD
	v_or_b32_sdwa v183, v185, v182 dst_sel:DWORD dst_unused:UNUSED_PAD src0_sel:WORD_0 src1_sel:DWORD
	ds_read2_b32 v[184:185], v87 offset0:6 offset1:7
	s_waitcnt lgkmcnt(0)
	v_ashrrev_i32_e32 v87, s21, v184
	v_add_u32_e32 v184, 0x4218, v186
	ds_read2_b32 v[186:187], v184 offset1:1
	v_and_b32_e32 v182, 0x3030303, v87
	v_bfe_u32 v87, v87, 24, 2
	s_waitcnt lgkmcnt(0)
	v_ashrrev_i32_e32 v184, s18, v186
	v_lshlrev_b32_e32 v184, 2, v184
	v_and_b32_e32 v184, 0x4040404, v184
	v_sub_u16_e32 v186, v182, v184
	v_sub_u16_sdwa v188, v182, v184 dst_sel:BYTE_1 dst_unused:UNUSED_PAD src0_sel:BYTE_1 src1_sel:BYTE_1
	v_sub_u16_sdwa v87, v87, v184 dst_sel:BYTE_1 dst_unused:UNUSED_PAD src0_sel:DWORD src1_sel:BYTE_3
	v_sub_u16_sdwa v182, v182, v184 dst_sel:DWORD dst_unused:UNUSED_PAD src0_sel:WORD_1 src1_sel:WORD_1
	v_or_b32_sdwa v186, v186, v188 dst_sel:DWORD dst_unused:UNUSED_PAD src0_sel:BYTE_0 src1_sel:DWORD
	v_or_b32_sdwa v87, v182, v87 dst_sel:WORD_1 dst_unused:UNUSED_PAD src0_sel:BYTE_0 src1_sel:DWORD
	v_or_b32_sdwa v184, v186, v87 dst_sel:DWORD dst_unused:UNUSED_PAD src0_sel:WORD_0 src1_sel:DWORD
	v_ashrrev_i32_e32 v87, s21, v185
	v_ashrrev_i32_e32 v185, s18, v187
	v_lshlrev_b32_e32 v185, 2, v185
	v_and_b32_e32 v182, 0x3030303, v87
	v_bfe_u32 v87, v87, 24, 2
	v_and_b32_e32 v185, 0x4040404, v185
	v_sub_u16_e32 v186, v182, v185
	v_sub_u16_sdwa v187, v182, v185 dst_sel:BYTE_1 dst_unused:UNUSED_PAD src0_sel:BYTE_1 src1_sel:BYTE_1
	v_sub_u16_sdwa v87, v87, v185 dst_sel:BYTE_1 dst_unused:UNUSED_PAD src0_sel:DWORD src1_sel:BYTE_3
	v_sub_u16_sdwa v182, v182, v185 dst_sel:DWORD dst_unused:UNUSED_PAD src0_sel:WORD_1 src1_sel:WORD_1
	v_or_b32_sdwa v186, v186, v187 dst_sel:DWORD dst_unused:UNUSED_PAD src0_sel:BYTE_0 src1_sel:DWORD
	v_or_b32_sdwa v87, v182, v87 dst_sel:WORD_1 dst_unused:UNUSED_PAD src0_sel:BYTE_0 src1_sel:DWORD
	v_or_b32_sdwa v185, v186, v87 dst_sel:DWORD dst_unused:UNUSED_PAD src0_sel:WORD_0 src1_sel:DWORD
	v_add3_u32 v87, v143, s20, v86
	v_add_u32_e32 v182, s24, v131
	ds_read_b32 v182, v182
	ds_read_u16 v87, v87 offset:34546
	v_mov_b32_e32 v187, 0
	v_dot4c_i32_i8_e32 v187, v176, v4
	v_dot4c_i32_i8_e32 v187, v178, v5
	;; [unrolled: 1-line block ×3, first 2 shown]
	s_waitcnt lgkmcnt(0)
	v_lshrrev_b16_e32 v188, 8, v87
	v_bfe_i32 v186, v87, 0, 8
	v_mov_b32_e32 v87, 0
	v_dot4c_i32_i8_e32 v87, v181, v0
	v_dot4c_i32_i8_e32 v87, v183, v1
	;; [unrolled: 1-line block ×5, first 2 shown]
	v_bfe_i32 v188, v188, 0, 8
	v_mul_lo_u32 v190, v187, v186
	s_nop 0
	v_mad_u64_u32 v[190:191], s[26:27], v87, v188, v[190:191]
	v_cvt_f32_i32_e32 v187, v190
	v_mul_f32_e32 v87, v84, v182
	v_fmac_f32_e32 v109, v87, v187
	v_add_u32_e32 v87, s23, v133
	ds_read2_b32 v[190:191], v87 offset1:1
	s_waitcnt lgkmcnt(0)
	v_ashrrev_i32_e32 v187, s21, v190
	v_add_u32_e32 v190, 0x4200, v198
	ds_read2_b32 v[192:193], v190 offset1:1
	v_and_b32_e32 v189, 0x3030303, v187
	v_bfe_u32 v187, v187, 24, 2
	s_waitcnt lgkmcnt(0)
	v_ashrrev_i32_e32 v190, s18, v192
	v_lshlrev_b32_e32 v190, 2, v190
	v_and_b32_e32 v190, 0x4040404, v190
	v_sub_u16_e32 v192, v189, v190
	v_sub_u16_sdwa v194, v189, v190 dst_sel:BYTE_1 dst_unused:UNUSED_PAD src0_sel:BYTE_1 src1_sel:BYTE_1
	v_sub_u16_sdwa v187, v187, v190 dst_sel:BYTE_1 dst_unused:UNUSED_PAD src0_sel:DWORD src1_sel:BYTE_3
	v_sub_u16_sdwa v189, v189, v190 dst_sel:DWORD dst_unused:UNUSED_PAD src0_sel:WORD_1 src1_sel:WORD_1
	v_or_b32_sdwa v187, v189, v187 dst_sel:WORD_1 dst_unused:UNUSED_PAD src0_sel:BYTE_0 src1_sel:DWORD
	v_ashrrev_i32_e32 v189, s21, v191
	v_ashrrev_i32_e32 v191, s18, v193
	v_lshlrev_b32_e32 v191, 2, v191
	v_or_b32_sdwa v192, v192, v194 dst_sel:DWORD dst_unused:UNUSED_PAD src0_sel:BYTE_0 src1_sel:DWORD
	v_and_b32_e32 v190, 0x3030303, v189
	v_bfe_u32 v189, v189, 24, 2
	v_and_b32_e32 v191, 0x4040404, v191
	v_or_b32_sdwa v187, v192, v187 dst_sel:DWORD dst_unused:UNUSED_PAD src0_sel:WORD_0 src1_sel:DWORD
	v_sub_u16_e32 v192, v190, v191
	v_sub_u16_sdwa v193, v190, v191 dst_sel:BYTE_1 dst_unused:UNUSED_PAD src0_sel:BYTE_1 src1_sel:BYTE_1
	v_sub_u16_sdwa v189, v189, v191 dst_sel:BYTE_1 dst_unused:UNUSED_PAD src0_sel:DWORD src1_sel:BYTE_3
	v_sub_u16_sdwa v190, v190, v191 dst_sel:DWORD dst_unused:UNUSED_PAD src0_sel:WORD_1 src1_sel:WORD_1
	v_or_b32_sdwa v192, v192, v193 dst_sel:DWORD dst_unused:UNUSED_PAD src0_sel:BYTE_0 src1_sel:DWORD
	v_or_b32_sdwa v189, v190, v189 dst_sel:WORD_1 dst_unused:UNUSED_PAD src0_sel:BYTE_0 src1_sel:DWORD
	v_or_b32_sdwa v189, v192, v189 dst_sel:DWORD dst_unused:UNUSED_PAD src0_sel:WORD_0 src1_sel:DWORD
	v_add_u32_e32 v192, 0x4208, v198
	ds_read2_b32 v[190:191], v87 offset0:2 offset1:3
	ds_read2_b32 v[192:193], v192 offset1:1
	s_waitcnt lgkmcnt(1)
	v_ashrrev_i32_e32 v190, s21, v190
	s_waitcnt lgkmcnt(0)
	v_ashrrev_i32_e32 v192, s18, v192
	v_lshlrev_b32_e32 v192, 2, v192
	v_and_b32_e32 v194, 0x3030303, v190
	v_bfe_u32 v190, v190, 24, 2
	v_and_b32_e32 v192, 0x4040404, v192
	v_ashrrev_i32_e32 v193, s18, v193
	v_sub_u16_e32 v195, v194, v192
	v_sub_u16_sdwa v196, v194, v192 dst_sel:BYTE_1 dst_unused:UNUSED_PAD src0_sel:BYTE_1 src1_sel:BYTE_1
	v_sub_u16_sdwa v190, v190, v192 dst_sel:BYTE_1 dst_unused:UNUSED_PAD src0_sel:DWORD src1_sel:BYTE_3
	v_sub_u16_sdwa v192, v194, v192 dst_sel:DWORD dst_unused:UNUSED_PAD src0_sel:WORD_1 src1_sel:WORD_1
	v_ashrrev_i32_e32 v191, s21, v191
	v_lshlrev_b32_e32 v193, 2, v193
	v_or_b32_sdwa v195, v195, v196 dst_sel:DWORD dst_unused:UNUSED_PAD src0_sel:BYTE_0 src1_sel:DWORD
	v_or_b32_sdwa v190, v192, v190 dst_sel:WORD_1 dst_unused:UNUSED_PAD src0_sel:BYTE_0 src1_sel:DWORD
	v_and_b32_e32 v192, 0x3030303, v191
	v_bfe_u32 v191, v191, 24, 2
	v_and_b32_e32 v193, 0x4040404, v193
	v_or_b32_sdwa v190, v195, v190 dst_sel:DWORD dst_unused:UNUSED_PAD src0_sel:WORD_0 src1_sel:DWORD
	v_sub_u16_e32 v194, v192, v193
	v_sub_u16_sdwa v195, v192, v193 dst_sel:BYTE_1 dst_unused:UNUSED_PAD src0_sel:BYTE_1 src1_sel:BYTE_1
	v_sub_u16_sdwa v191, v191, v193 dst_sel:BYTE_1 dst_unused:UNUSED_PAD src0_sel:DWORD src1_sel:BYTE_3
	v_sub_u16_sdwa v192, v192, v193 dst_sel:DWORD dst_unused:UNUSED_PAD src0_sel:WORD_1 src1_sel:WORD_1
	v_or_b32_sdwa v194, v194, v195 dst_sel:DWORD dst_unused:UNUSED_PAD src0_sel:BYTE_0 src1_sel:DWORD
	v_or_b32_sdwa v191, v192, v191 dst_sel:WORD_1 dst_unused:UNUSED_PAD src0_sel:BYTE_0 src1_sel:DWORD
	v_or_b32_sdwa v191, v194, v191 dst_sel:DWORD dst_unused:UNUSED_PAD src0_sel:WORD_0 src1_sel:DWORD
	v_add_u32_e32 v194, 0x4210, v198
	ds_read2_b32 v[192:193], v87 offset0:4 offset1:5
	ds_read2_b32 v[194:195], v194 offset1:1
	s_waitcnt lgkmcnt(1)
	v_ashrrev_i32_e32 v192, s21, v192
	s_waitcnt lgkmcnt(0)
	v_ashrrev_i32_e32 v194, s18, v194
	v_lshlrev_b32_e32 v194, 2, v194
	v_and_b32_e32 v196, 0x3030303, v192
	v_bfe_u32 v192, v192, 24, 2
	v_and_b32_e32 v194, 0x4040404, v194
	v_ashrrev_i32_e32 v195, s18, v195
	v_sub_u16_e32 v197, v196, v194
	v_sub_u16_sdwa v199, v196, v194 dst_sel:BYTE_1 dst_unused:UNUSED_PAD src0_sel:BYTE_1 src1_sel:BYTE_1
	v_sub_u16_sdwa v192, v192, v194 dst_sel:BYTE_1 dst_unused:UNUSED_PAD src0_sel:DWORD src1_sel:BYTE_3
	v_sub_u16_sdwa v194, v196, v194 dst_sel:DWORD dst_unused:UNUSED_PAD src0_sel:WORD_1 src1_sel:WORD_1
	v_ashrrev_i32_e32 v193, s21, v193
	v_lshlrev_b32_e32 v195, 2, v195
	v_or_b32_sdwa v197, v197, v199 dst_sel:DWORD dst_unused:UNUSED_PAD src0_sel:BYTE_0 src1_sel:DWORD
	v_or_b32_sdwa v192, v194, v192 dst_sel:WORD_1 dst_unused:UNUSED_PAD src0_sel:BYTE_0 src1_sel:DWORD
	v_and_b32_e32 v194, 0x3030303, v193
	v_bfe_u32 v193, v193, 24, 2
	v_and_b32_e32 v195, 0x4040404, v195
	v_or_b32_sdwa v192, v197, v192 dst_sel:DWORD dst_unused:UNUSED_PAD src0_sel:WORD_0 src1_sel:DWORD
	v_sub_u16_e32 v196, v194, v195
	v_sub_u16_sdwa v197, v194, v195 dst_sel:BYTE_1 dst_unused:UNUSED_PAD src0_sel:BYTE_1 src1_sel:BYTE_1
	v_sub_u16_sdwa v193, v193, v195 dst_sel:BYTE_1 dst_unused:UNUSED_PAD src0_sel:DWORD src1_sel:BYTE_3
	v_sub_u16_sdwa v194, v194, v195 dst_sel:DWORD dst_unused:UNUSED_PAD src0_sel:WORD_1 src1_sel:WORD_1
	v_or_b32_sdwa v196, v196, v197 dst_sel:DWORD dst_unused:UNUSED_PAD src0_sel:BYTE_0 src1_sel:DWORD
	v_or_b32_sdwa v193, v194, v193 dst_sel:WORD_1 dst_unused:UNUSED_PAD src0_sel:BYTE_0 src1_sel:DWORD
	v_add_u32_e32 v195, 0x4218, v198
	v_or_b32_sdwa v194, v196, v193 dst_sel:DWORD dst_unused:UNUSED_PAD src0_sel:WORD_0 src1_sel:DWORD
	ds_read2_b32 v[196:197], v87 offset0:6 offset1:7
	ds_read2_b32 v[198:199], v195 offset1:1
	s_waitcnt lgkmcnt(1)
	v_ashrrev_i32_e32 v87, s21, v196
	s_waitcnt lgkmcnt(0)
	v_ashrrev_i32_e32 v195, s18, v198
	v_lshlrev_b32_e32 v195, 2, v195
	v_and_b32_e32 v193, 0x3030303, v87
	v_bfe_u32 v87, v87, 24, 2
	v_and_b32_e32 v195, 0x4040404, v195
	v_sub_u16_e32 v196, v193, v195
	v_sub_u16_sdwa v198, v193, v195 dst_sel:BYTE_1 dst_unused:UNUSED_PAD src0_sel:BYTE_1 src1_sel:BYTE_1
	v_sub_u16_sdwa v87, v87, v195 dst_sel:BYTE_1 dst_unused:UNUSED_PAD src0_sel:DWORD src1_sel:BYTE_3
	v_sub_u16_sdwa v193, v193, v195 dst_sel:DWORD dst_unused:UNUSED_PAD src0_sel:WORD_1 src1_sel:WORD_1
	v_or_b32_sdwa v196, v196, v198 dst_sel:DWORD dst_unused:UNUSED_PAD src0_sel:BYTE_0 src1_sel:DWORD
	v_or_b32_sdwa v87, v193, v87 dst_sel:WORD_1 dst_unused:UNUSED_PAD src0_sel:BYTE_0 src1_sel:DWORD
	v_or_b32_sdwa v195, v196, v87 dst_sel:DWORD dst_unused:UNUSED_PAD src0_sel:WORD_0 src1_sel:DWORD
	v_ashrrev_i32_e32 v196, s18, v199
	v_ashrrev_i32_e32 v87, s21, v197
	v_lshlrev_b32_e32 v196, 2, v196
	v_and_b32_e32 v193, 0x3030303, v87
	v_bfe_u32 v87, v87, 24, 2
	v_and_b32_e32 v196, 0x4040404, v196
	v_sub_u16_e32 v197, v193, v196
	v_sub_u16_sdwa v198, v193, v196 dst_sel:BYTE_1 dst_unused:UNUSED_PAD src0_sel:BYTE_1 src1_sel:BYTE_1
	v_sub_u16_sdwa v87, v87, v196 dst_sel:BYTE_1 dst_unused:UNUSED_PAD src0_sel:DWORD src1_sel:BYTE_3
	v_sub_u16_sdwa v193, v193, v196 dst_sel:DWORD dst_unused:UNUSED_PAD src0_sel:WORD_1 src1_sel:WORD_1
	v_or_b32_sdwa v197, v197, v198 dst_sel:DWORD dst_unused:UNUSED_PAD src0_sel:BYTE_0 src1_sel:DWORD
	v_or_b32_sdwa v87, v193, v87 dst_sel:WORD_1 dst_unused:UNUSED_PAD src0_sel:BYTE_0 src1_sel:DWORD
	v_or_b32_sdwa v196, v197, v87 dst_sel:DWORD dst_unused:UNUSED_PAD src0_sel:WORD_0 src1_sel:DWORD
	v_add3_u32 v87, v145, s20, v86
	v_add_u32_e32 v193, s24, v134
	ds_read_b32 v193, v193
	ds_read_u16 v87, v87 offset:35570
	v_mov_b32_e32 v198, 0
	v_dot4c_i32_i8_e32 v198, v187, v4
	v_dot4c_i32_i8_e32 v198, v189, v5
	;; [unrolled: 1-line block ×3, first 2 shown]
	s_waitcnt lgkmcnt(0)
	v_lshrrev_b16_e32 v199, 8, v87
	v_bfe_i32 v197, v87, 0, 8
	v_mov_b32_e32 v87, 0
	v_dot4c_i32_i8_e32 v87, v192, v0
	v_dot4c_i32_i8_e32 v87, v194, v1
	;; [unrolled: 1-line block ×5, first 2 shown]
	v_bfe_i32 v199, v199, 0, 8
	v_mul_lo_u32 v198, v198, v197
	v_add3_u32 v86, v147, s20, v86
	v_mad_u64_u32 v[200:201], s[26:27], v87, v199, v[198:199]
	v_cvt_f32_i32_e32 v198, v200
	v_mul_f32_e32 v87, v84, v193
	v_fmac_f32_e32 v104, v87, v198
	v_add_u32_e32 v87, s23, v136
	ds_read2_b32 v[200:201], v87 offset1:1
	s_waitcnt lgkmcnt(0)
	v_ashrrev_i32_e32 v198, s21, v200
	v_and_b32_e32 v200, 0x3030303, v198
	v_bfe_u32 v198, v198, 24, 2
	v_sub_u16_e32 v204, v200, v202
	v_sub_u16_sdwa v205, v200, v202 dst_sel:BYTE_1 dst_unused:UNUSED_PAD src0_sel:BYTE_1 src1_sel:BYTE_1
	v_sub_u16_sdwa v198, v198, v202 dst_sel:BYTE_1 dst_unused:UNUSED_PAD src0_sel:DWORD src1_sel:BYTE_3
	v_sub_u16_sdwa v200, v200, v202 dst_sel:DWORD dst_unused:UNUSED_PAD src0_sel:WORD_1 src1_sel:WORD_1
	v_ashrrev_i32_e32 v202, s18, v203
	v_or_b32_sdwa v198, v200, v198 dst_sel:WORD_1 dst_unused:UNUSED_PAD src0_sel:BYTE_0 src1_sel:DWORD
	v_ashrrev_i32_e32 v200, s21, v201
	v_lshlrev_b32_e32 v202, 2, v202
	v_or_b32_sdwa v204, v204, v205 dst_sel:DWORD dst_unused:UNUSED_PAD src0_sel:BYTE_0 src1_sel:DWORD
	v_and_b32_e32 v201, 0x3030303, v200
	v_bfe_u32 v200, v200, 24, 2
	v_and_b32_e32 v202, 0x4040404, v202
	v_or_b32_sdwa v198, v204, v198 dst_sel:DWORD dst_unused:UNUSED_PAD src0_sel:WORD_0 src1_sel:DWORD
	v_sub_u16_e32 v203, v201, v202
	v_sub_u16_sdwa v204, v201, v202 dst_sel:BYTE_1 dst_unused:UNUSED_PAD src0_sel:BYTE_1 src1_sel:BYTE_1
	v_sub_u16_sdwa v200, v200, v202 dst_sel:BYTE_1 dst_unused:UNUSED_PAD src0_sel:DWORD src1_sel:BYTE_3
	v_sub_u16_sdwa v201, v201, v202 dst_sel:DWORD dst_unused:UNUSED_PAD src0_sel:WORD_1 src1_sel:WORD_1
	v_or_b32_sdwa v203, v203, v204 dst_sel:DWORD dst_unused:UNUSED_PAD src0_sel:BYTE_0 src1_sel:DWORD
	v_or_b32_sdwa v200, v201, v200 dst_sel:WORD_1 dst_unused:UNUSED_PAD src0_sel:BYTE_0 src1_sel:DWORD
	v_add_u32_e32 v204, 0x4208, v208
	v_or_b32_sdwa v200, v203, v200 dst_sel:DWORD dst_unused:UNUSED_PAD src0_sel:WORD_0 src1_sel:DWORD
	ds_read2_b32 v[202:203], v87 offset0:2 offset1:3
	ds_read2_b32 v[204:205], v204 offset1:1
	s_waitcnt lgkmcnt(1)
	v_ashrrev_i32_e32 v201, s21, v202
	s_waitcnt lgkmcnt(0)
	v_ashrrev_i32_e32 v204, s18, v204
	v_lshlrev_b32_e32 v204, 2, v204
	v_and_b32_e32 v202, 0x3030303, v201
	v_bfe_u32 v201, v201, 24, 2
	v_and_b32_e32 v204, 0x4040404, v204
	v_sub_u16_e32 v206, v202, v204
	v_sub_u16_sdwa v207, v202, v204 dst_sel:BYTE_1 dst_unused:UNUSED_PAD src0_sel:BYTE_1 src1_sel:BYTE_1
	v_sub_u16_sdwa v201, v201, v204 dst_sel:BYTE_1 dst_unused:UNUSED_PAD src0_sel:DWORD src1_sel:BYTE_3
	v_sub_u16_sdwa v202, v202, v204 dst_sel:DWORD dst_unused:UNUSED_PAD src0_sel:WORD_1 src1_sel:WORD_1
	v_ashrrev_i32_e32 v204, s18, v205
	v_or_b32_sdwa v201, v202, v201 dst_sel:WORD_1 dst_unused:UNUSED_PAD src0_sel:BYTE_0 src1_sel:DWORD
	v_ashrrev_i32_e32 v202, s21, v203
	v_lshlrev_b32_e32 v204, 2, v204
	v_or_b32_sdwa v206, v206, v207 dst_sel:DWORD dst_unused:UNUSED_PAD src0_sel:BYTE_0 src1_sel:DWORD
	v_and_b32_e32 v203, 0x3030303, v202
	v_bfe_u32 v202, v202, 24, 2
	v_and_b32_e32 v204, 0x4040404, v204
	v_or_b32_sdwa v201, v206, v201 dst_sel:DWORD dst_unused:UNUSED_PAD src0_sel:WORD_0 src1_sel:DWORD
	v_sub_u16_e32 v205, v203, v204
	v_sub_u16_sdwa v206, v203, v204 dst_sel:BYTE_1 dst_unused:UNUSED_PAD src0_sel:BYTE_1 src1_sel:BYTE_1
	v_sub_u16_sdwa v202, v202, v204 dst_sel:BYTE_1 dst_unused:UNUSED_PAD src0_sel:DWORD src1_sel:BYTE_3
	v_sub_u16_sdwa v203, v203, v204 dst_sel:DWORD dst_unused:UNUSED_PAD src0_sel:WORD_1 src1_sel:WORD_1
	v_or_b32_sdwa v205, v205, v206 dst_sel:DWORD dst_unused:UNUSED_PAD src0_sel:BYTE_0 src1_sel:DWORD
	v_or_b32_sdwa v202, v203, v202 dst_sel:WORD_1 dst_unused:UNUSED_PAD src0_sel:BYTE_0 src1_sel:DWORD
	v_add_u32_e32 v206, 0x4210, v208
	v_or_b32_sdwa v202, v205, v202 dst_sel:DWORD dst_unused:UNUSED_PAD src0_sel:WORD_0 src1_sel:DWORD
	ds_read2_b32 v[204:205], v87 offset0:4 offset1:5
	ds_read2_b32 v[206:207], v206 offset1:1
	s_waitcnt lgkmcnt(1)
	v_ashrrev_i32_e32 v203, s21, v204
	s_waitcnt lgkmcnt(0)
	v_ashrrev_i32_e32 v206, s18, v206
	v_lshlrev_b32_e32 v206, 2, v206
	v_and_b32_e32 v204, 0x3030303, v203
	v_bfe_u32 v203, v203, 24, 2
	v_and_b32_e32 v206, 0x4040404, v206
	v_sub_u16_e32 v209, v204, v206
	v_sub_u16_sdwa v210, v204, v206 dst_sel:BYTE_1 dst_unused:UNUSED_PAD src0_sel:BYTE_1 src1_sel:BYTE_1
	v_sub_u16_sdwa v203, v203, v206 dst_sel:BYTE_1 dst_unused:UNUSED_PAD src0_sel:DWORD src1_sel:BYTE_3
	v_sub_u16_sdwa v204, v204, v206 dst_sel:DWORD dst_unused:UNUSED_PAD src0_sel:WORD_1 src1_sel:WORD_1
	v_ashrrev_i32_e32 v206, s18, v207
	v_or_b32_sdwa v203, v204, v203 dst_sel:WORD_1 dst_unused:UNUSED_PAD src0_sel:BYTE_0 src1_sel:DWORD
	v_ashrrev_i32_e32 v204, s21, v205
	v_lshlrev_b32_e32 v206, 2, v206
	v_or_b32_sdwa v209, v209, v210 dst_sel:DWORD dst_unused:UNUSED_PAD src0_sel:BYTE_0 src1_sel:DWORD
	v_and_b32_e32 v205, 0x3030303, v204
	v_bfe_u32 v204, v204, 24, 2
	v_and_b32_e32 v206, 0x4040404, v206
	v_or_b32_sdwa v203, v209, v203 dst_sel:DWORD dst_unused:UNUSED_PAD src0_sel:WORD_0 src1_sel:DWORD
	v_sub_u16_e32 v207, v205, v206
	v_sub_u16_sdwa v209, v205, v206 dst_sel:BYTE_1 dst_unused:UNUSED_PAD src0_sel:BYTE_1 src1_sel:BYTE_1
	v_sub_u16_sdwa v204, v204, v206 dst_sel:BYTE_1 dst_unused:UNUSED_PAD src0_sel:DWORD src1_sel:BYTE_3
	v_sub_u16_sdwa v205, v205, v206 dst_sel:DWORD dst_unused:UNUSED_PAD src0_sel:WORD_1 src1_sel:WORD_1
	v_or_b32_sdwa v207, v207, v209 dst_sel:DWORD dst_unused:UNUSED_PAD src0_sel:BYTE_0 src1_sel:DWORD
	v_or_b32_sdwa v204, v205, v204 dst_sel:WORD_1 dst_unused:UNUSED_PAD src0_sel:BYTE_0 src1_sel:DWORD
	v_or_b32_sdwa v205, v207, v204 dst_sel:DWORD dst_unused:UNUSED_PAD src0_sel:WORD_0 src1_sel:DWORD
	ds_read2_b32 v[206:207], v87 offset0:6 offset1:7
	s_waitcnt lgkmcnt(0)
	v_ashrrev_i32_e32 v87, s21, v206
	v_add_u32_e32 v206, 0x4218, v208
	ds_read2_b32 v[208:209], v206 offset1:1
	v_and_b32_e32 v204, 0x3030303, v87
	v_bfe_u32 v87, v87, 24, 2
	s_waitcnt lgkmcnt(0)
	v_ashrrev_i32_e32 v206, s18, v208
	v_lshlrev_b32_e32 v206, 2, v206
	v_and_b32_e32 v206, 0x4040404, v206
	v_sub_u16_e32 v208, v204, v206
	v_sub_u16_sdwa v210, v204, v206 dst_sel:BYTE_1 dst_unused:UNUSED_PAD src0_sel:BYTE_1 src1_sel:BYTE_1
	v_sub_u16_sdwa v87, v87, v206 dst_sel:BYTE_1 dst_unused:UNUSED_PAD src0_sel:DWORD src1_sel:BYTE_3
	v_sub_u16_sdwa v204, v204, v206 dst_sel:DWORD dst_unused:UNUSED_PAD src0_sel:WORD_1 src1_sel:WORD_1
	v_or_b32_sdwa v208, v208, v210 dst_sel:DWORD dst_unused:UNUSED_PAD src0_sel:BYTE_0 src1_sel:DWORD
	v_or_b32_sdwa v87, v204, v87 dst_sel:WORD_1 dst_unused:UNUSED_PAD src0_sel:BYTE_0 src1_sel:DWORD
	v_or_b32_sdwa v206, v208, v87 dst_sel:DWORD dst_unused:UNUSED_PAD src0_sel:WORD_0 src1_sel:DWORD
	v_ashrrev_i32_e32 v87, s21, v207
	v_ashrrev_i32_e32 v207, s18, v209
	v_lshlrev_b32_e32 v207, 2, v207
	v_and_b32_e32 v204, 0x3030303, v87
	v_bfe_u32 v87, v87, 24, 2
	v_and_b32_e32 v207, 0x4040404, v207
	v_sub_u16_e32 v208, v204, v207
	v_sub_u16_sdwa v209, v204, v207 dst_sel:BYTE_1 dst_unused:UNUSED_PAD src0_sel:BYTE_1 src1_sel:BYTE_1
	v_sub_u16_sdwa v87, v87, v207 dst_sel:BYTE_1 dst_unused:UNUSED_PAD src0_sel:DWORD src1_sel:BYTE_3
	v_sub_u16_sdwa v204, v204, v207 dst_sel:DWORD dst_unused:UNUSED_PAD src0_sel:WORD_1 src1_sel:WORD_1
	v_or_b32_sdwa v208, v208, v209 dst_sel:DWORD dst_unused:UNUSED_PAD src0_sel:BYTE_0 src1_sel:DWORD
	v_or_b32_sdwa v87, v204, v87 dst_sel:WORD_1 dst_unused:UNUSED_PAD src0_sel:BYTE_0 src1_sel:DWORD
	v_or_b32_sdwa v207, v208, v87 dst_sel:DWORD dst_unused:UNUSED_PAD src0_sel:WORD_0 src1_sel:DWORD
	v_add_u32_e32 v87, s24, v137
	ds_read_b32 v204, v87
	v_mov_b32_e32 v87, 0
	v_dot4c_i32_i8_e32 v87, v198, v4
	ds_read_u16 v4, v86 offset:36594
	v_dot4c_i32_i8_e32 v87, v200, v5
	v_dot4c_i32_i8_e32 v87, v201, v6
	v_mov_b32_e32 v6, 0
	v_dot4c_i32_i8_e32 v6, v203, v0
	v_dot4c_i32_i8_e32 v6, v205, v1
	;; [unrolled: 1-line block ×3, first 2 shown]
	s_waitcnt lgkmcnt(0)
	v_lshrrev_b16_e32 v5, 8, v4
	v_bfe_i32 v208, v4, 0, 8
	v_dot4c_i32_i8_e32 v6, v206, v2
	v_mul_lo_u32 v4, v87, v208
	v_dot4c_i32_i8_e32 v6, v207, v3
	v_bfe_i32 v209, v5, 0, 8
	v_mov_b32_e32 v86, 0
	s_add_i32 s18, s18, 1
	v_mad_u64_u32 v[0:1], s[20:21], v6, v209, v[4:5]
	v_cvt_f32_i32_e32 v0, v0
	v_mul_f32_e32 v1, v84, v204
	v_mov_b32_e32 v84, 0
	s_cmp_lt_u32 s19, 30
	v_fmac_f32_e32 v103, v1, v0
	ds_read_b128 v[0:3], v164 offset:1024
	ds_read_b128 v[4:7], v164 offset:1040
	s_waitcnt lgkmcnt(1)
	v_dot4c_i32_i8_e32 v84, v166, v0
	v_dot4c_i32_i8_e32 v84, v167, v1
	s_waitcnt lgkmcnt(0)
	v_dot4c_i32_i8_e32 v86, v171, v4
	v_dot4c_i32_i8_e32 v84, v168, v2
	;; [unrolled: 1-line block ×6, first 2 shown]
	s_nop 0
	v_mul_lo_u32 v84, v84, v175
	s_nop 0
	v_mad_u64_u32 v[86:87], s[20:21], v86, v177, v[84:85]
	v_cvt_f32_i32_e32 v86, v86
	v_mul_f32_e32 v84, v170, v85
	v_fmac_f32_e32 v99, v84, v86
	v_mov_b32_e32 v84, 0
	v_dot4c_i32_i8_e32 v84, v176, v0
	v_mov_b32_e32 v86, 0
	v_dot4c_i32_i8_e32 v84, v178, v1
	v_dot4c_i32_i8_e32 v86, v181, v4
	;; [unrolled: 1-line block ×7, first 2 shown]
	s_nop 0
	v_mul_lo_u32 v84, v84, v186
	s_nop 0
	v_mad_u64_u32 v[86:87], s[20:21], v86, v188, v[84:85]
	v_cvt_f32_i32_e32 v86, v86
	v_mul_f32_e32 v84, v182, v85
	v_fmac_f32_e32 v98, v84, v86
	v_mov_b32_e32 v84, 0
	v_dot4c_i32_i8_e32 v84, v187, v0
	v_mov_b32_e32 v86, 0
	v_dot4c_i32_i8_e32 v84, v189, v1
	v_dot4c_i32_i8_e32 v86, v192, v4
	;; [unrolled: 1-line block ×7, first 2 shown]
	s_nop 0
	v_mul_lo_u32 v84, v84, v197
	s_nop 0
	v_mad_u64_u32 v[86:87], s[20:21], v86, v199, v[84:85]
	v_cvt_f32_i32_e32 v86, v86
	v_mul_f32_e32 v84, v193, v85
	v_mov_b32_e32 v87, 0
	v_fmac_f32_e32 v97, v84, v86
	v_mov_b32_e32 v84, 0
	v_dot4c_i32_i8_e32 v84, v198, v0
	v_dot4c_i32_i8_e32 v84, v200, v1
	v_mov_b32_e32 v1, 0
	v_dot4c_i32_i8_e32 v1, v203, v4
	v_dot4c_i32_i8_e32 v84, v201, v2
	;; [unrolled: 1-line block ×6, first 2 shown]
	v_mov_b32_e32 v86, 0
	v_mul_lo_u32 v0, v84, v208
	s_nop 0
	v_mad_u64_u32 v[0:1], s[20:21], v1, v209, v[0:1]
	v_cvt_f32_i32_e32 v0, v0
	v_mul_f32_e32 v1, v204, v85
	v_fmac_f32_e32 v83, v1, v0
	ds_read2_b32 v[84:85], v165 offset0:64 offset1:96
	ds_read_b128 v[0:3], v164 offset:2048
	ds_read_b128 v[4:7], v164 offset:2064
	s_waitcnt lgkmcnt(1)
	v_dot4c_i32_i8_e32 v86, v166, v0
	v_dot4c_i32_i8_e32 v86, v167, v1
	s_waitcnt lgkmcnt(0)
	v_dot4c_i32_i8_e32 v87, v171, v4
	v_dot4c_i32_i8_e32 v86, v168, v2
	;; [unrolled: 1-line block ×6, first 2 shown]
	s_nop 0
	v_mul_lo_u32 v86, v86, v175
	s_nop 0
	v_mad_u64_u32 v[86:87], s[20:21], v87, v177, v[86:87]
	v_cvt_f32_i32_e32 v86, v86
	v_mul_f32_e32 v87, v170, v84
	v_fmac_f32_e32 v77, v87, v86
	v_mov_b32_e32 v86, 0
	v_dot4c_i32_i8_e32 v86, v176, v0
	v_mov_b32_e32 v87, 0
	v_dot4c_i32_i8_e32 v86, v178, v1
	v_dot4c_i32_i8_e32 v87, v181, v4
	;; [unrolled: 1-line block ×7, first 2 shown]
	s_nop 0
	v_mul_lo_u32 v86, v86, v186
	s_nop 0
	v_mad_u64_u32 v[86:87], s[20:21], v87, v188, v[86:87]
	v_cvt_f32_i32_e32 v86, v86
	v_mul_f32_e32 v87, v182, v84
	v_fmac_f32_e32 v61, v87, v86
	v_mov_b32_e32 v86, 0
	v_dot4c_i32_i8_e32 v86, v187, v0
	v_mov_b32_e32 v87, 0
	v_dot4c_i32_i8_e32 v86, v189, v1
	v_dot4c_i32_i8_e32 v87, v192, v4
	;; [unrolled: 1-line block ×7, first 2 shown]
	s_nop 0
	v_mul_lo_u32 v86, v86, v197
	s_nop 0
	v_mad_u64_u32 v[86:87], s[20:21], v87, v199, v[86:87]
	v_cvt_f32_i32_e32 v86, v86
	v_mul_f32_e32 v87, v193, v84
	v_fmac_f32_e32 v55, v87, v86
	v_mov_b32_e32 v86, 0
	v_dot4c_i32_i8_e32 v86, v198, v0
	v_dot4c_i32_i8_e32 v86, v200, v1
	v_mov_b32_e32 v1, 0
	v_dot4c_i32_i8_e32 v1, v203, v4
	v_dot4c_i32_i8_e32 v86, v201, v2
	;; [unrolled: 1-line block ×6, first 2 shown]
	s_nop 0
	v_mul_lo_u32 v0, v86, v208
	v_mov_b32_e32 v86, 0
	v_mad_u64_u32 v[0:1], s[20:21], v1, v209, v[0:1]
	v_cvt_f32_i32_e32 v0, v0
	v_mul_f32_e32 v1, v204, v84
	v_mov_b32_e32 v84, 0
	v_fmac_f32_e32 v53, v1, v0
	ds_read_b128 v[0:3], v164 offset:3072
	ds_read_b128 v[4:7], v164 offset:3088
	s_waitcnt lgkmcnt(1)
	v_dot4c_i32_i8_e32 v84, v166, v0
	v_dot4c_i32_i8_e32 v84, v167, v1
	s_waitcnt lgkmcnt(0)
	v_dot4c_i32_i8_e32 v86, v171, v4
	v_dot4c_i32_i8_e32 v84, v168, v2
	;; [unrolled: 1-line block ×6, first 2 shown]
	s_nop 0
	v_mul_lo_u32 v84, v84, v175
	s_nop 0
	v_mad_u64_u32 v[86:87], s[20:21], v86, v177, v[84:85]
	v_cvt_f32_i32_e32 v86, v86
	v_mul_f32_e32 v84, v170, v85
	v_fmac_f32_e32 v51, v84, v86
	v_mov_b32_e32 v84, 0
	v_dot4c_i32_i8_e32 v84, v176, v0
	v_mov_b32_e32 v86, 0
	v_dot4c_i32_i8_e32 v84, v178, v1
	v_dot4c_i32_i8_e32 v86, v181, v4
	;; [unrolled: 1-line block ×7, first 2 shown]
	s_nop 0
	v_mul_lo_u32 v84, v84, v186
	s_nop 0
	v_mad_u64_u32 v[86:87], s[20:21], v86, v188, v[84:85]
	v_cvt_f32_i32_e32 v86, v86
	v_mul_f32_e32 v84, v182, v85
	v_fmac_f32_e32 v49, v84, v86
	v_mov_b32_e32 v84, 0
	v_dot4c_i32_i8_e32 v84, v187, v0
	v_mov_b32_e32 v86, 0
	v_dot4c_i32_i8_e32 v84, v189, v1
	v_dot4c_i32_i8_e32 v86, v192, v4
	;; [unrolled: 1-line block ×7, first 2 shown]
	s_nop 0
	v_mul_lo_u32 v84, v84, v197
	s_nop 0
	v_mad_u64_u32 v[86:87], s[20:21], v86, v199, v[84:85]
	v_cvt_f32_i32_e32 v86, v86
	v_mul_f32_e32 v84, v193, v85
	v_mov_b32_e32 v87, 0
	v_fmac_f32_e32 v47, v84, v86
	v_mov_b32_e32 v84, 0
	v_dot4c_i32_i8_e32 v84, v198, v0
	v_dot4c_i32_i8_e32 v84, v200, v1
	v_mov_b32_e32 v1, 0
	v_dot4c_i32_i8_e32 v1, v203, v4
	v_dot4c_i32_i8_e32 v84, v201, v2
	;; [unrolled: 1-line block ×6, first 2 shown]
	v_mov_b32_e32 v86, 0
	v_mul_lo_u32 v0, v84, v208
	s_nop 0
	v_mad_u64_u32 v[0:1], s[20:21], v1, v209, v[0:1]
	v_cvt_f32_i32_e32 v0, v0
	v_mul_f32_e32 v1, v204, v85
	v_fmac_f32_e32 v43, v1, v0
	ds_read2_b32 v[84:85], v165 offset0:128 offset1:160
	ds_read_b128 v[0:3], v164 offset:4096
	ds_read_b128 v[4:7], v164 offset:4112
	s_waitcnt lgkmcnt(1)
	v_dot4c_i32_i8_e32 v86, v166, v0
	v_dot4c_i32_i8_e32 v86, v167, v1
	s_waitcnt lgkmcnt(0)
	v_dot4c_i32_i8_e32 v87, v171, v4
	v_dot4c_i32_i8_e32 v86, v168, v2
	;; [unrolled: 1-line block ×6, first 2 shown]
	s_nop 0
	v_mul_lo_u32 v86, v86, v175
	s_nop 0
	v_mad_u64_u32 v[86:87], s[20:21], v87, v177, v[86:87]
	v_cvt_f32_i32_e32 v86, v86
	v_mul_f32_e32 v87, v170, v84
	v_fmac_f32_e32 v39, v87, v86
	v_mov_b32_e32 v86, 0
	v_dot4c_i32_i8_e32 v86, v176, v0
	v_mov_b32_e32 v87, 0
	v_dot4c_i32_i8_e32 v86, v178, v1
	v_dot4c_i32_i8_e32 v87, v181, v4
	;; [unrolled: 1-line block ×7, first 2 shown]
	s_nop 0
	v_mul_lo_u32 v86, v86, v186
	s_nop 0
	v_mad_u64_u32 v[86:87], s[20:21], v87, v188, v[86:87]
	v_cvt_f32_i32_e32 v86, v86
	v_mul_f32_e32 v87, v182, v84
	v_fmac_f32_e32 v37, v87, v86
	v_mov_b32_e32 v86, 0
	v_dot4c_i32_i8_e32 v86, v187, v0
	v_mov_b32_e32 v87, 0
	v_dot4c_i32_i8_e32 v86, v189, v1
	v_dot4c_i32_i8_e32 v87, v192, v4
	;; [unrolled: 1-line block ×7, first 2 shown]
	s_nop 0
	v_mul_lo_u32 v86, v86, v197
	s_nop 0
	v_mad_u64_u32 v[86:87], s[20:21], v87, v199, v[86:87]
	v_cvt_f32_i32_e32 v86, v86
	v_mul_f32_e32 v87, v193, v84
	v_fmac_f32_e32 v35, v87, v86
	v_mov_b32_e32 v86, 0
	v_dot4c_i32_i8_e32 v86, v198, v0
	v_dot4c_i32_i8_e32 v86, v200, v1
	v_mov_b32_e32 v1, 0
	v_dot4c_i32_i8_e32 v1, v203, v4
	v_dot4c_i32_i8_e32 v86, v201, v2
	;; [unrolled: 1-line block ×6, first 2 shown]
	s_nop 0
	v_mul_lo_u32 v0, v86, v208
	v_mov_b32_e32 v86, 0
	v_mad_u64_u32 v[0:1], s[20:21], v1, v209, v[0:1]
	v_cvt_f32_i32_e32 v0, v0
	v_mul_f32_e32 v1, v204, v84
	v_mov_b32_e32 v84, 0
	v_fmac_f32_e32 v33, v1, v0
	ds_read_b128 v[0:3], v164 offset:5120
	ds_read_b128 v[4:7], v164 offset:5136
	s_waitcnt lgkmcnt(1)
	v_dot4c_i32_i8_e32 v84, v166, v0
	v_dot4c_i32_i8_e32 v84, v167, v1
	s_waitcnt lgkmcnt(0)
	v_dot4c_i32_i8_e32 v86, v171, v4
	v_dot4c_i32_i8_e32 v84, v168, v2
	;; [unrolled: 1-line block ×6, first 2 shown]
	s_nop 0
	v_mul_lo_u32 v84, v84, v175
	s_nop 0
	v_mad_u64_u32 v[86:87], s[20:21], v86, v177, v[84:85]
	v_cvt_f32_i32_e32 v86, v86
	v_mul_f32_e32 v84, v170, v85
	v_fmac_f32_e32 v31, v84, v86
	v_mov_b32_e32 v84, 0
	v_dot4c_i32_i8_e32 v84, v176, v0
	v_mov_b32_e32 v86, 0
	v_dot4c_i32_i8_e32 v84, v178, v1
	v_dot4c_i32_i8_e32 v86, v181, v4
	;; [unrolled: 1-line block ×7, first 2 shown]
	s_nop 0
	v_mul_lo_u32 v84, v84, v186
	s_nop 0
	v_mad_u64_u32 v[86:87], s[20:21], v86, v188, v[84:85]
	v_cvt_f32_i32_e32 v86, v86
	v_mul_f32_e32 v84, v182, v85
	v_fmac_f32_e32 v29, v84, v86
	v_mov_b32_e32 v84, 0
	v_dot4c_i32_i8_e32 v84, v187, v0
	v_mov_b32_e32 v86, 0
	v_dot4c_i32_i8_e32 v84, v189, v1
	v_dot4c_i32_i8_e32 v86, v192, v4
	;; [unrolled: 1-line block ×7, first 2 shown]
	s_nop 0
	v_mul_lo_u32 v84, v84, v197
	s_nop 0
	v_mad_u64_u32 v[86:87], s[20:21], v86, v199, v[84:85]
	v_cvt_f32_i32_e32 v86, v86
	v_mul_f32_e32 v84, v193, v85
	v_mov_b32_e32 v87, 0
	v_fmac_f32_e32 v27, v84, v86
	v_mov_b32_e32 v84, 0
	v_dot4c_i32_i8_e32 v84, v198, v0
	v_dot4c_i32_i8_e32 v84, v200, v1
	v_mov_b32_e32 v1, 0
	v_dot4c_i32_i8_e32 v1, v203, v4
	v_dot4c_i32_i8_e32 v84, v201, v2
	;; [unrolled: 1-line block ×6, first 2 shown]
	v_mov_b32_e32 v86, 0
	v_mul_lo_u32 v0, v84, v208
	s_nop 0
	v_mad_u64_u32 v[0:1], s[20:21], v1, v209, v[0:1]
	v_cvt_f32_i32_e32 v0, v0
	v_mul_f32_e32 v1, v204, v85
	v_fmac_f32_e32 v25, v1, v0
	ds_read2_b32 v[84:85], v165 offset0:192 offset1:224
	ds_read_b128 v[4:7], v164 offset:6144
	ds_read_b128 v[0:3], v164 offset:6160
	v_add_u32_e32 v165, 4, v165
	s_waitcnt lgkmcnt(1)
	v_dot4c_i32_i8_e32 v86, v166, v4
	v_dot4c_i32_i8_e32 v86, v167, v5
	s_waitcnt lgkmcnt(0)
	v_dot4c_i32_i8_e32 v87, v171, v0
	v_dot4c_i32_i8_e32 v86, v168, v6
	;; [unrolled: 1-line block ×6, first 2 shown]
	s_nop 0
	v_mul_lo_u32 v86, v86, v175
	s_nop 0
	v_mad_u64_u32 v[86:87], s[20:21], v87, v177, v[86:87]
	v_cvt_f32_i32_e32 v86, v86
	v_mul_f32_e32 v87, v170, v84
	v_fmac_f32_e32 v23, v87, v86
	v_mov_b32_e32 v86, 0
	v_dot4c_i32_i8_e32 v86, v176, v4
	v_mov_b32_e32 v87, 0
	v_dot4c_i32_i8_e32 v86, v178, v5
	v_dot4c_i32_i8_e32 v87, v181, v0
	;; [unrolled: 1-line block ×7, first 2 shown]
	s_nop 0
	v_mul_lo_u32 v86, v86, v186
	s_nop 0
	v_mad_u64_u32 v[86:87], s[20:21], v87, v188, v[86:87]
	v_cvt_f32_i32_e32 v86, v86
	v_mul_f32_e32 v87, v182, v84
	v_fmac_f32_e32 v21, v87, v86
	v_mov_b32_e32 v86, 0
	v_dot4c_i32_i8_e32 v86, v187, v4
	v_mov_b32_e32 v87, 0
	v_dot4c_i32_i8_e32 v86, v189, v5
	v_dot4c_i32_i8_e32 v87, v192, v0
	;; [unrolled: 1-line block ×7, first 2 shown]
	s_nop 0
	v_mul_lo_u32 v86, v86, v197
	s_nop 0
	v_mad_u64_u32 v[86:87], s[20:21], v87, v199, v[86:87]
	v_cvt_f32_i32_e32 v86, v86
	v_mul_f32_e32 v87, v193, v84
	v_fmac_f32_e32 v19, v87, v86
	v_mov_b32_e32 v86, 0
	v_dot4c_i32_i8_e32 v86, v198, v4
	v_dot4c_i32_i8_e32 v86, v200, v5
	v_mov_b32_e32 v5, 0
	v_dot4c_i32_i8_e32 v5, v203, v0
	v_dot4c_i32_i8_e32 v86, v201, v6
	;; [unrolled: 1-line block ×6, first 2 shown]
	s_nop 0
	v_mul_lo_u32 v4, v86, v208
	v_mov_b32_e32 v86, 0
	v_mad_u64_u32 v[0:1], s[20:21], v5, v209, v[4:5]
	v_cvt_f32_i32_e32 v0, v0
	v_mul_f32_e32 v1, v204, v84
	v_mov_b32_e32 v84, 0
	v_fmac_f32_e32 v17, v1, v0
	ds_read_b128 v[0:3], v164 offset:7168
	ds_read_b128 v[4:7], v164 offset:7184
	v_add_u32_e32 v164, 32, v164
	s_waitcnt lgkmcnt(1)
	v_dot4c_i32_i8_e32 v84, v166, v0
	v_dot4c_i32_i8_e32 v84, v167, v1
	s_waitcnt lgkmcnt(0)
	v_dot4c_i32_i8_e32 v86, v171, v4
	v_dot4c_i32_i8_e32 v84, v168, v2
	;; [unrolled: 1-line block ×6, first 2 shown]
	s_nop 0
	v_mul_lo_u32 v84, v84, v175
	s_nop 0
	v_mad_u64_u32 v[86:87], s[20:21], v86, v177, v[84:85]
	v_cvt_f32_i32_e32 v86, v86
	v_mul_f32_e32 v84, v170, v85
	v_fmac_f32_e32 v15, v84, v86
	v_mov_b32_e32 v84, 0
	v_dot4c_i32_i8_e32 v84, v176, v0
	v_mov_b32_e32 v86, 0
	v_dot4c_i32_i8_e32 v84, v178, v1
	v_dot4c_i32_i8_e32 v86, v181, v4
	;; [unrolled: 1-line block ×7, first 2 shown]
	s_nop 0
	v_mul_lo_u32 v84, v84, v186
	s_nop 0
	v_mad_u64_u32 v[86:87], s[20:21], v86, v188, v[84:85]
	v_cvt_f32_i32_e32 v86, v86
	v_mul_f32_e32 v84, v182, v85
	v_fmac_f32_e32 v13, v84, v86
	v_mov_b32_e32 v84, 0
	v_dot4c_i32_i8_e32 v84, v187, v0
	v_mov_b32_e32 v86, 0
	v_dot4c_i32_i8_e32 v84, v189, v1
	v_dot4c_i32_i8_e32 v86, v192, v4
	;; [unrolled: 1-line block ×7, first 2 shown]
	s_nop 0
	v_mul_lo_u32 v84, v84, v197
	s_nop 0
	v_mad_u64_u32 v[86:87], s[20:21], v86, v199, v[84:85]
	v_cvt_f32_i32_e32 v86, v86
	v_mul_f32_e32 v84, v193, v85
	v_fmac_f32_e32 v11, v84, v86
	v_mov_b32_e32 v84, 0
	v_dot4c_i32_i8_e32 v84, v198, v0
	v_dot4c_i32_i8_e32 v84, v200, v1
	v_mov_b32_e32 v1, 0
	v_dot4c_i32_i8_e32 v1, v203, v4
	v_dot4c_i32_i8_e32 v84, v201, v2
	;; [unrolled: 1-line block ×6, first 2 shown]
	s_nop 0
	v_mul_lo_u32 v0, v84, v208
	s_nop 0
	v_mad_u64_u32 v[0:1], s[20:21], v1, v209, v[0:1]
	v_cvt_f32_i32_e32 v0, v0
	v_mul_f32_e32 v1, v204, v85
	s_mov_b32 s20, s19
	v_fmac_f32_e32 v9, v1, v0
	s_cbranch_scc1 .LBB149_14
; %bb.15:                               ;   in Loop: Header=BB149_6 Depth=1
	s_barrier
	s_branch .LBB149_5
.LBB149_16:
	v_mov_b32_e32 v1, v45
.LBB149_17:
	v_cmp_gt_u32_e32 vcc, s8, v88
	s_and_saveexec_b64 s[0:1], vcc
	s_cbranch_execz .LBB149_68
; %bb.18:
	v_add_u32_e32 v0, s6, v41
	v_mul_lo_u32 v5, v88, s10
	v_cmp_gt_u32_e32 vcc, s10, v0
	s_and_saveexec_b64 s[2:3], vcc
	s_cbranch_execz .LBB149_20
; %bb.19:
	v_add_u32_e32 v2, v0, v5
	v_mov_b32_e32 v3, 0
	v_cvt_f16_f32_e32 v6, v119
	v_lshlrev_b64 v[2:3], 1, v[2:3]
	s_waitcnt lgkmcnt(0)
	v_mov_b32_e32 v4, s13
	v_add_co_u32_e64 v2, s[0:1], s12, v2
	v_addc_co_u32_e64 v3, s[0:1], v4, v3, s[0:1]
	global_store_short v[2:3], v6, off
.LBB149_20:
	s_or_b64 exec, exec, s[2:3]
	v_add_u32_e32 v2, 32, v0
	v_cmp_gt_u32_e64 s[0:1], s10, v2
	s_and_saveexec_b64 s[4:5], s[0:1]
	s_cbranch_execz .LBB149_22
; %bb.21:
	v_add_u32_e32 v6, v2, v5
	v_mov_b32_e32 v7, 0
	v_cvt_f16_f32_e32 v4, v109
	v_lshlrev_b64 v[6:7], 1, v[6:7]
	s_waitcnt lgkmcnt(0)
	v_mov_b32_e32 v3, s13
	v_add_co_u32_e64 v6, s[2:3], s12, v6
	v_addc_co_u32_e64 v7, s[2:3], v3, v7, s[2:3]
	global_store_short v[6:7], v4, off
.LBB149_22:
	s_or_b64 exec, exec, s[4:5]
	v_add_u32_e32 v3, 64, v0
	v_cmp_gt_u32_e64 s[2:3], s10, v3
	s_and_saveexec_b64 s[6:7], s[2:3]
	;; [unrolled: 16-line block ×3, first 2 shown]
	s_cbranch_execz .LBB149_26
; %bb.25:
	v_add_u32_e32 v6, v4, v5
	v_mov_b32_e32 v7, 0
	v_cvt_f16_f32_e32 v8, v103
	v_lshlrev_b64 v[6:7], 1, v[6:7]
	s_waitcnt lgkmcnt(0)
	v_mov_b32_e32 v5, s13
	v_add_co_u32_e64 v6, s[6:7], s12, v6
	v_addc_co_u32_e64 v7, s[6:7], v5, v7, s[6:7]
	global_store_short v[6:7], v8, off
.LBB149_26:
	s_or_b64 exec, exec, s[14:15]
	v_add3_u32 v5, v1, s11, 8
	v_cmp_gt_u32_e64 s[6:7], s8, v5
	s_and_b64 exec, exec, s[6:7]
	s_cbranch_execz .LBB149_68
; %bb.27:
	v_mul_lo_u32 v5, v5, s10
	s_and_saveexec_b64 s[14:15], vcc
	s_cbranch_execnz .LBB149_69
; %bb.28:
	s_or_b64 exec, exec, s[14:15]
	s_and_saveexec_b64 s[14:15], s[0:1]
	s_cbranch_execnz .LBB149_70
.LBB149_29:
	s_or_b64 exec, exec, s[14:15]
	s_and_saveexec_b64 s[14:15], s[2:3]
	s_cbranch_execnz .LBB149_71
.LBB149_30:
	s_or_b64 exec, exec, s[14:15]
	s_and_saveexec_b64 s[14:15], s[4:5]
	s_cbranch_execz .LBB149_32
.LBB149_31:
	v_add_u32_e32 v6, v5, v4
	v_mov_b32_e32 v7, 0
	v_cvt_f16_f32_e32 v8, v83
	v_lshlrev_b64 v[6:7], 1, v[6:7]
	s_waitcnt lgkmcnt(0)
	v_mov_b32_e32 v5, s13
	v_add_co_u32_e64 v6, s[6:7], s12, v6
	v_addc_co_u32_e64 v7, s[6:7], v5, v7, s[6:7]
	global_store_short v[6:7], v8, off
.LBB149_32:
	s_or_b64 exec, exec, s[14:15]
	v_add3_u32 v5, v1, s11, 16
	v_cmp_gt_u32_e64 s[6:7], s8, v5
	s_and_b64 exec, exec, s[6:7]
	s_cbranch_execz .LBB149_68
; %bb.33:
	v_mul_lo_u32 v5, v5, s10
	s_and_saveexec_b64 s[14:15], vcc
	s_cbranch_execnz .LBB149_72
; %bb.34:
	s_or_b64 exec, exec, s[14:15]
	s_and_saveexec_b64 s[14:15], s[0:1]
	s_cbranch_execnz .LBB149_73
.LBB149_35:
	s_or_b64 exec, exec, s[14:15]
	s_and_saveexec_b64 s[14:15], s[2:3]
	s_cbranch_execnz .LBB149_74
.LBB149_36:
	s_or_b64 exec, exec, s[14:15]
	s_and_saveexec_b64 s[14:15], s[4:5]
	s_cbranch_execz .LBB149_38
.LBB149_37:
	v_add_u32_e32 v6, v5, v4
	v_mov_b32_e32 v7, 0
	v_cvt_f16_f32_e32 v8, v53
	v_lshlrev_b64 v[6:7], 1, v[6:7]
	s_waitcnt lgkmcnt(0)
	v_mov_b32_e32 v5, s13
	v_add_co_u32_e64 v6, s[6:7], s12, v6
	v_addc_co_u32_e64 v7, s[6:7], v5, v7, s[6:7]
	global_store_short v[6:7], v8, off
.LBB149_38:
	s_or_b64 exec, exec, s[14:15]
	v_add3_u32 v5, v1, s11, 24
	v_cmp_gt_u32_e64 s[6:7], s8, v5
	s_and_b64 exec, exec, s[6:7]
	s_cbranch_execz .LBB149_68
; %bb.39:
	v_mul_lo_u32 v5, v5, s10
	s_and_saveexec_b64 s[14:15], vcc
	s_cbranch_execnz .LBB149_75
; %bb.40:
	s_or_b64 exec, exec, s[14:15]
	s_and_saveexec_b64 s[14:15], s[0:1]
	s_cbranch_execnz .LBB149_76
.LBB149_41:
	s_or_b64 exec, exec, s[14:15]
	s_and_saveexec_b64 s[14:15], s[2:3]
	s_cbranch_execnz .LBB149_77
.LBB149_42:
	s_or_b64 exec, exec, s[14:15]
	s_and_saveexec_b64 s[14:15], s[4:5]
	s_cbranch_execz .LBB149_44
.LBB149_43:
	v_add_u32_e32 v6, v5, v4
	v_mov_b32_e32 v7, 0
	v_cvt_f16_f32_e32 v8, v43
	v_lshlrev_b64 v[6:7], 1, v[6:7]
	s_waitcnt lgkmcnt(0)
	v_mov_b32_e32 v5, s13
	v_add_co_u32_e64 v6, s[6:7], s12, v6
	v_addc_co_u32_e64 v7, s[6:7], v5, v7, s[6:7]
	global_store_short v[6:7], v8, off
.LBB149_44:
	s_or_b64 exec, exec, s[14:15]
	v_add3_u32 v5, v1, s11, 32
	v_cmp_gt_u32_e64 s[6:7], s8, v5
	s_and_b64 exec, exec, s[6:7]
	s_cbranch_execz .LBB149_68
; %bb.45:
	v_mul_lo_u32 v5, v5, s10
	s_and_saveexec_b64 s[14:15], vcc
	s_cbranch_execnz .LBB149_78
; %bb.46:
	s_or_b64 exec, exec, s[14:15]
	s_and_saveexec_b64 s[14:15], s[0:1]
	s_cbranch_execnz .LBB149_79
.LBB149_47:
	s_or_b64 exec, exec, s[14:15]
	s_and_saveexec_b64 s[14:15], s[2:3]
	s_cbranch_execnz .LBB149_80
.LBB149_48:
	s_or_b64 exec, exec, s[14:15]
	s_and_saveexec_b64 s[14:15], s[4:5]
	s_cbranch_execz .LBB149_50
.LBB149_49:
	v_add_u32_e32 v6, v5, v4
	v_mov_b32_e32 v7, 0
	v_cvt_f16_f32_e32 v8, v33
	v_lshlrev_b64 v[6:7], 1, v[6:7]
	s_waitcnt lgkmcnt(0)
	v_mov_b32_e32 v5, s13
	v_add_co_u32_e64 v6, s[6:7], s12, v6
	v_addc_co_u32_e64 v7, s[6:7], v5, v7, s[6:7]
	global_store_short v[6:7], v8, off
.LBB149_50:
	s_or_b64 exec, exec, s[14:15]
	v_add3_u32 v5, v1, s11, 40
	v_cmp_gt_u32_e64 s[6:7], s8, v5
	s_and_b64 exec, exec, s[6:7]
	s_cbranch_execz .LBB149_68
; %bb.51:
	v_mul_lo_u32 v5, v5, s10
	s_and_saveexec_b64 s[14:15], vcc
	s_cbranch_execnz .LBB149_81
; %bb.52:
	s_or_b64 exec, exec, s[14:15]
	s_and_saveexec_b64 s[14:15], s[0:1]
	s_cbranch_execnz .LBB149_82
.LBB149_53:
	s_or_b64 exec, exec, s[14:15]
	s_and_saveexec_b64 s[14:15], s[2:3]
	s_cbranch_execnz .LBB149_83
.LBB149_54:
	s_or_b64 exec, exec, s[14:15]
	s_and_saveexec_b64 s[14:15], s[4:5]
	s_cbranch_execz .LBB149_56
.LBB149_55:
	v_add_u32_e32 v6, v5, v4
	v_mov_b32_e32 v7, 0
	v_cvt_f16_f32_e32 v8, v25
	v_lshlrev_b64 v[6:7], 1, v[6:7]
	s_waitcnt lgkmcnt(0)
	v_mov_b32_e32 v5, s13
	v_add_co_u32_e64 v6, s[6:7], s12, v6
	v_addc_co_u32_e64 v7, s[6:7], v5, v7, s[6:7]
	global_store_short v[6:7], v8, off
.LBB149_56:
	s_or_b64 exec, exec, s[14:15]
	v_add3_u32 v5, v1, s11, 48
	v_cmp_gt_u32_e64 s[6:7], s8, v5
	s_and_b64 exec, exec, s[6:7]
	s_cbranch_execz .LBB149_68
; %bb.57:
	v_mul_lo_u32 v5, v5, s10
	s_and_saveexec_b64 s[14:15], vcc
	s_cbranch_execnz .LBB149_84
; %bb.58:
	s_or_b64 exec, exec, s[14:15]
	s_and_saveexec_b64 s[14:15], s[0:1]
	s_cbranch_execnz .LBB149_85
.LBB149_59:
	s_or_b64 exec, exec, s[14:15]
	s_and_saveexec_b64 s[14:15], s[2:3]
	s_cbranch_execnz .LBB149_86
.LBB149_60:
	s_or_b64 exec, exec, s[14:15]
	s_and_saveexec_b64 s[14:15], s[4:5]
	s_cbranch_execz .LBB149_62
.LBB149_61:
	v_add_u32_e32 v6, v5, v4
	v_mov_b32_e32 v7, 0
	v_cvt_f16_f32_e32 v8, v17
	v_lshlrev_b64 v[6:7], 1, v[6:7]
	s_waitcnt lgkmcnt(0)
	v_mov_b32_e32 v5, s13
	v_add_co_u32_e64 v6, s[6:7], s12, v6
	v_addc_co_u32_e64 v7, s[6:7], v5, v7, s[6:7]
	global_store_short v[6:7], v8, off
.LBB149_62:
	s_or_b64 exec, exec, s[14:15]
	v_add3_u32 v1, v1, s11, 56
	v_cmp_gt_u32_e64 s[6:7], s8, v1
	s_and_b64 exec, exec, s[6:7]
	s_cbranch_execz .LBB149_68
; %bb.63:
	v_mul_lo_u32 v1, v1, s10
	s_and_saveexec_b64 s[6:7], vcc
	s_cbranch_execnz .LBB149_87
; %bb.64:
	s_or_b64 exec, exec, s[6:7]
	s_and_saveexec_b64 s[6:7], s[0:1]
	s_cbranch_execnz .LBB149_88
.LBB149_65:
	s_or_b64 exec, exec, s[6:7]
	s_and_saveexec_b64 s[0:1], s[2:3]
	s_cbranch_execnz .LBB149_89
.LBB149_66:
	s_or_b64 exec, exec, s[0:1]
	s_and_b64 exec, exec, s[4:5]
	s_cbranch_execz .LBB149_68
.LBB149_67:
	v_add_u32_e32 v0, v1, v4
	v_mov_b32_e32 v1, 0
	v_cvt_f16_f32_e32 v3, v9
	v_lshlrev_b64 v[0:1], 1, v[0:1]
	s_waitcnt lgkmcnt(0)
	v_mov_b32_e32 v2, s13
	v_add_co_u32_e32 v0, vcc, s12, v0
	v_addc_co_u32_e32 v1, vcc, v2, v1, vcc
	global_store_short v[0:1], v3, off
.LBB149_68:
	s_endpgm
.LBB149_69:
	v_add_u32_e32 v6, v5, v0
	v_mov_b32_e32 v7, 0
	v_cvt_f16_f32_e32 v10, v99
	v_lshlrev_b64 v[6:7], 1, v[6:7]
	s_waitcnt lgkmcnt(0)
	v_mov_b32_e32 v8, s13
	v_add_co_u32_e64 v6, s[6:7], s12, v6
	v_addc_co_u32_e64 v7, s[6:7], v8, v7, s[6:7]
	global_store_short v[6:7], v10, off
	s_or_b64 exec, exec, s[14:15]
	s_and_saveexec_b64 s[14:15], s[0:1]
	s_cbranch_execz .LBB149_29
.LBB149_70:
	v_add_u32_e32 v6, v5, v2
	v_mov_b32_e32 v7, 0
	v_cvt_f16_f32_e32 v10, v98
	v_lshlrev_b64 v[6:7], 1, v[6:7]
	s_waitcnt lgkmcnt(0)
	v_mov_b32_e32 v8, s13
	v_add_co_u32_e64 v6, s[6:7], s12, v6
	v_addc_co_u32_e64 v7, s[6:7], v8, v7, s[6:7]
	global_store_short v[6:7], v10, off
	s_or_b64 exec, exec, s[14:15]
	s_and_saveexec_b64 s[14:15], s[2:3]
	s_cbranch_execz .LBB149_30
.LBB149_71:
	v_add_u32_e32 v6, v5, v3
	v_mov_b32_e32 v7, 0
	v_cvt_f16_f32_e32 v10, v97
	v_lshlrev_b64 v[6:7], 1, v[6:7]
	s_waitcnt lgkmcnt(0)
	v_mov_b32_e32 v8, s13
	v_add_co_u32_e64 v6, s[6:7], s12, v6
	v_addc_co_u32_e64 v7, s[6:7], v8, v7, s[6:7]
	global_store_short v[6:7], v10, off
	s_or_b64 exec, exec, s[14:15]
	s_and_saveexec_b64 s[14:15], s[4:5]
	s_cbranch_execnz .LBB149_31
	s_branch .LBB149_32
.LBB149_72:
	v_add_u32_e32 v6, v5, v0
	v_mov_b32_e32 v7, 0
	v_cvt_f16_f32_e32 v10, v77
	v_lshlrev_b64 v[6:7], 1, v[6:7]
	s_waitcnt lgkmcnt(0)
	v_mov_b32_e32 v8, s13
	v_add_co_u32_e64 v6, s[6:7], s12, v6
	v_addc_co_u32_e64 v7, s[6:7], v8, v7, s[6:7]
	global_store_short v[6:7], v10, off
	s_or_b64 exec, exec, s[14:15]
	s_and_saveexec_b64 s[14:15], s[0:1]
	s_cbranch_execz .LBB149_35
.LBB149_73:
	v_add_u32_e32 v6, v5, v2
	v_mov_b32_e32 v7, 0
	v_cvt_f16_f32_e32 v10, v61
	v_lshlrev_b64 v[6:7], 1, v[6:7]
	s_waitcnt lgkmcnt(0)
	v_mov_b32_e32 v8, s13
	v_add_co_u32_e64 v6, s[6:7], s12, v6
	v_addc_co_u32_e64 v7, s[6:7], v8, v7, s[6:7]
	global_store_short v[6:7], v10, off
	s_or_b64 exec, exec, s[14:15]
	s_and_saveexec_b64 s[14:15], s[2:3]
	s_cbranch_execz .LBB149_36
.LBB149_74:
	v_add_u32_e32 v6, v5, v3
	v_mov_b32_e32 v7, 0
	v_cvt_f16_f32_e32 v10, v55
	v_lshlrev_b64 v[6:7], 1, v[6:7]
	s_waitcnt lgkmcnt(0)
	v_mov_b32_e32 v8, s13
	v_add_co_u32_e64 v6, s[6:7], s12, v6
	v_addc_co_u32_e64 v7, s[6:7], v8, v7, s[6:7]
	global_store_short v[6:7], v10, off
	s_or_b64 exec, exec, s[14:15]
	s_and_saveexec_b64 s[14:15], s[4:5]
	s_cbranch_execnz .LBB149_37
	s_branch .LBB149_38
.LBB149_75:
	v_add_u32_e32 v6, v5, v0
	v_mov_b32_e32 v7, 0
	v_cvt_f16_f32_e32 v10, v51
	v_lshlrev_b64 v[6:7], 1, v[6:7]
	s_waitcnt lgkmcnt(0)
	v_mov_b32_e32 v8, s13
	v_add_co_u32_e64 v6, s[6:7], s12, v6
	v_addc_co_u32_e64 v7, s[6:7], v8, v7, s[6:7]
	global_store_short v[6:7], v10, off
	s_or_b64 exec, exec, s[14:15]
	s_and_saveexec_b64 s[14:15], s[0:1]
	s_cbranch_execz .LBB149_41
.LBB149_76:
	v_add_u32_e32 v6, v5, v2
	v_mov_b32_e32 v7, 0
	v_cvt_f16_f32_e32 v10, v49
	v_lshlrev_b64 v[6:7], 1, v[6:7]
	s_waitcnt lgkmcnt(0)
	v_mov_b32_e32 v8, s13
	v_add_co_u32_e64 v6, s[6:7], s12, v6
	v_addc_co_u32_e64 v7, s[6:7], v8, v7, s[6:7]
	global_store_short v[6:7], v10, off
	s_or_b64 exec, exec, s[14:15]
	s_and_saveexec_b64 s[14:15], s[2:3]
	s_cbranch_execz .LBB149_42
.LBB149_77:
	v_add_u32_e32 v6, v5, v3
	v_mov_b32_e32 v7, 0
	v_cvt_f16_f32_e32 v10, v47
	v_lshlrev_b64 v[6:7], 1, v[6:7]
	s_waitcnt lgkmcnt(0)
	v_mov_b32_e32 v8, s13
	v_add_co_u32_e64 v6, s[6:7], s12, v6
	v_addc_co_u32_e64 v7, s[6:7], v8, v7, s[6:7]
	global_store_short v[6:7], v10, off
	s_or_b64 exec, exec, s[14:15]
	s_and_saveexec_b64 s[14:15], s[4:5]
	s_cbranch_execnz .LBB149_43
	s_branch .LBB149_44
.LBB149_78:
	v_add_u32_e32 v6, v5, v0
	v_mov_b32_e32 v7, 0
	v_cvt_f16_f32_e32 v10, v39
	v_lshlrev_b64 v[6:7], 1, v[6:7]
	s_waitcnt lgkmcnt(0)
	v_mov_b32_e32 v8, s13
	v_add_co_u32_e64 v6, s[6:7], s12, v6
	v_addc_co_u32_e64 v7, s[6:7], v8, v7, s[6:7]
	global_store_short v[6:7], v10, off
	s_or_b64 exec, exec, s[14:15]
	s_and_saveexec_b64 s[14:15], s[0:1]
	s_cbranch_execz .LBB149_47
.LBB149_79:
	v_add_u32_e32 v6, v5, v2
	v_mov_b32_e32 v7, 0
	v_cvt_f16_f32_e32 v10, v37
	v_lshlrev_b64 v[6:7], 1, v[6:7]
	s_waitcnt lgkmcnt(0)
	v_mov_b32_e32 v8, s13
	v_add_co_u32_e64 v6, s[6:7], s12, v6
	v_addc_co_u32_e64 v7, s[6:7], v8, v7, s[6:7]
	global_store_short v[6:7], v10, off
	s_or_b64 exec, exec, s[14:15]
	s_and_saveexec_b64 s[14:15], s[2:3]
	s_cbranch_execz .LBB149_48
.LBB149_80:
	v_add_u32_e32 v6, v5, v3
	v_mov_b32_e32 v7, 0
	v_cvt_f16_f32_e32 v10, v35
	v_lshlrev_b64 v[6:7], 1, v[6:7]
	s_waitcnt lgkmcnt(0)
	v_mov_b32_e32 v8, s13
	v_add_co_u32_e64 v6, s[6:7], s12, v6
	v_addc_co_u32_e64 v7, s[6:7], v8, v7, s[6:7]
	global_store_short v[6:7], v10, off
	s_or_b64 exec, exec, s[14:15]
	s_and_saveexec_b64 s[14:15], s[4:5]
	s_cbranch_execnz .LBB149_49
	s_branch .LBB149_50
.LBB149_81:
	v_add_u32_e32 v6, v5, v0
	v_mov_b32_e32 v7, 0
	v_cvt_f16_f32_e32 v10, v31
	v_lshlrev_b64 v[6:7], 1, v[6:7]
	s_waitcnt lgkmcnt(0)
	v_mov_b32_e32 v8, s13
	v_add_co_u32_e64 v6, s[6:7], s12, v6
	v_addc_co_u32_e64 v7, s[6:7], v8, v7, s[6:7]
	global_store_short v[6:7], v10, off
	s_or_b64 exec, exec, s[14:15]
	s_and_saveexec_b64 s[14:15], s[0:1]
	s_cbranch_execz .LBB149_53
.LBB149_82:
	v_add_u32_e32 v6, v5, v2
	v_mov_b32_e32 v7, 0
	v_cvt_f16_f32_e32 v10, v29
	v_lshlrev_b64 v[6:7], 1, v[6:7]
	s_waitcnt lgkmcnt(0)
	v_mov_b32_e32 v8, s13
	v_add_co_u32_e64 v6, s[6:7], s12, v6
	v_addc_co_u32_e64 v7, s[6:7], v8, v7, s[6:7]
	global_store_short v[6:7], v10, off
	s_or_b64 exec, exec, s[14:15]
	s_and_saveexec_b64 s[14:15], s[2:3]
	s_cbranch_execz .LBB149_54
.LBB149_83:
	v_add_u32_e32 v6, v5, v3
	v_mov_b32_e32 v7, 0
	v_cvt_f16_f32_e32 v10, v27
	v_lshlrev_b64 v[6:7], 1, v[6:7]
	s_waitcnt lgkmcnt(0)
	v_mov_b32_e32 v8, s13
	v_add_co_u32_e64 v6, s[6:7], s12, v6
	v_addc_co_u32_e64 v7, s[6:7], v8, v7, s[6:7]
	global_store_short v[6:7], v10, off
	s_or_b64 exec, exec, s[14:15]
	s_and_saveexec_b64 s[14:15], s[4:5]
	s_cbranch_execnz .LBB149_55
	s_branch .LBB149_56
.LBB149_84:
	v_add_u32_e32 v6, v5, v0
	v_mov_b32_e32 v7, 0
	v_cvt_f16_f32_e32 v10, v23
	v_lshlrev_b64 v[6:7], 1, v[6:7]
	s_waitcnt lgkmcnt(0)
	v_mov_b32_e32 v8, s13
	v_add_co_u32_e64 v6, s[6:7], s12, v6
	v_addc_co_u32_e64 v7, s[6:7], v8, v7, s[6:7]
	global_store_short v[6:7], v10, off
	s_or_b64 exec, exec, s[14:15]
	s_and_saveexec_b64 s[14:15], s[0:1]
	s_cbranch_execz .LBB149_59
.LBB149_85:
	v_add_u32_e32 v6, v5, v2
	v_mov_b32_e32 v7, 0
	v_cvt_f16_f32_e32 v10, v21
	v_lshlrev_b64 v[6:7], 1, v[6:7]
	s_waitcnt lgkmcnt(0)
	v_mov_b32_e32 v8, s13
	v_add_co_u32_e64 v6, s[6:7], s12, v6
	v_addc_co_u32_e64 v7, s[6:7], v8, v7, s[6:7]
	global_store_short v[6:7], v10, off
	s_or_b64 exec, exec, s[14:15]
	s_and_saveexec_b64 s[14:15], s[2:3]
	s_cbranch_execz .LBB149_60
.LBB149_86:
	v_add_u32_e32 v6, v5, v3
	v_mov_b32_e32 v7, 0
	v_cvt_f16_f32_e32 v10, v19
	v_lshlrev_b64 v[6:7], 1, v[6:7]
	s_waitcnt lgkmcnt(0)
	v_mov_b32_e32 v8, s13
	v_add_co_u32_e64 v6, s[6:7], s12, v6
	v_addc_co_u32_e64 v7, s[6:7], v8, v7, s[6:7]
	global_store_short v[6:7], v10, off
	s_or_b64 exec, exec, s[14:15]
	s_and_saveexec_b64 s[14:15], s[4:5]
	s_cbranch_execnz .LBB149_61
	s_branch .LBB149_62
.LBB149_87:
	v_add_u32_e32 v6, v1, v0
	v_mov_b32_e32 v7, 0
	v_cvt_f16_f32_e32 v5, v15
	v_lshlrev_b64 v[6:7], 1, v[6:7]
	s_waitcnt lgkmcnt(0)
	v_mov_b32_e32 v0, s13
	v_add_co_u32_e32 v6, vcc, s12, v6
	v_addc_co_u32_e32 v7, vcc, v0, v7, vcc
	global_store_short v[6:7], v5, off
	s_or_b64 exec, exec, s[6:7]
	s_and_saveexec_b64 s[6:7], s[0:1]
	s_cbranch_execz .LBB149_65
.LBB149_88:
	v_add_u32_e32 v6, v1, v2
	v_mov_b32_e32 v7, 0
	v_cvt_f16_f32_e32 v2, v13
	v_lshlrev_b64 v[6:7], 1, v[6:7]
	s_waitcnt lgkmcnt(0)
	v_mov_b32_e32 v0, s13
	v_add_co_u32_e32 v6, vcc, s12, v6
	v_addc_co_u32_e32 v7, vcc, v0, v7, vcc
	global_store_short v[6:7], v2, off
	s_or_b64 exec, exec, s[6:7]
	s_and_saveexec_b64 s[0:1], s[2:3]
	s_cbranch_execz .LBB149_66
.LBB149_89:
	v_add_u32_e32 v2, v1, v3
	v_mov_b32_e32 v3, 0
	v_cvt_f16_f32_e32 v5, v11
	v_lshlrev_b64 v[2:3], 1, v[2:3]
	s_waitcnt lgkmcnt(0)
	v_mov_b32_e32 v0, s13
	v_add_co_u32_e32 v2, vcc, s12, v2
	v_addc_co_u32_e32 v3, vcc, v0, v3, vcc
	global_store_short v[2:3], v5, off
	s_or_b64 exec, exec, s[0:1]
	s_and_b64 exec, exec, s[4:5]
	s_cbranch_execnz .LBB149_67
	s_branch .LBB149_68
	.section	.rodata,"a",@progbits
	.p2align	6, 0x0
	.amdhsa_kernel _ZL12mul_mat_q3_KIN3c104HalfELb0EEvPKvS3_PT_iiiii
		.amdhsa_group_segment_fixed_size 39840
		.amdhsa_private_segment_fixed_size 0
		.amdhsa_kernarg_size 44
		.amdhsa_user_sgpr_count 6
		.amdhsa_user_sgpr_private_segment_buffer 1
		.amdhsa_user_sgpr_dispatch_ptr 0
		.amdhsa_user_sgpr_queue_ptr 0
		.amdhsa_user_sgpr_kernarg_segment_ptr 1
		.amdhsa_user_sgpr_dispatch_id 0
		.amdhsa_user_sgpr_flat_scratch_init 0
		.amdhsa_user_sgpr_kernarg_preload_length 0
		.amdhsa_user_sgpr_kernarg_preload_offset 0
		.amdhsa_user_sgpr_private_segment_size 0
		.amdhsa_uses_dynamic_stack 0
		.amdhsa_system_sgpr_private_segment_wavefront_offset 0
		.amdhsa_system_sgpr_workgroup_id_x 1
		.amdhsa_system_sgpr_workgroup_id_y 1
		.amdhsa_system_sgpr_workgroup_id_z 0
		.amdhsa_system_sgpr_workgroup_info 0
		.amdhsa_system_vgpr_workitem_id 1
		.amdhsa_next_free_vgpr 214
		.amdhsa_next_free_sgpr 28
		.amdhsa_accum_offset 216
		.amdhsa_reserve_vcc 1
		.amdhsa_reserve_flat_scratch 0
		.amdhsa_float_round_mode_32 0
		.amdhsa_float_round_mode_16_64 0
		.amdhsa_float_denorm_mode_32 3
		.amdhsa_float_denorm_mode_16_64 3
		.amdhsa_dx10_clamp 1
		.amdhsa_ieee_mode 1
		.amdhsa_fp16_overflow 0
		.amdhsa_tg_split 0
		.amdhsa_exception_fp_ieee_invalid_op 0
		.amdhsa_exception_fp_denorm_src 0
		.amdhsa_exception_fp_ieee_div_zero 0
		.amdhsa_exception_fp_ieee_overflow 0
		.amdhsa_exception_fp_ieee_underflow 0
		.amdhsa_exception_fp_ieee_inexact 0
		.amdhsa_exception_int_div_zero 0
	.end_amdhsa_kernel
	.section	.text._ZL12mul_mat_q3_KIN3c104HalfELb0EEvPKvS3_PT_iiiii,"axG",@progbits,_ZL12mul_mat_q3_KIN3c104HalfELb0EEvPKvS3_PT_iiiii,comdat
.Lfunc_end149:
	.size	_ZL12mul_mat_q3_KIN3c104HalfELb0EEvPKvS3_PT_iiiii, .Lfunc_end149-_ZL12mul_mat_q3_KIN3c104HalfELb0EEvPKvS3_PT_iiiii
                                        ; -- End function
	.section	.AMDGPU.csdata,"",@progbits
; Kernel info:
; codeLenInByte = 32496
; NumSgprs: 32
; NumVgprs: 214
; NumAgprs: 0
; TotalNumVgprs: 214
; ScratchSize: 0
; MemoryBound: 0
; FloatMode: 240
; IeeeMode: 1
; LDSByteSize: 39840 bytes/workgroup (compile time only)
; SGPRBlocks: 3
; VGPRBlocks: 26
; NumSGPRsForWavesPerEU: 32
; NumVGPRsForWavesPerEU: 214
; AccumOffset: 216
; Occupancy: 1
; WaveLimiterHint : 0
; COMPUTE_PGM_RSRC2:SCRATCH_EN: 0
; COMPUTE_PGM_RSRC2:USER_SGPR: 6
; COMPUTE_PGM_RSRC2:TRAP_HANDLER: 0
; COMPUTE_PGM_RSRC2:TGID_X_EN: 1
; COMPUTE_PGM_RSRC2:TGID_Y_EN: 1
; COMPUTE_PGM_RSRC2:TGID_Z_EN: 0
; COMPUTE_PGM_RSRC2:TIDIG_COMP_CNT: 1
; COMPUTE_PGM_RSRC3_GFX90A:ACCUM_OFFSET: 53
; COMPUTE_PGM_RSRC3_GFX90A:TG_SPLIT: 0
	.section	.text._ZL12mul_mat_q3_KIN3c104HalfELb1EEvPKvS3_PT_iiiii,"axG",@progbits,_ZL12mul_mat_q3_KIN3c104HalfELb1EEvPKvS3_PT_iiiii,comdat
	.globl	_ZL12mul_mat_q3_KIN3c104HalfELb1EEvPKvS3_PT_iiiii ; -- Begin function _ZL12mul_mat_q3_KIN3c104HalfELb1EEvPKvS3_PT_iiiii
	.p2align	8
	.type	_ZL12mul_mat_q3_KIN3c104HalfELb1EEvPKvS3_PT_iiiii,@function
_ZL12mul_mat_q3_KIN3c104HalfELb1EEvPKvS3_PT_iiiii: ; @_ZL12mul_mat_q3_KIN3c104HalfELb1EEvPKvS3_PT_iiiii
; %bb.0:
	s_load_dwordx4 s[8:11], s[4:5], 0x18
	s_load_dword s14, s[4:5], 0x28
	s_lshl_b32 s15, s7, 6
	v_bfe_u32 v41, v0, 10, 10
	s_waitcnt lgkmcnt(0)
	s_cmpk_gt_i32 s8, 0xff
	s_cbranch_scc1 .LBB150_2
; %bb.1:
	v_bfe_u32 v1, v0, 10, 10
	v_and_b32_e32 v37, 0x3ff, v0
	v_add_u32_e32 v63, s15, v1
	s_mov_b64 s[0:1], 0
	s_mov_b32 s2, 0
	s_branch .LBB150_3
.LBB150_2:
	s_mov_b64 s[0:1], -1
                                        ; implicit-def: $sgpr2
                                        ; implicit-def: $vgpr1
                                        ; implicit-def: $vgpr37
                                        ; implicit-def: $vgpr63
.LBB150_3:
	s_load_dwordx2 s[12:13], s[4:5], 0x10
	s_lshl_b32 s6, s6, 7
	s_andn2_b64 vcc, exec, s[0:1]
	v_mov_b32_e32 v9, s2
	v_mov_b32_e32 v17, s2
	;; [unrolled: 1-line block ×32, first 2 shown]
	s_cbranch_vccnz .LBB150_17
; %bb.4:
	s_load_dwordx4 s[0:3], s[4:5], 0x0
	s_ashr_i32 s4, s8, 31
	s_lshr_b32 s4, s4, 24
	s_add_i32 s4, s8, s4
	s_ashr_i32 s5, s11, 31
	s_ashr_i32 s4, s4, 8
	s_lshr_b32 s5, s5, 27
	s_add_i32 s5, s11, s5
	s_mul_i32 s7, s4, s6
	s_ashr_i32 s11, s5, 5
	s_mul_hi_i32 s8, s7, 0x6e
	s_mulk_i32 s7, 0x6e
	s_waitcnt lgkmcnt(0)
	s_add_u32 s0, s0, s7
	s_addc_u32 s1, s1, s8
	s_not_b32 s17, s6
	s_add_i32 s17, s17, s9
	v_and_b32_e32 v37, 0x3ff, v0
	v_and_b32_e32 v1, 15, v37
	v_min_i32_e32 v2, s17, v41
	v_lshlrev_b32_e32 v0, 2, v37
	s_movk_i32 s9, 0x84
	v_add_u32_e32 v3, 8, v41
	v_mul_lo_u32 v12, v2, s4
	v_mad_u64_u32 v[14:15], s[18:19], v2, s9, v[0:1]
	v_min_i32_e32 v2, s17, v3
	v_add_u32_e32 v6, 16, v41
	v_mul_lo_u32 v16, v2, s4
	v_mad_u64_u32 v[18:19], s[18:19], v2, s9, v[0:1]
	v_min_i32_e32 v2, s17, v6
	;; [unrolled: 4-line block ×7, first 2 shown]
	v_mul_lo_u32 v40, v2, s4
	v_mad_u64_u32 v[42:43], s[18:19], v2, s9, v[0:1]
	v_add_u32_e32 v2, 64, v41
	v_min_i32_e32 v2, s17, v2
	v_mul_lo_u32 v44, v2, s4
	v_mad_u64_u32 v[46:47], s[18:19], v2, s9, v[0:1]
	v_add_u32_e32 v2, 0x48, v41
	v_min_i32_e32 v2, s17, v2
	v_mul_lo_u32 v48, v2, s4
	v_mad_u64_u32 v[50:51], s[18:19], v2, s9, v[0:1]
	v_add_u32_e32 v2, 0x50, v41
	v_min_i32_e32 v2, s17, v2
	v_mul_lo_u32 v52, v2, s4
	v_mad_u64_u32 v[54:55], s[18:19], v2, s9, v[0:1]
	v_add_u32_e32 v2, 0x58, v41
	v_min_i32_e32 v2, s17, v2
	v_mul_lo_u32 v56, v2, s4
	v_mad_u64_u32 v[58:59], s[18:19], v2, s9, v[0:1]
	v_add_u32_e32 v2, 0x60, v41
	v_min_i32_e32 v2, s17, v2
	v_mul_lo_u32 v60, v2, s4
	v_mad_u64_u32 v[62:63], s[18:19], v2, s9, v[0:1]
	v_add_u32_e32 v2, 0x68, v41
	v_min_i32_e32 v2, s17, v2
	v_mul_lo_u32 v64, v2, s4
	v_mad_u64_u32 v[66:67], s[18:19], v2, s9, v[0:1]
	v_add_u32_e32 v2, 0x70, v41
	v_min_i32_e32 v2, s17, v2
	v_mul_lo_u32 v68, v2, s4
	v_mad_u64_u32 v[70:71], s[18:19], v2, s9, v[0:1]
	v_add_u32_e32 v2, 0x78, v41
	v_min_i32_e32 v2, s17, v2
	v_lshlrev_b32_e32 v61, 4, v41
	v_lshrrev_b32_e32 v17, 1, v37
	v_mul_lo_u32 v72, v2, s4
	v_mad_u64_u32 v[74:75], s[18:19], v2, s9, v[0:1]
	v_add_u32_e32 v2, v17, v61
	v_and_b32_e32 v2, 0x7f, v2
	v_min_i32_e32 v2, s17, v2
	v_ashrrev_i32_e32 v4, 31, v2
	v_lshrrev_b32_e32 v4, 28, v4
	v_add_u32_e32 v4, v2, v4
	v_lshrrev_b32_e32 v8, 4, v37
	v_and_b32_e32 v76, 1, v37
	v_ashrrev_i32_e32 v4, 4, v4
	v_mul_lo_u32 v78, v2, s4
	v_lshlrev_b32_e32 v4, 2, v4
	v_lshlrev_b32_e32 v5, 2, v76
	s_mov_b32 s16, 0x9380
	v_lshlrev_b32_e32 v21, 3, v2
	v_lshl_add_u32 v2, v41, 1, v8
	v_add3_u32 v19, v4, v5, s16
	v_min_i32_e32 v4, s17, v2
	v_lshrrev_b32_e32 v5, 31, v4
	v_mul_lo_u32 v84, v4, s4
	v_add_lshl_u32 v5, v4, v5, 1
	v_lshlrev_b32_e32 v25, 6, v4
	v_add_u32_e32 v4, 16, v2
	v_lshlrev_b32_e32 v10, 2, v1
	v_and_b32_e32 v5, -4, v5
	s_movk_i32 s18, 0x4200
	v_min_i32_e32 v4, s17, v4
	v_add3_u32 v23, v5, v10, s18
	v_lshrrev_b32_e32 v5, 31, v4
	v_mul_lo_u32 v86, v4, s4
	v_add_lshl_u32 v5, v4, v5, 1
	v_lshlrev_b32_e32 v29, 6, v4
	v_add_u32_e32 v4, 32, v2
	v_and_b32_e32 v5, -4, v5
	v_min_i32_e32 v4, s17, v4
	v_add3_u32 v27, v5, v10, s18
	v_lshrrev_b32_e32 v5, 31, v4
	v_mul_lo_u32 v88, v4, s4
	v_add_lshl_u32 v5, v4, v5, 1
	v_lshlrev_b32_e32 v33, 6, v4
	v_add_u32_e32 v4, 48, v2
	v_and_b32_e32 v5, -4, v5
	;; [unrolled: 8-line block ×5, first 2 shown]
	v_min_i32_e32 v4, s17, v4
	v_add_u32_e32 v2, 0x70, v2
	v_add3_u32 v47, v5, v10, s18
	v_lshrrev_b32_e32 v5, 31, v4
	v_min_i32_e32 v2, s17, v2
	v_cmp_lt_u32_e32 vcc, 7, v1
	v_and_b32_e32 v1, 7, v37
	v_mul_lo_u32 v96, v4, s4
	v_add_lshl_u32 v5, v4, v5, 1
	v_lshlrev_b32_e32 v53, 6, v4
	v_lshrrev_b32_e32 v4, 31, v2
	v_cndmask_b32_e64 v80, 0, 1, vcc
	v_mul_lo_u32 v98, v2, s4
	v_add_lshl_u32 v4, v2, v4, 1
	v_lshlrev_b32_e32 v57, 6, v2
	v_cmp_lt_u32_e32 vcc, 3, v1
	v_and_b32_e32 v2, 3, v37
	v_lshlrev_b32_e32 v82, 2, v1
	v_cndmask_b32_e64 v100, 0, 1, vcc
	v_add_u16_e32 v1, -2, v2
	v_cmp_gt_u32_e32 vcc, 2, v2
	v_and_b32_e32 v5, -4, v5
	v_cndmask_b32_e32 v1, v1, v2, vcc
	v_cmp_lt_u32_e32 vcc, 1, v2
	v_add3_u32 v51, v5, v10, s18
	v_and_b32_e32 v4, -4, v4
	v_lshrrev_b32_e32 v73, 3, v37
	v_cndmask_b32_e64 v5, 0, 1, vcc
	v_add3_u32 v55, v4, v10, s18
	v_lshl_add_u32 v4, v41, 2, v73
	v_lshlrev_b32_e32 v75, 2, v5
	v_mov_b32_e32 v5, 2
	v_lshlrev_b32_sdwa v102, v5, v1 dst_sel:DWORD dst_unused:UNUSED_PAD src0_sel:DWORD src1_sel:BYTE_0
	v_min_i32_e32 v1, s17, v4
	v_ashrrev_i32_e32 v5, 31, v1
	v_lshrrev_b32_e32 v5, 30, v5
	v_mul_lo_u32 v104, v1, s4
	v_add_u32_e32 v5, v1, v5
	v_lshlrev_b32_e32 v65, 5, v1
	v_add_u32_e32 v1, 32, v4
	v_and_b32_e32 v5, -4, v5
	s_mov_b32 s18, 0x8300
	v_min_i32_e32 v1, s17, v1
	v_add3_u32 v59, v5, v82, s18
	v_ashrrev_i32_e32 v5, 31, v1
	v_lshrrev_b32_e32 v5, 30, v5
	v_mul_lo_u32 v106, v1, s4
	v_add_u32_e32 v5, v1, v5
	v_lshlrev_b32_e32 v69, 5, v1
	v_add_u32_e32 v1, 64, v4
	v_and_b32_e32 v5, -4, v5
	v_min_i32_e32 v1, s17, v1
	v_add3_u32 v67, v5, v82, s18
	v_ashrrev_i32_e32 v5, 31, v1
	v_lshrrev_b32_e32 v5, 30, v5
	v_mul_lo_u32 v108, v1, s4
	v_add_u32_e32 v5, v1, v5
	v_lshlrev_b32_e32 v79, 5, v1
	v_add_u32_e32 v1, 0x60, v4
	v_min_i32_e32 v1, s17, v1
	v_and_b32_e32 v0, 28, v0
	v_ashrrev_i32_e32 v4, 31, v1
	v_add_co_u32_e32 v112, vcc, s2, v0
	v_lshrrev_b32_e32 v0, 2, v37
	v_lshrrev_b32_e32 v4, 30, v4
	v_lshl_add_u32 v0, v41, 3, v0
	v_mul_lo_u32 v110, v1, s4
	v_add_u32_e32 v4, v1, v4
	v_lshlrev_b32_e32 v83, 5, v1
	v_mov_b32_e32 v1, s3
	v_and_b32_e32 v0, 63, v0
	s_add_i32 s17, s10, -1
	v_addc_co_u32_e32 v113, vcc, 0, v1, vcc
	v_or_b32_e32 v1, s15, v0
	v_and_b32_e32 v5, -4, v5
	v_and_b32_e32 v4, -4, v4
	v_min_i32_e32 v1, s17, v1
	v_add3_u32 v71, v5, v82, s18
	v_add3_u32 v81, v4, v82, s18
	v_mad_u64_u32 v[114:115], s[18:19], v1, s11, v[2:3]
	v_lshlrev_b32_e32 v1, 2, v2
	v_add_u32_e32 v63, s15, v41
	v_lshl_or_b32 v0, v0, 4, v1
	v_cvt_f64_i32_e32 v[4:5], s17
	v_add_u32_e32 v85, 0x97a0, v0
	v_cvt_f64_u32_e32 v[0:1], v63
	v_and_b32_e32 v89, 31, v37
	v_min_f64 v[0:1], v[0:1], v[4:5]
	v_lshlrev_b32_e32 v77, 1, v2
	v_cvt_i32_f64_e32 v0, v[0:1]
	v_lshlrev_b32_e32 v2, 2, v89
	v_lshlrev_b32_e32 v89, 7, v41
	v_mul_lo_u32 v87, s11, v0
	v_or_b32_e32 v0, v89, v2
	v_add_u32_e32 v91, 0x6300, v0
	v_add_u32_e32 v0, 8, v63
	v_cvt_f64_u32_e32 v[0:1], v0
	v_min_f64 v[0:1], v[0:1], v[4:5]
	v_cvt_i32_f64_e32 v0, v[0:1]
	v_mul_lo_u32 v93, s11, v0
	v_lshl_or_b32 v0, v3, 7, v2
	v_add_u32_e32 v97, 0x6300, v0
	v_add_u32_e32 v0, 16, v63
	v_cvt_f64_u32_e32 v[0:1], v0
	v_min_f64 v[0:1], v[0:1], v[4:5]
	v_cvt_i32_f64_e32 v0, v[0:1]
	v_mul_lo_u32 v99, s11, v0
	v_lshl_or_b32 v0, v6, 7, v2
	;; [unrolled: 7-line block ×7, first 2 shown]
	v_add_u32_e32 v123, 0x6300, v0
	v_add_u32_e32 v0, 32, v37
	v_lshrrev_b32_e32 v1, 1, v0
	v_lshl_add_u32 v128, v0, 4, v1
	v_mov_b32_e32 v1, 0x1080
	v_lshlrev_b32_e32 v6, 2, v8
	v_lshlrev_b32_e32 v7, 3, v37
	v_mad_u32_u24 v129, v37, s9, v1
	v_lshrrev_b32_e32 v1, 2, v0
	v_add3_u32 v127, v6, v7, s16
	v_and_b32_e32 v1, 0x7c, v1
	v_lshlrev_b32_e32 v6, 3, v0
	v_add_u32_e32 v2, 64, v37
	v_add3_u32 v130, v6, v1, s16
	v_mov_b32_e32 v1, 0x2100
	v_lshrrev_b32_e32 v3, 1, v2
	v_mad_u32_u24 v132, v37, s9, v1
	v_lshrrev_b32_e32 v1, 2, v2
	v_lshl_add_u32 v131, v2, 4, v3
	v_and_b32_e32 v1, 0x7c, v1
	v_lshlrev_b32_e32 v3, 3, v2
	v_add_u32_e32 v4, 0x60, v37
	v_add3_u32 v133, v3, v1, s16
	v_mov_b32_e32 v1, 0x3180
	v_mad_u32_u24 v135, v37, s9, v1
	v_lshrrev_b32_e32 v1, 2, v4
	v_lshrrev_b32_e32 v5, 1, v4
	v_and_b32_e32 v1, 0x7c, v1
	v_lshlrev_b32_e32 v3, 3, v4
	v_and_b32_e32 v140, 0xfc, v37
	v_and_b32_e32 v142, 0x1fc, v0
	v_and_b32_e32 v144, 0x1fc, v2
	v_and_b32_e32 v146, 0x1fc, v4
	s_movk_i32 s5, 0x6e
	s_mov_b32 s7, 0
	s_movk_i32 s8, 0x60
	v_lshlrev_b32_e32 v124, 5, v37
	v_lshl_add_u32 v125, v37, 4, v17
	v_mul_u32_u24_e32 v126, 0x84, v37
	v_lshl_add_u32 v134, v4, 4, v5
	v_add3_u32 v136, v3, v1, s16
	v_lshrrev_b32_e32 v137, 3, v0
	v_lshrrev_b32_e32 v138, 3, v2
	;; [unrolled: 1-line block ×3, first 2 shown]
	v_or_b32_e32 v141, 0x6300, v140
	v_add_u32_e32 v143, 0x6300, v142
	v_add_u32_e32 v145, 0x6300, v144
	;; [unrolled: 1-line block ×14, first 2 shown]
	s_mov_b32 s9, 0x30303030
	s_movk_i32 s11, 0x3f00
	s_movk_i32 s16, 0xe000
	v_add_u32_e32 v159, v59, v65
	v_add_u32_e32 v160, v67, v69
	;; [unrolled: 1-line block ×4, first 2 shown]
	v_mov_b32_e32 v163, 8
	v_mov_b32_e32 v95, 0
	;; [unrolled: 1-line block ×33, first 2 shown]
	s_branch .LBB150_6
.LBB150_5:                              ;   in Loop: Header=BB150_6 Depth=1
	s_add_i32 s7, s7, 2
	s_cmp_ge_i32 s7, s4
	s_cbranch_scc1 .LBB150_16
.LBB150_6:                              ; =>This Loop Header: Depth=1
                                        ;     Child Loop BB150_7 Depth 2
                                        ;     Child Loop BB150_9 Depth 2
	;; [unrolled: 1-line block ×4, first 2 shown]
	s_mul_i32 s18, s7, 0x6e
	s_mul_hi_u32 s17, s7, 0x6e
	s_add_u32 s18, s0, s18
	s_addc_u32 s19, s1, s17
	v_pk_mov_b32 v[0:1], s[18:19], s[18:19] op_sel:[0,1]
	v_mad_u64_u32 v[2:3], s[18:19], v8, s5, v[0:1]
	v_add_co_u32_e32 v2, vcc, v2, v10
	v_addc_co_u32_e32 v3, vcc, 0, v3, vcc
	v_add_co_u32_e32 v2, vcc, 32, v2
	v_addc_co_u32_e32 v3, vcc, 0, v3, vcc
	v_mad_i64_i32 v[4:5], s[18:19], v12, s5, v[2:3]
	v_mad_i64_i32 v[6:7], s[18:19], v16, s5, v[2:3]
	;; [unrolled: 1-line block ×8, first 2 shown]
	global_load_dword v172, v[4:5], off
	global_load_dword v173, v[6:7], off
	;; [unrolled: 1-line block ×7, first 2 shown]
	s_nop 0
	global_load_dword v170, v[170:171], off
	v_mad_i64_i32 v[4:5], s[18:19], v44, s5, v[2:3]
	v_mad_i64_i32 v[6:7], s[18:19], v48, s5, v[2:3]
	;; [unrolled: 1-line block ×8, first 2 shown]
	global_load_dword v171, v[4:5], off
	global_load_dword v179, v[6:7], off
	;; [unrolled: 1-line block ×4, first 2 shown]
	s_nop 0
	global_load_dword v164, v[164:165], off
	s_nop 0
	global_load_dword v165, v[166:167], off
	;; [unrolled: 2-line block ×3, first 2 shown]
	global_load_dword v167, v[2:3], off
	v_mad_i64_i32 v[2:3], s[18:19], v78, s5, v[0:1]
	v_mad_u64_u32 v[2:3], s[18:19], v76, s5, v[2:3]
	global_load_ushort v168, v[2:3], off offset:108
	v_mad_u64_u32 v[4:5], s[18:19], v80, s5, v[0:1]
	v_add_co_u32_e32 v4, vcc, v4, v82
	v_addc_co_u32_e32 v5, vcc, 0, v5, vcc
	v_mad_i64_i32 v[6:7], s[18:19], v84, s5, v[4:5]
	v_mad_i64_i32 v[116:117], s[18:19], v86, s5, v[4:5]
	global_load_dword v169, v[6:7], off
	global_load_dword v182, v[116:117], off
	v_mad_i64_i32 v[2:3], s[18:19], v88, s5, v[4:5]
	v_mad_i64_i32 v[118:119], s[18:19], v90, s5, v[4:5]
	global_load_dword v183, v[2:3], off
	global_load_dword v184, v[118:119], off
	;; [unrolled: 4-line block ×3, first 2 shown]
	v_mad_u64_u32 v[0:1], s[18:19], v100, s5, v[0:1]
	v_mad_i64_i32 v[2:3], s[18:19], v96, s5, v[4:5]
	v_add_co_u32_e32 v0, vcc, s8, v0
	global_load_dword v187, v[2:3], off
	v_mad_i64_i32 v[2:3], s[18:19], v98, s5, v[4:5]
	v_addc_co_u32_e32 v1, vcc, 0, v1, vcc
	global_load_dword v188, v[2:3], off
	v_mad_i64_i32 v[2:3], s[18:19], v104, s5, v[0:1]
	v_add_co_u32_e32 v4, vcc, v2, v102
	v_addc_co_u32_e32 v5, vcc, 0, v3, vcc
	global_load_dword v189, v[4:5], off
	v_mad_i64_i32 v[4:5], s[18:19], v106, s5, v[0:1]
	v_add_co_u32_e32 v6, vcc, v4, v102
	v_addc_co_u32_e32 v7, vcc, 0, v5, vcc
	v_mad_i64_i32 v[116:117], s[18:19], v108, s5, v[0:1]
	v_add_co_u32_e32 v118, vcc, v116, v102
	v_mad_i64_i32 v[0:1], s[18:19], v110, s5, v[0:1]
	v_addc_co_u32_e32 v119, vcc, 0, v117, vcc
	global_load_dword v190, v[0:1], off offset:8
	global_load_dword v191, v[118:119], off
	global_load_dword v192, v[116:117], off offset:8
	global_load_dword v193, v[6:7], off
	global_load_dword v194, v[4:5], off offset:8
	global_load_dword v195, v[2:3], off offset:8
	v_add_co_u32_e32 v0, vcc, v0, v102
	s_waitcnt vmcnt(31)
	ds_write_b32 v14, v172
	s_waitcnt vmcnt(30)
	ds_write_b32 v18, v173
	;; [unrolled: 2-line block ×13, first 2 shown]
	v_addc_co_u32_e32 v1, vcc, 0, v1, vcc
	s_lshl_b32 s17, s7, 3
	v_add_u32_e32 v164, s17, v114
	v_mad_u64_u32 v[170:171], s[18:19], v164, 36, s[2:3]
	s_mov_b32 s21, -2
	s_waitcnt vmcnt(15)
	v_cvt_f32_f16_e32 v2, v168
	ds_write_b32 v66, v165
	ds_write_b32 v70, v166
	;; [unrolled: 1-line block ×4, first 2 shown]
	global_load_dword v172, v[0:1], off
	v_add_u32_e32 v168, s17, v73
	v_add_u32_e32 v0, v168, v87
	;; [unrolled: 1-line block ×5, first 2 shown]
	v_mad_i64_i32 v[0:1], s[18:19], v0, 36, v[112:113]
	s_waitcnt vmcnt(15)
	v_not_b32_e32 v2, v169
	ds_write_b32 v151, v2
	s_waitcnt vmcnt(14)
	v_not_b32_e32 v2, v182
	ds_write_b32 v152, v2
	v_mad_i64_i32 v[4:5], s[18:19], v4, 36, v[112:113]
	s_waitcnt vmcnt(13)
	v_not_b32_e32 v2, v183
	ds_write_b32 v153, v2
	s_waitcnt vmcnt(12)
	v_not_b32_e32 v2, v184
	ds_write_b32 v154, v2
	;; [unrolled: 3-line block ×4, first 2 shown]
	v_add_u32_e32 v2, v168, v93
	v_mad_i64_i32 v[2:3], s[18:19], v2, 36, v[112:113]
	v_mad_i64_i32 v[6:7], s[18:19], v6, 36, v[112:113]
	;; [unrolled: 1-line block ×3, first 2 shown]
	v_add_u32_e32 v118, v168, v111
	v_add_u32_e32 v166, v168, v120
	;; [unrolled: 1-line block ×3, first 2 shown]
	v_mad_i64_i32 v[118:119], s[18:19], v118, 36, v[112:113]
	v_mad_i64_i32 v[166:167], s[18:19], v166, 36, v[112:113]
	;; [unrolled: 1-line block ×3, first 2 shown]
	global_load_dword v0, v[0:1], off offset:4
	s_nop 0
	global_load_dword v1, v[2:3], off offset:4
	s_nop 0
	global_load_dword v2, v[4:5], off offset:4
	global_load_dword v3, v[6:7], off offset:4
	s_nop 0
	global_load_dword v4, v[116:117], off offset:4
	global_load_dword v5, v[170:171], off
	global_load_dword v6, v[118:119], off offset:4
	global_load_dword v7, v[166:167], off offset:4
	s_nop 0
	global_load_dword v116, v[168:169], off offset:4
	s_waitcnt vmcnt(18)
	v_not_b32_e32 v165, v187
	s_waitcnt vmcnt(17)
	v_not_b32_e32 v117, v188
	ds_write_b32 v157, v165
	ds_write_b32 v158, v117
	s_waitcnt vmcnt(16)
	v_ashrrev_i32_e32 v117, v75, v189
	v_and_b32_e32 v117, 0xf0f0f0f, v117
	v_mov_b32_e32 v165, v89
	v_mov_b32_e32 v166, v61
	s_mov_b32 s18, 0
	s_mov_b32 s19, 0
	s_waitcnt vmcnt(10)
	v_ashrrev_i32_e32 v118, v77, v195
	v_lshlrev_b32_e32 v118, 4, v118
	v_and_or_b32 v117, v118, s9, v117
	v_lshlrev_b16_e32 v119, 8, v117
	v_and_b32_e32 v118, 0x3f00, v117
	v_add_u16_e32 v119, 0xe000, v119
	v_or_b32_sdwa v118, v118, v119 dst_sel:DWORD dst_unused:UNUSED_PAD src0_sel:DWORD src1_sel:BYTE_1
	v_and_b32_sdwa v119, v117, s11 dst_sel:DWORD dst_unused:UNUSED_PAD src0_sel:WORD_1 src1_sel:DWORD
	v_lshlrev_b16_sdwa v117, v163, v117 dst_sel:DWORD dst_unused:UNUSED_PAD src0_sel:DWORD src1_sel:WORD_1
	v_add_u16_e32 v117, 0xe000, v117
	v_or_b32_sdwa v117, v119, v117 dst_sel:DWORD dst_unused:UNUSED_PAD src0_sel:DWORD src1_sel:BYTE_1
	v_add_u16_e32 v118, 0xe000, v118
	v_add_u16_sdwa v117, v117, s16 dst_sel:WORD_1 dst_unused:UNUSED_PAD src0_sel:DWORD src1_sel:DWORD
	v_or_b32_e32 v117, v118, v117
	ds_write_b32 v159, v117
	v_ashrrev_i32_e32 v117, v75, v193
	v_ashrrev_i32_e32 v118, v77, v194
	v_and_b32_e32 v117, 0xf0f0f0f, v117
	v_lshlrev_b32_e32 v118, 4, v118
	v_and_or_b32 v117, v118, s9, v117
	v_lshlrev_b16_e32 v119, 8, v117
	v_and_b32_e32 v118, 0x3f00, v117
	v_add_u16_e32 v119, 0xe000, v119
	v_or_b32_sdwa v118, v118, v119 dst_sel:DWORD dst_unused:UNUSED_PAD src0_sel:DWORD src1_sel:BYTE_1
	v_and_b32_sdwa v119, v117, s11 dst_sel:DWORD dst_unused:UNUSED_PAD src0_sel:WORD_1 src1_sel:DWORD
	v_lshlrev_b16_sdwa v117, v163, v117 dst_sel:DWORD dst_unused:UNUSED_PAD src0_sel:DWORD src1_sel:WORD_1
	v_add_u16_e32 v117, 0xe000, v117
	v_or_b32_sdwa v117, v119, v117 dst_sel:DWORD dst_unused:UNUSED_PAD src0_sel:DWORD src1_sel:BYTE_1
	v_add_u16_e32 v118, 0xe000, v118
	v_add_u16_sdwa v117, v117, s16 dst_sel:WORD_1 dst_unused:UNUSED_PAD src0_sel:DWORD src1_sel:DWORD
	v_or_b32_e32 v117, v118, v117
	ds_write_b32 v160, v117
	v_ashrrev_i32_e32 v117, v75, v191
	v_ashrrev_i32_e32 v118, v77, v192
	v_and_b32_e32 v117, 0xf0f0f0f, v117
	v_lshlrev_b32_e32 v118, 4, v118
	v_and_or_b32 v117, v118, s9, v117
	v_lshlrev_b16_e32 v119, 8, v117
	v_and_b32_e32 v118, 0x3f00, v117
	v_add_u16_e32 v119, 0xe000, v119
	v_or_b32_sdwa v118, v118, v119 dst_sel:DWORD dst_unused:UNUSED_PAD src0_sel:DWORD src1_sel:BYTE_1
	v_and_b32_sdwa v119, v117, s11 dst_sel:DWORD dst_unused:UNUSED_PAD src0_sel:WORD_1 src1_sel:DWORD
	v_lshlrev_b16_sdwa v117, v163, v117 dst_sel:DWORD dst_unused:UNUSED_PAD src0_sel:DWORD src1_sel:WORD_1
	v_add_u16_e32 v117, 0xe000, v117
	v_or_b32_sdwa v117, v119, v117 dst_sel:DWORD dst_unused:UNUSED_PAD src0_sel:DWORD src1_sel:BYTE_1
	v_add_u16_e32 v118, 0xe000, v118
	v_add_u16_sdwa v117, v117, s16 dst_sel:WORD_1 dst_unused:UNUSED_PAD src0_sel:DWORD src1_sel:DWORD
	v_or_b32_e32 v117, v118, v117
	ds_write_b32 v161, v117
	s_waitcnt vmcnt(9)
	v_ashrrev_i32_e32 v117, v75, v172
	v_ashrrev_i32_e32 v118, v77, v190
	v_and_b32_e32 v117, 0xf0f0f0f, v117
	v_lshlrev_b32_e32 v118, 4, v118
	v_and_or_b32 v117, v118, s9, v117
	v_lshlrev_b16_e32 v119, 8, v117
	v_and_b32_e32 v118, 0x3f00, v117
	v_add_u16_e32 v119, 0xe000, v119
	v_or_b32_sdwa v118, v118, v119 dst_sel:DWORD dst_unused:UNUSED_PAD src0_sel:DWORD src1_sel:BYTE_1
	v_and_b32_sdwa v119, v117, s11 dst_sel:DWORD dst_unused:UNUSED_PAD src0_sel:WORD_1 src1_sel:DWORD
	v_lshlrev_b16_sdwa v117, v163, v117 dst_sel:DWORD dst_unused:UNUSED_PAD src0_sel:DWORD src1_sel:WORD_1
	v_add_u16_e32 v117, 0xe000, v117
	v_or_b32_sdwa v117, v119, v117 dst_sel:DWORD dst_unused:UNUSED_PAD src0_sel:DWORD src1_sel:BYTE_1
	v_add_u16_e32 v118, 0xe000, v118
	v_add_u16_sdwa v117, v117, s16 dst_sel:WORD_1 dst_unused:UNUSED_PAD src0_sel:DWORD src1_sel:DWORD
	v_or_b32_e32 v117, v118, v117
	ds_write_b32 v162, v117
	s_waitcnt vmcnt(8)
	ds_write_b32 v91, v0
	s_waitcnt vmcnt(7)
	;; [unrolled: 2-line block ×6, first 2 shown]
	v_cvt_f32_f16_e32 v0, v5
	s_waitcnt vmcnt(2)
	ds_write_b32 v115, v6
	s_waitcnt vmcnt(1)
	ds_write_b32 v121, v7
	s_waitcnt vmcnt(0)
	ds_write_b32 v123, v116
	ds_write_b32 v85, v0
	s_waitcnt lgkmcnt(0)
	s_barrier
.LBB150_7:                              ;   Parent Loop BB150_6 Depth=1
                                        ; =>  This Inner Loop Header: Depth=2
	s_add_i32 s20, s21, 2
	s_and_b32 s22, s19, -16
	s_lshr_b32 s24, s20, 4
	v_add_u32_e32 v118, s22, v124
	s_and_b32 s23, s20, 0x3ffffff8
	s_lshl_b32 s22, s24, 3
	s_lshl_b32 s23, s23, 2
	v_add_lshl_u32 v176, v125, s22, 2
	v_add_u32_e32 v0, 0x9600, v166
	v_add_u32_e32 v119, s23, v126
	;; [unrolled: 1-line block ×3, first 2 shown]
	ds_read2_b32 v[116:117], v0 offset0:104 offset1:136
	ds_read_b128 v[4:7], v165 offset:25344
	ds_read_b128 v[0:3], v165 offset:25360
	ds_read2_b32 v[168:169], v119 offset1:1
	ds_read2_b32 v[170:171], v170 offset1:1
	s_lshl_b32 s24, s24, 2
	v_add_lshl_u32 v198, v131, s22, 2
	v_add_lshl_u32 v188, v128, s22, 2
	s_waitcnt lgkmcnt(1)
	v_ashrrev_i32_e32 v167, s20, v168
	s_waitcnt lgkmcnt(0)
	v_ashrrev_i32_e32 v170, s18, v170
	v_lshlrev_b32_e32 v170, 2, v170
	v_and_b32_e32 v168, 0x3030303, v167
	v_bfe_u32 v167, v167, 24, 2
	v_and_b32_e32 v170, 0x4040404, v170
	v_sub_u16_e32 v172, v168, v170
	v_sub_u16_sdwa v173, v168, v170 dst_sel:BYTE_1 dst_unused:UNUSED_PAD src0_sel:BYTE_1 src1_sel:BYTE_1
	v_sub_u16_sdwa v167, v167, v170 dst_sel:BYTE_1 dst_unused:UNUSED_PAD src0_sel:DWORD src1_sel:BYTE_3
	v_sub_u16_sdwa v168, v168, v170 dst_sel:DWORD dst_unused:UNUSED_PAD src0_sel:WORD_1 src1_sel:WORD_1
	v_ashrrev_i32_e32 v170, s18, v171
	v_or_b32_sdwa v167, v168, v167 dst_sel:WORD_1 dst_unused:UNUSED_PAD src0_sel:BYTE_0 src1_sel:DWORD
	v_ashrrev_i32_e32 v168, s20, v169
	v_lshlrev_b32_e32 v170, 2, v170
	v_or_b32_sdwa v172, v172, v173 dst_sel:DWORD dst_unused:UNUSED_PAD src0_sel:BYTE_0 src1_sel:DWORD
	v_and_b32_e32 v169, 0x3030303, v168
	v_bfe_u32 v168, v168, 24, 2
	v_and_b32_e32 v170, 0x4040404, v170
	v_or_b32_sdwa v167, v172, v167 dst_sel:DWORD dst_unused:UNUSED_PAD src0_sel:WORD_0 src1_sel:DWORD
	v_sub_u16_e32 v171, v169, v170
	v_sub_u16_sdwa v172, v169, v170 dst_sel:BYTE_1 dst_unused:UNUSED_PAD src0_sel:BYTE_1 src1_sel:BYTE_1
	v_sub_u16_sdwa v168, v168, v170 dst_sel:BYTE_1 dst_unused:UNUSED_PAD src0_sel:DWORD src1_sel:BYTE_3
	v_sub_u16_sdwa v169, v169, v170 dst_sel:DWORD dst_unused:UNUSED_PAD src0_sel:WORD_1 src1_sel:WORD_1
	v_or_b32_sdwa v171, v171, v172 dst_sel:DWORD dst_unused:UNUSED_PAD src0_sel:BYTE_0 src1_sel:DWORD
	v_or_b32_sdwa v168, v169, v168 dst_sel:WORD_1 dst_unused:UNUSED_PAD src0_sel:BYTE_0 src1_sel:DWORD
	v_add_u32_e32 v172, 0x4208, v176
	v_or_b32_sdwa v168, v171, v168 dst_sel:DWORD dst_unused:UNUSED_PAD src0_sel:WORD_0 src1_sel:DWORD
	ds_read2_b32 v[170:171], v119 offset0:2 offset1:3
	ds_read2_b32 v[172:173], v172 offset1:1
	v_add_u32_e32 v192, 0x4200, v198
	v_add_lshl_u32 v210, v134, s22, 2
	s_add_i32 s19, s19, 2
	s_waitcnt lgkmcnt(1)
	v_ashrrev_i32_e32 v169, s20, v170
	s_waitcnt lgkmcnt(0)
	v_ashrrev_i32_e32 v172, s18, v172
	v_lshlrev_b32_e32 v172, 2, v172
	v_and_b32_e32 v170, 0x3030303, v169
	v_bfe_u32 v169, v169, 24, 2
	v_and_b32_e32 v172, 0x4040404, v172
	v_sub_u16_e32 v174, v170, v172
	v_sub_u16_sdwa v175, v170, v172 dst_sel:BYTE_1 dst_unused:UNUSED_PAD src0_sel:BYTE_1 src1_sel:BYTE_1
	v_sub_u16_sdwa v169, v169, v172 dst_sel:BYTE_1 dst_unused:UNUSED_PAD src0_sel:DWORD src1_sel:BYTE_3
	v_sub_u16_sdwa v170, v170, v172 dst_sel:DWORD dst_unused:UNUSED_PAD src0_sel:WORD_1 src1_sel:WORD_1
	v_ashrrev_i32_e32 v172, s18, v173
	v_or_b32_sdwa v169, v170, v169 dst_sel:WORD_1 dst_unused:UNUSED_PAD src0_sel:BYTE_0 src1_sel:DWORD
	v_ashrrev_i32_e32 v170, s20, v171
	v_lshlrev_b32_e32 v172, 2, v172
	v_or_b32_sdwa v174, v174, v175 dst_sel:DWORD dst_unused:UNUSED_PAD src0_sel:BYTE_0 src1_sel:DWORD
	v_and_b32_e32 v171, 0x3030303, v170
	v_bfe_u32 v170, v170, 24, 2
	v_and_b32_e32 v172, 0x4040404, v172
	v_or_b32_sdwa v169, v174, v169 dst_sel:DWORD dst_unused:UNUSED_PAD src0_sel:WORD_0 src1_sel:DWORD
	v_sub_u16_e32 v173, v171, v172
	v_sub_u16_sdwa v174, v171, v172 dst_sel:BYTE_1 dst_unused:UNUSED_PAD src0_sel:BYTE_1 src1_sel:BYTE_1
	v_sub_u16_sdwa v170, v170, v172 dst_sel:BYTE_1 dst_unused:UNUSED_PAD src0_sel:DWORD src1_sel:BYTE_3
	v_sub_u16_sdwa v171, v171, v172 dst_sel:DWORD dst_unused:UNUSED_PAD src0_sel:WORD_1 src1_sel:WORD_1
	v_or_b32_sdwa v173, v173, v174 dst_sel:DWORD dst_unused:UNUSED_PAD src0_sel:BYTE_0 src1_sel:DWORD
	v_or_b32_sdwa v170, v171, v170 dst_sel:WORD_1 dst_unused:UNUSED_PAD src0_sel:BYTE_0 src1_sel:DWORD
	v_add_u32_e32 v174, 0x4210, v176
	v_or_b32_sdwa v170, v173, v170 dst_sel:DWORD dst_unused:UNUSED_PAD src0_sel:WORD_0 src1_sel:DWORD
	ds_read2_b32 v[172:173], v119 offset0:4 offset1:5
	ds_read2_b32 v[174:175], v174 offset1:1
	ds_read2_b32 v[192:193], v192 offset1:1
	s_waitcnt lgkmcnt(2)
	v_ashrrev_i32_e32 v171, s20, v172
	s_waitcnt lgkmcnt(1)
	v_ashrrev_i32_e32 v174, s18, v174
	v_lshlrev_b32_e32 v174, 2, v174
	v_and_b32_e32 v172, 0x3030303, v171
	v_bfe_u32 v171, v171, 24, 2
	v_and_b32_e32 v174, 0x4040404, v174
	v_sub_u16_e32 v177, v172, v174
	v_sub_u16_sdwa v178, v172, v174 dst_sel:BYTE_1 dst_unused:UNUSED_PAD src0_sel:BYTE_1 src1_sel:BYTE_1
	v_sub_u16_sdwa v171, v171, v174 dst_sel:BYTE_1 dst_unused:UNUSED_PAD src0_sel:DWORD src1_sel:BYTE_3
	v_sub_u16_sdwa v172, v172, v174 dst_sel:DWORD dst_unused:UNUSED_PAD src0_sel:WORD_1 src1_sel:WORD_1
	v_or_b32_sdwa v177, v177, v178 dst_sel:DWORD dst_unused:UNUSED_PAD src0_sel:BYTE_0 src1_sel:DWORD
	v_or_b32_sdwa v171, v172, v171 dst_sel:WORD_1 dst_unused:UNUSED_PAD src0_sel:BYTE_0 src1_sel:DWORD
	v_ashrrev_i32_e32 v174, s18, v175
	v_or_b32_sdwa v172, v177, v171 dst_sel:DWORD dst_unused:UNUSED_PAD src0_sel:WORD_0 src1_sel:DWORD
	v_ashrrev_i32_e32 v171, s20, v173
	v_lshlrev_b32_e32 v174, 2, v174
	v_and_b32_e32 v173, 0x3030303, v171
	v_bfe_u32 v171, v171, 24, 2
	v_and_b32_e32 v174, 0x4040404, v174
	v_sub_u16_e32 v175, v173, v174
	v_sub_u16_sdwa v177, v173, v174 dst_sel:BYTE_1 dst_unused:UNUSED_PAD src0_sel:BYTE_1 src1_sel:BYTE_1
	v_sub_u16_sdwa v171, v171, v174 dst_sel:BYTE_1 dst_unused:UNUSED_PAD src0_sel:DWORD src1_sel:BYTE_3
	v_sub_u16_sdwa v173, v173, v174 dst_sel:DWORD dst_unused:UNUSED_PAD src0_sel:WORD_1 src1_sel:WORD_1
	v_or_b32_sdwa v175, v175, v177 dst_sel:DWORD dst_unused:UNUSED_PAD src0_sel:BYTE_0 src1_sel:DWORD
	v_or_b32_sdwa v171, v173, v171 dst_sel:WORD_1 dst_unused:UNUSED_PAD src0_sel:BYTE_0 src1_sel:DWORD
	v_or_b32_sdwa v173, v175, v171 dst_sel:DWORD dst_unused:UNUSED_PAD src0_sel:WORD_0 src1_sel:DWORD
	ds_read2_b32 v[174:175], v119 offset0:6 offset1:7
	s_waitcnt lgkmcnt(1)
	v_ashrrev_i32_e32 v192, s18, v192
	v_lshlrev_b32_e32 v192, 2, v192
	v_and_b32_e32 v192, 0x4040404, v192
	s_waitcnt lgkmcnt(0)
	v_ashrrev_i32_e32 v119, s20, v174
	v_add_u32_e32 v174, 0x4218, v176
	ds_read2_b32 v[176:177], v174 offset1:1
	v_and_b32_e32 v171, 0x3030303, v119
	v_bfe_u32 v119, v119, 24, 2
	s_waitcnt lgkmcnt(0)
	v_ashrrev_i32_e32 v174, s18, v176
	v_lshlrev_b32_e32 v174, 2, v174
	v_and_b32_e32 v174, 0x4040404, v174
	v_sub_u16_e32 v176, v171, v174
	v_sub_u16_sdwa v178, v171, v174 dst_sel:BYTE_1 dst_unused:UNUSED_PAD src0_sel:BYTE_1 src1_sel:BYTE_1
	v_sub_u16_sdwa v119, v119, v174 dst_sel:BYTE_1 dst_unused:UNUSED_PAD src0_sel:DWORD src1_sel:BYTE_3
	v_sub_u16_sdwa v171, v171, v174 dst_sel:DWORD dst_unused:UNUSED_PAD src0_sel:WORD_1 src1_sel:WORD_1
	v_or_b32_sdwa v176, v176, v178 dst_sel:DWORD dst_unused:UNUSED_PAD src0_sel:BYTE_0 src1_sel:DWORD
	v_or_b32_sdwa v119, v171, v119 dst_sel:WORD_1 dst_unused:UNUSED_PAD src0_sel:BYTE_0 src1_sel:DWORD
	v_or_b32_sdwa v174, v176, v119 dst_sel:DWORD dst_unused:UNUSED_PAD src0_sel:WORD_0 src1_sel:DWORD
	v_ashrrev_i32_e32 v119, s20, v175
	v_ashrrev_i32_e32 v175, s18, v177
	v_lshlrev_b32_e32 v175, 2, v175
	v_and_b32_e32 v171, 0x3030303, v119
	v_bfe_u32 v119, v119, 24, 2
	v_and_b32_e32 v175, 0x4040404, v175
	v_sub_u16_e32 v176, v171, v175
	v_sub_u16_sdwa v177, v171, v175 dst_sel:BYTE_1 dst_unused:UNUSED_PAD src0_sel:BYTE_1 src1_sel:BYTE_1
	v_sub_u16_sdwa v119, v119, v175 dst_sel:BYTE_1 dst_unused:UNUSED_PAD src0_sel:DWORD src1_sel:BYTE_3
	v_sub_u16_sdwa v171, v171, v175 dst_sel:DWORD dst_unused:UNUSED_PAD src0_sel:WORD_1 src1_sel:WORD_1
	v_or_b32_sdwa v176, v176, v177 dst_sel:DWORD dst_unused:UNUSED_PAD src0_sel:BYTE_0 src1_sel:DWORD
	v_or_b32_sdwa v119, v171, v119 dst_sel:WORD_1 dst_unused:UNUSED_PAD src0_sel:BYTE_0 src1_sel:DWORD
	v_or_b32_sdwa v175, v176, v119 dst_sel:DWORD dst_unused:UNUSED_PAD src0_sel:WORD_0 src1_sel:DWORD
	v_add3_u32 v119, v141, s21, v118
	v_add_u32_e32 v171, s24, v127
	ds_read_b32 v171, v171
	ds_read_u16 v119, v119 offset:8194
	v_mov_b32_e32 v177, 0
	v_dot4c_i32_i8_e32 v177, v167, v4
	v_dot4c_i32_i8_e32 v177, v168, v5
	;; [unrolled: 1-line block ×3, first 2 shown]
	s_waitcnt lgkmcnt(0)
	v_lshrrev_b16_e32 v178, 8, v119
	v_bfe_i32 v176, v119, 0, 8
	v_mov_b32_e32 v119, 0
	v_dot4c_i32_i8_e32 v119, v172, v0
	v_dot4c_i32_i8_e32 v119, v173, v1
	v_dot4c_i32_i8_e32 v177, v170, v7
	v_dot4c_i32_i8_e32 v119, v174, v2
	v_dot4c_i32_i8_e32 v119, v175, v3
	v_bfe_i32 v178, v178, 0, 8
	v_mul_lo_u32 v180, v177, v176
	s_nop 0
	v_mad_u64_u32 v[180:181], s[26:27], v119, v178, v[180:181]
	v_cvt_f32_i32_e32 v177, v180
	v_mul_f32_e32 v119, v116, v171
	v_fmac_f32_e32 v95, v119, v177
	v_add_u32_e32 v119, s23, v129
	ds_read2_b32 v[180:181], v119 offset1:1
	s_waitcnt lgkmcnt(0)
	v_ashrrev_i32_e32 v177, s20, v180
	v_add_u32_e32 v180, 0x4200, v188
	ds_read2_b32 v[182:183], v180 offset1:1
	v_and_b32_e32 v179, 0x3030303, v177
	v_bfe_u32 v177, v177, 24, 2
	s_waitcnt lgkmcnt(0)
	v_ashrrev_i32_e32 v180, s18, v182
	v_lshlrev_b32_e32 v180, 2, v180
	v_and_b32_e32 v180, 0x4040404, v180
	v_sub_u16_e32 v182, v179, v180
	v_sub_u16_sdwa v184, v179, v180 dst_sel:BYTE_1 dst_unused:UNUSED_PAD src0_sel:BYTE_1 src1_sel:BYTE_1
	v_sub_u16_sdwa v177, v177, v180 dst_sel:BYTE_1 dst_unused:UNUSED_PAD src0_sel:DWORD src1_sel:BYTE_3
	v_sub_u16_sdwa v179, v179, v180 dst_sel:DWORD dst_unused:UNUSED_PAD src0_sel:WORD_1 src1_sel:WORD_1
	v_or_b32_sdwa v177, v179, v177 dst_sel:WORD_1 dst_unused:UNUSED_PAD src0_sel:BYTE_0 src1_sel:DWORD
	v_ashrrev_i32_e32 v179, s20, v181
	v_ashrrev_i32_e32 v181, s18, v183
	v_lshlrev_b32_e32 v181, 2, v181
	v_or_b32_sdwa v182, v182, v184 dst_sel:DWORD dst_unused:UNUSED_PAD src0_sel:BYTE_0 src1_sel:DWORD
	v_and_b32_e32 v180, 0x3030303, v179
	v_bfe_u32 v179, v179, 24, 2
	v_and_b32_e32 v181, 0x4040404, v181
	v_or_b32_sdwa v177, v182, v177 dst_sel:DWORD dst_unused:UNUSED_PAD src0_sel:WORD_0 src1_sel:DWORD
	v_sub_u16_e32 v182, v180, v181
	v_sub_u16_sdwa v183, v180, v181 dst_sel:BYTE_1 dst_unused:UNUSED_PAD src0_sel:BYTE_1 src1_sel:BYTE_1
	v_sub_u16_sdwa v179, v179, v181 dst_sel:BYTE_1 dst_unused:UNUSED_PAD src0_sel:DWORD src1_sel:BYTE_3
	v_sub_u16_sdwa v180, v180, v181 dst_sel:DWORD dst_unused:UNUSED_PAD src0_sel:WORD_1 src1_sel:WORD_1
	v_or_b32_sdwa v182, v182, v183 dst_sel:DWORD dst_unused:UNUSED_PAD src0_sel:BYTE_0 src1_sel:DWORD
	v_or_b32_sdwa v179, v180, v179 dst_sel:WORD_1 dst_unused:UNUSED_PAD src0_sel:BYTE_0 src1_sel:DWORD
	v_or_b32_sdwa v179, v182, v179 dst_sel:DWORD dst_unused:UNUSED_PAD src0_sel:WORD_0 src1_sel:DWORD
	v_add_u32_e32 v182, 0x4208, v188
	ds_read2_b32 v[180:181], v119 offset0:2 offset1:3
	ds_read2_b32 v[182:183], v182 offset1:1
	s_waitcnt lgkmcnt(1)
	v_ashrrev_i32_e32 v180, s20, v180
	s_waitcnt lgkmcnt(0)
	v_ashrrev_i32_e32 v182, s18, v182
	v_lshlrev_b32_e32 v182, 2, v182
	v_and_b32_e32 v184, 0x3030303, v180
	v_bfe_u32 v180, v180, 24, 2
	v_and_b32_e32 v182, 0x4040404, v182
	v_ashrrev_i32_e32 v183, s18, v183
	v_sub_u16_e32 v185, v184, v182
	v_sub_u16_sdwa v186, v184, v182 dst_sel:BYTE_1 dst_unused:UNUSED_PAD src0_sel:BYTE_1 src1_sel:BYTE_1
	v_sub_u16_sdwa v180, v180, v182 dst_sel:BYTE_1 dst_unused:UNUSED_PAD src0_sel:DWORD src1_sel:BYTE_3
	v_sub_u16_sdwa v182, v184, v182 dst_sel:DWORD dst_unused:UNUSED_PAD src0_sel:WORD_1 src1_sel:WORD_1
	v_ashrrev_i32_e32 v181, s20, v181
	v_lshlrev_b32_e32 v183, 2, v183
	v_or_b32_sdwa v185, v185, v186 dst_sel:DWORD dst_unused:UNUSED_PAD src0_sel:BYTE_0 src1_sel:DWORD
	v_or_b32_sdwa v180, v182, v180 dst_sel:WORD_1 dst_unused:UNUSED_PAD src0_sel:BYTE_0 src1_sel:DWORD
	v_and_b32_e32 v182, 0x3030303, v181
	v_bfe_u32 v181, v181, 24, 2
	v_and_b32_e32 v183, 0x4040404, v183
	v_or_b32_sdwa v180, v185, v180 dst_sel:DWORD dst_unused:UNUSED_PAD src0_sel:WORD_0 src1_sel:DWORD
	v_sub_u16_e32 v184, v182, v183
	v_sub_u16_sdwa v185, v182, v183 dst_sel:BYTE_1 dst_unused:UNUSED_PAD src0_sel:BYTE_1 src1_sel:BYTE_1
	v_sub_u16_sdwa v181, v181, v183 dst_sel:BYTE_1 dst_unused:UNUSED_PAD src0_sel:DWORD src1_sel:BYTE_3
	v_sub_u16_sdwa v182, v182, v183 dst_sel:DWORD dst_unused:UNUSED_PAD src0_sel:WORD_1 src1_sel:WORD_1
	v_or_b32_sdwa v184, v184, v185 dst_sel:DWORD dst_unused:UNUSED_PAD src0_sel:BYTE_0 src1_sel:DWORD
	v_or_b32_sdwa v181, v182, v181 dst_sel:WORD_1 dst_unused:UNUSED_PAD src0_sel:BYTE_0 src1_sel:DWORD
	v_or_b32_sdwa v181, v184, v181 dst_sel:DWORD dst_unused:UNUSED_PAD src0_sel:WORD_0 src1_sel:DWORD
	v_add_u32_e32 v184, 0x4210, v188
	ds_read2_b32 v[182:183], v119 offset0:4 offset1:5
	ds_read2_b32 v[184:185], v184 offset1:1
	s_waitcnt lgkmcnt(1)
	v_ashrrev_i32_e32 v182, s20, v182
	s_waitcnt lgkmcnt(0)
	v_ashrrev_i32_e32 v184, s18, v184
	v_lshlrev_b32_e32 v184, 2, v184
	v_and_b32_e32 v186, 0x3030303, v182
	v_bfe_u32 v182, v182, 24, 2
	v_and_b32_e32 v184, 0x4040404, v184
	v_ashrrev_i32_e32 v185, s18, v185
	v_sub_u16_e32 v187, v186, v184
	v_sub_u16_sdwa v189, v186, v184 dst_sel:BYTE_1 dst_unused:UNUSED_PAD src0_sel:BYTE_1 src1_sel:BYTE_1
	v_sub_u16_sdwa v182, v182, v184 dst_sel:BYTE_1 dst_unused:UNUSED_PAD src0_sel:DWORD src1_sel:BYTE_3
	v_sub_u16_sdwa v184, v186, v184 dst_sel:DWORD dst_unused:UNUSED_PAD src0_sel:WORD_1 src1_sel:WORD_1
	v_ashrrev_i32_e32 v183, s20, v183
	v_lshlrev_b32_e32 v185, 2, v185
	v_or_b32_sdwa v187, v187, v189 dst_sel:DWORD dst_unused:UNUSED_PAD src0_sel:BYTE_0 src1_sel:DWORD
	v_or_b32_sdwa v182, v184, v182 dst_sel:WORD_1 dst_unused:UNUSED_PAD src0_sel:BYTE_0 src1_sel:DWORD
	v_and_b32_e32 v184, 0x3030303, v183
	v_bfe_u32 v183, v183, 24, 2
	v_and_b32_e32 v185, 0x4040404, v185
	v_or_b32_sdwa v182, v187, v182 dst_sel:DWORD dst_unused:UNUSED_PAD src0_sel:WORD_0 src1_sel:DWORD
	v_sub_u16_e32 v186, v184, v185
	v_sub_u16_sdwa v187, v184, v185 dst_sel:BYTE_1 dst_unused:UNUSED_PAD src0_sel:BYTE_1 src1_sel:BYTE_1
	v_sub_u16_sdwa v183, v183, v185 dst_sel:BYTE_1 dst_unused:UNUSED_PAD src0_sel:DWORD src1_sel:BYTE_3
	v_sub_u16_sdwa v184, v184, v185 dst_sel:DWORD dst_unused:UNUSED_PAD src0_sel:WORD_1 src1_sel:WORD_1
	v_or_b32_sdwa v186, v186, v187 dst_sel:DWORD dst_unused:UNUSED_PAD src0_sel:BYTE_0 src1_sel:DWORD
	v_or_b32_sdwa v183, v184, v183 dst_sel:WORD_1 dst_unused:UNUSED_PAD src0_sel:BYTE_0 src1_sel:DWORD
	v_add_u32_e32 v185, 0x4218, v188
	v_or_b32_sdwa v184, v186, v183 dst_sel:DWORD dst_unused:UNUSED_PAD src0_sel:WORD_0 src1_sel:DWORD
	ds_read2_b32 v[186:187], v119 offset0:6 offset1:7
	ds_read2_b32 v[188:189], v185 offset1:1
	s_waitcnt lgkmcnt(1)
	v_ashrrev_i32_e32 v119, s20, v186
	s_waitcnt lgkmcnt(0)
	v_ashrrev_i32_e32 v185, s18, v188
	v_lshlrev_b32_e32 v185, 2, v185
	v_and_b32_e32 v183, 0x3030303, v119
	v_bfe_u32 v119, v119, 24, 2
	v_and_b32_e32 v185, 0x4040404, v185
	v_sub_u16_e32 v186, v183, v185
	v_sub_u16_sdwa v188, v183, v185 dst_sel:BYTE_1 dst_unused:UNUSED_PAD src0_sel:BYTE_1 src1_sel:BYTE_1
	v_sub_u16_sdwa v119, v119, v185 dst_sel:BYTE_1 dst_unused:UNUSED_PAD src0_sel:DWORD src1_sel:BYTE_3
	v_sub_u16_sdwa v183, v183, v185 dst_sel:DWORD dst_unused:UNUSED_PAD src0_sel:WORD_1 src1_sel:WORD_1
	v_or_b32_sdwa v186, v186, v188 dst_sel:DWORD dst_unused:UNUSED_PAD src0_sel:BYTE_0 src1_sel:DWORD
	v_or_b32_sdwa v119, v183, v119 dst_sel:WORD_1 dst_unused:UNUSED_PAD src0_sel:BYTE_0 src1_sel:DWORD
	v_or_b32_sdwa v185, v186, v119 dst_sel:DWORD dst_unused:UNUSED_PAD src0_sel:WORD_0 src1_sel:DWORD
	v_ashrrev_i32_e32 v186, s18, v189
	v_ashrrev_i32_e32 v119, s20, v187
	v_lshlrev_b32_e32 v186, 2, v186
	v_and_b32_e32 v183, 0x3030303, v119
	v_bfe_u32 v119, v119, 24, 2
	v_and_b32_e32 v186, 0x4040404, v186
	v_sub_u16_e32 v187, v183, v186
	v_sub_u16_sdwa v188, v183, v186 dst_sel:BYTE_1 dst_unused:UNUSED_PAD src0_sel:BYTE_1 src1_sel:BYTE_1
	v_sub_u16_sdwa v119, v119, v186 dst_sel:BYTE_1 dst_unused:UNUSED_PAD src0_sel:DWORD src1_sel:BYTE_3
	v_sub_u16_sdwa v183, v183, v186 dst_sel:DWORD dst_unused:UNUSED_PAD src0_sel:WORD_1 src1_sel:WORD_1
	v_or_b32_sdwa v187, v187, v188 dst_sel:DWORD dst_unused:UNUSED_PAD src0_sel:BYTE_0 src1_sel:DWORD
	v_or_b32_sdwa v119, v183, v119 dst_sel:WORD_1 dst_unused:UNUSED_PAD src0_sel:BYTE_0 src1_sel:DWORD
	v_or_b32_sdwa v186, v187, v119 dst_sel:DWORD dst_unused:UNUSED_PAD src0_sel:WORD_0 src1_sel:DWORD
	v_add3_u32 v119, v143, s21, v118
	v_add_u32_e32 v183, s24, v130
	ds_read_b32 v183, v183
	ds_read_u16 v119, v119 offset:9218
	v_mov_b32_e32 v188, 0
	v_dot4c_i32_i8_e32 v188, v177, v4
	v_dot4c_i32_i8_e32 v188, v179, v5
	;; [unrolled: 1-line block ×3, first 2 shown]
	s_waitcnt lgkmcnt(0)
	v_lshrrev_b16_e32 v189, 8, v119
	v_bfe_i32 v187, v119, 0, 8
	v_mov_b32_e32 v119, 0
	v_dot4c_i32_i8_e32 v119, v182, v0
	v_dot4c_i32_i8_e32 v119, v184, v1
	;; [unrolled: 1-line block ×5, first 2 shown]
	v_bfe_i32 v189, v189, 0, 8
	v_mul_lo_u32 v188, v188, v187
	s_nop 0
	v_mad_u64_u32 v[190:191], s[26:27], v119, v189, v[188:189]
	v_cvt_f32_i32_e32 v188, v190
	v_mul_f32_e32 v119, v116, v183
	v_fmac_f32_e32 v83, v119, v188
	v_add_u32_e32 v119, s23, v132
	ds_read2_b32 v[190:191], v119 offset1:1
	s_waitcnt lgkmcnt(0)
	v_ashrrev_i32_e32 v188, s20, v190
	v_and_b32_e32 v190, 0x3030303, v188
	v_bfe_u32 v188, v188, 24, 2
	v_sub_u16_e32 v194, v190, v192
	v_sub_u16_sdwa v195, v190, v192 dst_sel:BYTE_1 dst_unused:UNUSED_PAD src0_sel:BYTE_1 src1_sel:BYTE_1
	v_sub_u16_sdwa v188, v188, v192 dst_sel:BYTE_1 dst_unused:UNUSED_PAD src0_sel:DWORD src1_sel:BYTE_3
	v_sub_u16_sdwa v190, v190, v192 dst_sel:DWORD dst_unused:UNUSED_PAD src0_sel:WORD_1 src1_sel:WORD_1
	v_ashrrev_i32_e32 v192, s18, v193
	v_or_b32_sdwa v188, v190, v188 dst_sel:WORD_1 dst_unused:UNUSED_PAD src0_sel:BYTE_0 src1_sel:DWORD
	v_ashrrev_i32_e32 v190, s20, v191
	v_lshlrev_b32_e32 v192, 2, v192
	v_or_b32_sdwa v194, v194, v195 dst_sel:DWORD dst_unused:UNUSED_PAD src0_sel:BYTE_0 src1_sel:DWORD
	v_and_b32_e32 v191, 0x3030303, v190
	v_bfe_u32 v190, v190, 24, 2
	v_and_b32_e32 v192, 0x4040404, v192
	v_or_b32_sdwa v188, v194, v188 dst_sel:DWORD dst_unused:UNUSED_PAD src0_sel:WORD_0 src1_sel:DWORD
	v_sub_u16_e32 v193, v191, v192
	v_sub_u16_sdwa v194, v191, v192 dst_sel:BYTE_1 dst_unused:UNUSED_PAD src0_sel:BYTE_1 src1_sel:BYTE_1
	v_sub_u16_sdwa v190, v190, v192 dst_sel:BYTE_1 dst_unused:UNUSED_PAD src0_sel:DWORD src1_sel:BYTE_3
	v_sub_u16_sdwa v191, v191, v192 dst_sel:DWORD dst_unused:UNUSED_PAD src0_sel:WORD_1 src1_sel:WORD_1
	v_or_b32_sdwa v193, v193, v194 dst_sel:DWORD dst_unused:UNUSED_PAD src0_sel:BYTE_0 src1_sel:DWORD
	v_or_b32_sdwa v190, v191, v190 dst_sel:WORD_1 dst_unused:UNUSED_PAD src0_sel:BYTE_0 src1_sel:DWORD
	v_add_u32_e32 v194, 0x4208, v198
	v_or_b32_sdwa v190, v193, v190 dst_sel:DWORD dst_unused:UNUSED_PAD src0_sel:WORD_0 src1_sel:DWORD
	ds_read2_b32 v[192:193], v119 offset0:2 offset1:3
	ds_read2_b32 v[194:195], v194 offset1:1
	s_waitcnt lgkmcnt(1)
	v_ashrrev_i32_e32 v191, s20, v192
	s_waitcnt lgkmcnt(0)
	v_ashrrev_i32_e32 v194, s18, v194
	v_lshlrev_b32_e32 v194, 2, v194
	v_and_b32_e32 v192, 0x3030303, v191
	v_bfe_u32 v191, v191, 24, 2
	v_and_b32_e32 v194, 0x4040404, v194
	v_sub_u16_e32 v196, v192, v194
	v_sub_u16_sdwa v197, v192, v194 dst_sel:BYTE_1 dst_unused:UNUSED_PAD src0_sel:BYTE_1 src1_sel:BYTE_1
	v_sub_u16_sdwa v191, v191, v194 dst_sel:BYTE_1 dst_unused:UNUSED_PAD src0_sel:DWORD src1_sel:BYTE_3
	v_sub_u16_sdwa v192, v192, v194 dst_sel:DWORD dst_unused:UNUSED_PAD src0_sel:WORD_1 src1_sel:WORD_1
	v_ashrrev_i32_e32 v194, s18, v195
	v_or_b32_sdwa v191, v192, v191 dst_sel:WORD_1 dst_unused:UNUSED_PAD src0_sel:BYTE_0 src1_sel:DWORD
	v_ashrrev_i32_e32 v192, s20, v193
	v_lshlrev_b32_e32 v194, 2, v194
	v_or_b32_sdwa v196, v196, v197 dst_sel:DWORD dst_unused:UNUSED_PAD src0_sel:BYTE_0 src1_sel:DWORD
	v_and_b32_e32 v193, 0x3030303, v192
	v_bfe_u32 v192, v192, 24, 2
	v_and_b32_e32 v194, 0x4040404, v194
	v_or_b32_sdwa v191, v196, v191 dst_sel:DWORD dst_unused:UNUSED_PAD src0_sel:WORD_0 src1_sel:DWORD
	v_sub_u16_e32 v195, v193, v194
	v_sub_u16_sdwa v196, v193, v194 dst_sel:BYTE_1 dst_unused:UNUSED_PAD src0_sel:BYTE_1 src1_sel:BYTE_1
	v_sub_u16_sdwa v192, v192, v194 dst_sel:BYTE_1 dst_unused:UNUSED_PAD src0_sel:DWORD src1_sel:BYTE_3
	v_sub_u16_sdwa v193, v193, v194 dst_sel:DWORD dst_unused:UNUSED_PAD src0_sel:WORD_1 src1_sel:WORD_1
	v_or_b32_sdwa v195, v195, v196 dst_sel:DWORD dst_unused:UNUSED_PAD src0_sel:BYTE_0 src1_sel:DWORD
	v_or_b32_sdwa v192, v193, v192 dst_sel:WORD_1 dst_unused:UNUSED_PAD src0_sel:BYTE_0 src1_sel:DWORD
	v_add_u32_e32 v196, 0x4210, v198
	v_or_b32_sdwa v192, v195, v192 dst_sel:DWORD dst_unused:UNUSED_PAD src0_sel:WORD_0 src1_sel:DWORD
	ds_read2_b32 v[194:195], v119 offset0:4 offset1:5
	ds_read2_b32 v[196:197], v196 offset1:1
	s_waitcnt lgkmcnt(1)
	v_ashrrev_i32_e32 v193, s20, v194
	s_waitcnt lgkmcnt(0)
	v_ashrrev_i32_e32 v196, s18, v196
	v_lshlrev_b32_e32 v196, 2, v196
	v_and_b32_e32 v194, 0x3030303, v193
	v_bfe_u32 v193, v193, 24, 2
	v_and_b32_e32 v196, 0x4040404, v196
	v_sub_u16_e32 v199, v194, v196
	v_sub_u16_sdwa v200, v194, v196 dst_sel:BYTE_1 dst_unused:UNUSED_PAD src0_sel:BYTE_1 src1_sel:BYTE_1
	v_sub_u16_sdwa v193, v193, v196 dst_sel:BYTE_1 dst_unused:UNUSED_PAD src0_sel:DWORD src1_sel:BYTE_3
	v_sub_u16_sdwa v194, v194, v196 dst_sel:DWORD dst_unused:UNUSED_PAD src0_sel:WORD_1 src1_sel:WORD_1
	v_ashrrev_i32_e32 v196, s18, v197
	v_or_b32_sdwa v193, v194, v193 dst_sel:WORD_1 dst_unused:UNUSED_PAD src0_sel:BYTE_0 src1_sel:DWORD
	v_ashrrev_i32_e32 v194, s20, v195
	v_lshlrev_b32_e32 v196, 2, v196
	v_or_b32_sdwa v199, v199, v200 dst_sel:DWORD dst_unused:UNUSED_PAD src0_sel:BYTE_0 src1_sel:DWORD
	v_and_b32_e32 v195, 0x3030303, v194
	v_bfe_u32 v194, v194, 24, 2
	v_and_b32_e32 v196, 0x4040404, v196
	v_or_b32_sdwa v193, v199, v193 dst_sel:DWORD dst_unused:UNUSED_PAD src0_sel:WORD_0 src1_sel:DWORD
	v_sub_u16_e32 v197, v195, v196
	v_sub_u16_sdwa v199, v195, v196 dst_sel:BYTE_1 dst_unused:UNUSED_PAD src0_sel:BYTE_1 src1_sel:BYTE_1
	v_sub_u16_sdwa v194, v194, v196 dst_sel:BYTE_1 dst_unused:UNUSED_PAD src0_sel:DWORD src1_sel:BYTE_3
	v_sub_u16_sdwa v195, v195, v196 dst_sel:DWORD dst_unused:UNUSED_PAD src0_sel:WORD_1 src1_sel:WORD_1
	v_or_b32_sdwa v197, v197, v199 dst_sel:DWORD dst_unused:UNUSED_PAD src0_sel:BYTE_0 src1_sel:DWORD
	v_or_b32_sdwa v194, v195, v194 dst_sel:WORD_1 dst_unused:UNUSED_PAD src0_sel:BYTE_0 src1_sel:DWORD
	v_or_b32_sdwa v195, v197, v194 dst_sel:DWORD dst_unused:UNUSED_PAD src0_sel:WORD_0 src1_sel:DWORD
	ds_read2_b32 v[196:197], v119 offset0:6 offset1:7
	s_waitcnt lgkmcnt(0)
	v_ashrrev_i32_e32 v119, s20, v196
	v_add_u32_e32 v196, 0x4218, v198
	ds_read2_b32 v[198:199], v196 offset1:1
	v_and_b32_e32 v194, 0x3030303, v119
	v_bfe_u32 v119, v119, 24, 2
	s_waitcnt lgkmcnt(0)
	v_ashrrev_i32_e32 v196, s18, v198
	v_lshlrev_b32_e32 v196, 2, v196
	v_and_b32_e32 v196, 0x4040404, v196
	v_sub_u16_e32 v198, v194, v196
	v_sub_u16_sdwa v200, v194, v196 dst_sel:BYTE_1 dst_unused:UNUSED_PAD src0_sel:BYTE_1 src1_sel:BYTE_1
	v_sub_u16_sdwa v119, v119, v196 dst_sel:BYTE_1 dst_unused:UNUSED_PAD src0_sel:DWORD src1_sel:BYTE_3
	v_sub_u16_sdwa v194, v194, v196 dst_sel:DWORD dst_unused:UNUSED_PAD src0_sel:WORD_1 src1_sel:WORD_1
	v_or_b32_sdwa v198, v198, v200 dst_sel:DWORD dst_unused:UNUSED_PAD src0_sel:BYTE_0 src1_sel:DWORD
	v_or_b32_sdwa v119, v194, v119 dst_sel:WORD_1 dst_unused:UNUSED_PAD src0_sel:BYTE_0 src1_sel:DWORD
	v_or_b32_sdwa v196, v198, v119 dst_sel:DWORD dst_unused:UNUSED_PAD src0_sel:WORD_0 src1_sel:DWORD
	v_ashrrev_i32_e32 v119, s20, v197
	v_ashrrev_i32_e32 v197, s18, v199
	v_lshlrev_b32_e32 v197, 2, v197
	v_and_b32_e32 v194, 0x3030303, v119
	v_bfe_u32 v119, v119, 24, 2
	v_and_b32_e32 v197, 0x4040404, v197
	v_sub_u16_e32 v198, v194, v197
	v_sub_u16_sdwa v199, v194, v197 dst_sel:BYTE_1 dst_unused:UNUSED_PAD src0_sel:BYTE_1 src1_sel:BYTE_1
	v_sub_u16_sdwa v119, v119, v197 dst_sel:BYTE_1 dst_unused:UNUSED_PAD src0_sel:DWORD src1_sel:BYTE_3
	v_sub_u16_sdwa v194, v194, v197 dst_sel:DWORD dst_unused:UNUSED_PAD src0_sel:WORD_1 src1_sel:WORD_1
	v_or_b32_sdwa v198, v198, v199 dst_sel:DWORD dst_unused:UNUSED_PAD src0_sel:BYTE_0 src1_sel:DWORD
	v_or_b32_sdwa v119, v194, v119 dst_sel:WORD_1 dst_unused:UNUSED_PAD src0_sel:BYTE_0 src1_sel:DWORD
	v_or_b32_sdwa v197, v198, v119 dst_sel:DWORD dst_unused:UNUSED_PAD src0_sel:WORD_0 src1_sel:DWORD
	v_add3_u32 v119, v145, s21, v118
	v_add_u32_e32 v194, s24, v133
	ds_read_b32 v194, v194
	ds_read_u16 v119, v119 offset:10242
	v_mov_b32_e32 v199, 0
	v_dot4c_i32_i8_e32 v199, v188, v4
	v_dot4c_i32_i8_e32 v199, v190, v5
	v_dot4c_i32_i8_e32 v199, v191, v6
	s_waitcnt lgkmcnt(0)
	v_lshrrev_b16_e32 v200, 8, v119
	v_bfe_i32 v198, v119, 0, 8
	v_mov_b32_e32 v119, 0
	v_dot4c_i32_i8_e32 v119, v193, v0
	v_dot4c_i32_i8_e32 v119, v195, v1
	;; [unrolled: 1-line block ×5, first 2 shown]
	v_bfe_i32 v200, v200, 0, 8
	v_mul_lo_u32 v202, v199, v198
	v_add3_u32 v118, v147, s21, v118
	v_mad_u64_u32 v[202:203], s[26:27], v119, v200, v[202:203]
	v_cvt_f32_i32_e32 v199, v202
	v_mul_f32_e32 v119, v116, v194
	s_mov_b32 s21, s20
	v_fmac_f32_e32 v81, v119, v199
	v_add_u32_e32 v119, s23, v135
	ds_read2_b32 v[202:203], v119 offset1:1
	s_waitcnt lgkmcnt(0)
	v_ashrrev_i32_e32 v199, s20, v202
	v_add_u32_e32 v202, 0x4200, v210
	ds_read2_b32 v[204:205], v202 offset1:1
	v_and_b32_e32 v201, 0x3030303, v199
	v_bfe_u32 v199, v199, 24, 2
	s_waitcnt lgkmcnt(0)
	v_ashrrev_i32_e32 v202, s18, v204
	v_lshlrev_b32_e32 v202, 2, v202
	v_and_b32_e32 v202, 0x4040404, v202
	v_sub_u16_e32 v204, v201, v202
	v_sub_u16_sdwa v206, v201, v202 dst_sel:BYTE_1 dst_unused:UNUSED_PAD src0_sel:BYTE_1 src1_sel:BYTE_1
	v_sub_u16_sdwa v199, v199, v202 dst_sel:BYTE_1 dst_unused:UNUSED_PAD src0_sel:DWORD src1_sel:BYTE_3
	v_sub_u16_sdwa v201, v201, v202 dst_sel:DWORD dst_unused:UNUSED_PAD src0_sel:WORD_1 src1_sel:WORD_1
	v_or_b32_sdwa v199, v201, v199 dst_sel:WORD_1 dst_unused:UNUSED_PAD src0_sel:BYTE_0 src1_sel:DWORD
	v_ashrrev_i32_e32 v201, s20, v203
	v_ashrrev_i32_e32 v203, s18, v205
	v_lshlrev_b32_e32 v203, 2, v203
	v_or_b32_sdwa v204, v204, v206 dst_sel:DWORD dst_unused:UNUSED_PAD src0_sel:BYTE_0 src1_sel:DWORD
	v_and_b32_e32 v202, 0x3030303, v201
	v_bfe_u32 v201, v201, 24, 2
	v_and_b32_e32 v203, 0x4040404, v203
	v_or_b32_sdwa v199, v204, v199 dst_sel:DWORD dst_unused:UNUSED_PAD src0_sel:WORD_0 src1_sel:DWORD
	v_sub_u16_e32 v204, v202, v203
	v_sub_u16_sdwa v205, v202, v203 dst_sel:BYTE_1 dst_unused:UNUSED_PAD src0_sel:BYTE_1 src1_sel:BYTE_1
	v_sub_u16_sdwa v201, v201, v203 dst_sel:BYTE_1 dst_unused:UNUSED_PAD src0_sel:DWORD src1_sel:BYTE_3
	v_sub_u16_sdwa v202, v202, v203 dst_sel:DWORD dst_unused:UNUSED_PAD src0_sel:WORD_1 src1_sel:WORD_1
	v_or_b32_sdwa v204, v204, v205 dst_sel:DWORD dst_unused:UNUSED_PAD src0_sel:BYTE_0 src1_sel:DWORD
	v_or_b32_sdwa v201, v202, v201 dst_sel:WORD_1 dst_unused:UNUSED_PAD src0_sel:BYTE_0 src1_sel:DWORD
	v_or_b32_sdwa v201, v204, v201 dst_sel:DWORD dst_unused:UNUSED_PAD src0_sel:WORD_0 src1_sel:DWORD
	v_add_u32_e32 v204, 0x4208, v210
	ds_read2_b32 v[202:203], v119 offset0:2 offset1:3
	ds_read2_b32 v[204:205], v204 offset1:1
	s_waitcnt lgkmcnt(1)
	v_ashrrev_i32_e32 v202, s20, v202
	s_waitcnt lgkmcnt(0)
	v_ashrrev_i32_e32 v204, s18, v204
	v_lshlrev_b32_e32 v204, 2, v204
	v_and_b32_e32 v206, 0x3030303, v202
	v_bfe_u32 v202, v202, 24, 2
	v_and_b32_e32 v204, 0x4040404, v204
	v_ashrrev_i32_e32 v205, s18, v205
	v_sub_u16_e32 v207, v206, v204
	v_sub_u16_sdwa v208, v206, v204 dst_sel:BYTE_1 dst_unused:UNUSED_PAD src0_sel:BYTE_1 src1_sel:BYTE_1
	v_sub_u16_sdwa v202, v202, v204 dst_sel:BYTE_1 dst_unused:UNUSED_PAD src0_sel:DWORD src1_sel:BYTE_3
	v_sub_u16_sdwa v204, v206, v204 dst_sel:DWORD dst_unused:UNUSED_PAD src0_sel:WORD_1 src1_sel:WORD_1
	v_ashrrev_i32_e32 v203, s20, v203
	v_lshlrev_b32_e32 v205, 2, v205
	v_or_b32_sdwa v207, v207, v208 dst_sel:DWORD dst_unused:UNUSED_PAD src0_sel:BYTE_0 src1_sel:DWORD
	v_or_b32_sdwa v202, v204, v202 dst_sel:WORD_1 dst_unused:UNUSED_PAD src0_sel:BYTE_0 src1_sel:DWORD
	v_and_b32_e32 v204, 0x3030303, v203
	v_bfe_u32 v203, v203, 24, 2
	v_and_b32_e32 v205, 0x4040404, v205
	v_or_b32_sdwa v202, v207, v202 dst_sel:DWORD dst_unused:UNUSED_PAD src0_sel:WORD_0 src1_sel:DWORD
	v_sub_u16_e32 v206, v204, v205
	v_sub_u16_sdwa v207, v204, v205 dst_sel:BYTE_1 dst_unused:UNUSED_PAD src0_sel:BYTE_1 src1_sel:BYTE_1
	v_sub_u16_sdwa v203, v203, v205 dst_sel:BYTE_1 dst_unused:UNUSED_PAD src0_sel:DWORD src1_sel:BYTE_3
	v_sub_u16_sdwa v204, v204, v205 dst_sel:DWORD dst_unused:UNUSED_PAD src0_sel:WORD_1 src1_sel:WORD_1
	v_or_b32_sdwa v206, v206, v207 dst_sel:DWORD dst_unused:UNUSED_PAD src0_sel:BYTE_0 src1_sel:DWORD
	v_or_b32_sdwa v203, v204, v203 dst_sel:WORD_1 dst_unused:UNUSED_PAD src0_sel:BYTE_0 src1_sel:DWORD
	v_or_b32_sdwa v203, v206, v203 dst_sel:DWORD dst_unused:UNUSED_PAD src0_sel:WORD_0 src1_sel:DWORD
	v_add_u32_e32 v206, 0x4210, v210
	ds_read2_b32 v[204:205], v119 offset0:4 offset1:5
	ds_read2_b32 v[206:207], v206 offset1:1
	s_waitcnt lgkmcnt(1)
	v_ashrrev_i32_e32 v204, s20, v204
	s_waitcnt lgkmcnt(0)
	v_ashrrev_i32_e32 v206, s18, v206
	v_lshlrev_b32_e32 v206, 2, v206
	v_and_b32_e32 v208, 0x3030303, v204
	v_bfe_u32 v204, v204, 24, 2
	v_and_b32_e32 v206, 0x4040404, v206
	v_ashrrev_i32_e32 v207, s18, v207
	v_sub_u16_e32 v209, v208, v206
	v_sub_u16_sdwa v211, v208, v206 dst_sel:BYTE_1 dst_unused:UNUSED_PAD src0_sel:BYTE_1 src1_sel:BYTE_1
	v_sub_u16_sdwa v204, v204, v206 dst_sel:BYTE_1 dst_unused:UNUSED_PAD src0_sel:DWORD src1_sel:BYTE_3
	v_sub_u16_sdwa v206, v208, v206 dst_sel:DWORD dst_unused:UNUSED_PAD src0_sel:WORD_1 src1_sel:WORD_1
	v_ashrrev_i32_e32 v205, s20, v205
	v_lshlrev_b32_e32 v207, 2, v207
	v_or_b32_sdwa v209, v209, v211 dst_sel:DWORD dst_unused:UNUSED_PAD src0_sel:BYTE_0 src1_sel:DWORD
	v_or_b32_sdwa v204, v206, v204 dst_sel:WORD_1 dst_unused:UNUSED_PAD src0_sel:BYTE_0 src1_sel:DWORD
	v_and_b32_e32 v206, 0x3030303, v205
	v_bfe_u32 v205, v205, 24, 2
	v_and_b32_e32 v207, 0x4040404, v207
	v_or_b32_sdwa v204, v209, v204 dst_sel:DWORD dst_unused:UNUSED_PAD src0_sel:WORD_0 src1_sel:DWORD
	v_sub_u16_e32 v208, v206, v207
	v_sub_u16_sdwa v209, v206, v207 dst_sel:BYTE_1 dst_unused:UNUSED_PAD src0_sel:BYTE_1 src1_sel:BYTE_1
	v_sub_u16_sdwa v205, v205, v207 dst_sel:BYTE_1 dst_unused:UNUSED_PAD src0_sel:DWORD src1_sel:BYTE_3
	v_sub_u16_sdwa v206, v206, v207 dst_sel:DWORD dst_unused:UNUSED_PAD src0_sel:WORD_1 src1_sel:WORD_1
	v_or_b32_sdwa v208, v208, v209 dst_sel:DWORD dst_unused:UNUSED_PAD src0_sel:BYTE_0 src1_sel:DWORD
	v_or_b32_sdwa v205, v206, v205 dst_sel:WORD_1 dst_unused:UNUSED_PAD src0_sel:BYTE_0 src1_sel:DWORD
	v_add_u32_e32 v207, 0x4218, v210
	v_or_b32_sdwa v206, v208, v205 dst_sel:DWORD dst_unused:UNUSED_PAD src0_sel:WORD_0 src1_sel:DWORD
	ds_read2_b32 v[208:209], v119 offset0:6 offset1:7
	ds_read2_b32 v[210:211], v207 offset1:1
	s_waitcnt lgkmcnt(1)
	v_ashrrev_i32_e32 v119, s20, v208
	s_waitcnt lgkmcnt(0)
	v_ashrrev_i32_e32 v207, s18, v210
	v_lshlrev_b32_e32 v207, 2, v207
	v_and_b32_e32 v205, 0x3030303, v119
	v_bfe_u32 v119, v119, 24, 2
	v_and_b32_e32 v207, 0x4040404, v207
	v_sub_u16_e32 v208, v205, v207
	v_sub_u16_sdwa v210, v205, v207 dst_sel:BYTE_1 dst_unused:UNUSED_PAD src0_sel:BYTE_1 src1_sel:BYTE_1
	v_sub_u16_sdwa v119, v119, v207 dst_sel:BYTE_1 dst_unused:UNUSED_PAD src0_sel:DWORD src1_sel:BYTE_3
	v_sub_u16_sdwa v205, v205, v207 dst_sel:DWORD dst_unused:UNUSED_PAD src0_sel:WORD_1 src1_sel:WORD_1
	v_or_b32_sdwa v208, v208, v210 dst_sel:DWORD dst_unused:UNUSED_PAD src0_sel:BYTE_0 src1_sel:DWORD
	v_or_b32_sdwa v119, v205, v119 dst_sel:WORD_1 dst_unused:UNUSED_PAD src0_sel:BYTE_0 src1_sel:DWORD
	v_or_b32_sdwa v207, v208, v119 dst_sel:DWORD dst_unused:UNUSED_PAD src0_sel:WORD_0 src1_sel:DWORD
	v_ashrrev_i32_e32 v208, s18, v211
	v_ashrrev_i32_e32 v119, s20, v209
	v_lshlrev_b32_e32 v208, 2, v208
	v_and_b32_e32 v205, 0x3030303, v119
	v_bfe_u32 v119, v119, 24, 2
	v_and_b32_e32 v208, 0x4040404, v208
	v_sub_u16_e32 v209, v205, v208
	v_sub_u16_sdwa v210, v205, v208 dst_sel:BYTE_1 dst_unused:UNUSED_PAD src0_sel:BYTE_1 src1_sel:BYTE_1
	v_sub_u16_sdwa v119, v119, v208 dst_sel:BYTE_1 dst_unused:UNUSED_PAD src0_sel:DWORD src1_sel:BYTE_3
	v_sub_u16_sdwa v205, v205, v208 dst_sel:DWORD dst_unused:UNUSED_PAD src0_sel:WORD_1 src1_sel:WORD_1
	v_or_b32_sdwa v209, v209, v210 dst_sel:DWORD dst_unused:UNUSED_PAD src0_sel:BYTE_0 src1_sel:DWORD
	v_or_b32_sdwa v119, v205, v119 dst_sel:WORD_1 dst_unused:UNUSED_PAD src0_sel:BYTE_0 src1_sel:DWORD
	v_or_b32_sdwa v208, v209, v119 dst_sel:DWORD dst_unused:UNUSED_PAD src0_sel:WORD_0 src1_sel:DWORD
	v_add_u32_e32 v119, s24, v136
	ds_read_b32 v205, v119
	v_mov_b32_e32 v119, 0
	v_dot4c_i32_i8_e32 v119, v199, v4
	ds_read_u16 v4, v118 offset:11266
	v_dot4c_i32_i8_e32 v119, v201, v5
	v_dot4c_i32_i8_e32 v119, v202, v6
	v_mov_b32_e32 v6, 0
	v_dot4c_i32_i8_e32 v6, v204, v0
	v_dot4c_i32_i8_e32 v6, v206, v1
	;; [unrolled: 1-line block ×3, first 2 shown]
	s_waitcnt lgkmcnt(0)
	v_lshrrev_b16_e32 v5, 8, v4
	v_bfe_i32 v209, v4, 0, 8
	v_dot4c_i32_i8_e32 v6, v207, v2
	v_mul_lo_u32 v4, v119, v209
	v_dot4c_i32_i8_e32 v6, v208, v3
	v_bfe_i32 v210, v5, 0, 8
	v_mov_b32_e32 v118, 0
	s_add_i32 s18, s18, 1
	v_mad_u64_u32 v[0:1], s[22:23], v6, v210, v[4:5]
	v_cvt_f32_i32_e32 v0, v0
	v_mul_f32_e32 v1, v116, v205
	v_mov_b32_e32 v116, 0
	s_cmp_lt_u32 s20, 6
	v_fmac_f32_e32 v79, v1, v0
	ds_read_b128 v[0:3], v165 offset:26368
	ds_read_b128 v[4:7], v165 offset:26384
	s_waitcnt lgkmcnt(1)
	v_dot4c_i32_i8_e32 v116, v167, v0
	v_dot4c_i32_i8_e32 v116, v168, v1
	s_waitcnt lgkmcnt(0)
	v_dot4c_i32_i8_e32 v118, v172, v4
	v_dot4c_i32_i8_e32 v116, v169, v2
	v_dot4c_i32_i8_e32 v118, v173, v5
	v_dot4c_i32_i8_e32 v116, v170, v3
	v_dot4c_i32_i8_e32 v118, v174, v6
	v_dot4c_i32_i8_e32 v118, v175, v7
	s_nop 0
	v_mul_lo_u32 v116, v116, v176
	s_nop 0
	v_mad_u64_u32 v[118:119], s[22:23], v118, v178, v[116:117]
	v_cvt_f32_i32_e32 v118, v118
	v_mul_f32_e32 v116, v171, v117
	v_fmac_f32_e32 v71, v116, v118
	v_mov_b32_e32 v116, 0
	v_dot4c_i32_i8_e32 v116, v177, v0
	v_mov_b32_e32 v118, 0
	v_dot4c_i32_i8_e32 v116, v179, v1
	v_dot4c_i32_i8_e32 v118, v182, v4
	;; [unrolled: 1-line block ×7, first 2 shown]
	s_nop 0
	v_mul_lo_u32 v116, v116, v187
	s_nop 0
	v_mad_u64_u32 v[118:119], s[22:23], v118, v189, v[116:117]
	v_cvt_f32_i32_e32 v118, v118
	v_mul_f32_e32 v116, v183, v117
	v_fmac_f32_e32 v69, v116, v118
	v_mov_b32_e32 v116, 0
	v_dot4c_i32_i8_e32 v116, v188, v0
	v_mov_b32_e32 v118, 0
	v_dot4c_i32_i8_e32 v116, v190, v1
	v_dot4c_i32_i8_e32 v118, v193, v4
	;; [unrolled: 1-line block ×7, first 2 shown]
	s_nop 0
	v_mul_lo_u32 v116, v116, v198
	s_nop 0
	v_mad_u64_u32 v[118:119], s[22:23], v118, v200, v[116:117]
	v_cvt_f32_i32_e32 v118, v118
	v_mul_f32_e32 v116, v194, v117
	v_fmac_f32_e32 v67, v116, v118
	v_mov_b32_e32 v116, 0
	v_dot4c_i32_i8_e32 v116, v199, v0
	v_dot4c_i32_i8_e32 v116, v201, v1
	v_mov_b32_e32 v1, 0
	v_dot4c_i32_i8_e32 v1, v204, v4
	v_dot4c_i32_i8_e32 v116, v202, v2
	;; [unrolled: 1-line block ×6, first 2 shown]
	s_nop 0
	v_mul_lo_u32 v0, v116, v209
	s_nop 0
	v_mad_u64_u32 v[0:1], s[22:23], v1, v210, v[0:1]
	v_cvt_f32_i32_e32 v0, v0
	v_mul_f32_e32 v1, v205, v117
	v_fmac_f32_e32 v65, v1, v0
	v_add_u32_e32 v0, 0x9800, v166
	ds_read2_b32 v[6:7], v0 offset0:40 offset1:72
	ds_read_b128 v[2:5], v165 offset:27392
	ds_read_b128 v[116:119], v165 offset:27408
	v_mov_b32_e32 v1, 0
	v_add_u32_e32 v166, 4, v166
	s_waitcnt lgkmcnt(1)
	v_dot4c_i32_i8_e32 v1, v167, v2
	v_dot4c_i32_i8_e32 v1, v168, v3
	;; [unrolled: 1-line block ×4, first 2 shown]
	s_nop 2
	v_mul_lo_u32 v212, v1, v176
	v_mov_b32_e32 v1, 0
	s_waitcnt lgkmcnt(0)
	v_dot4c_i32_i8_e32 v1, v172, v116
	v_dot4c_i32_i8_e32 v1, v173, v117
	;; [unrolled: 1-line block ×4, first 2 shown]
	s_nop 2
	v_mad_u64_u32 v[212:213], s[22:23], v1, v178, v[212:213]
	v_cvt_f32_i32_e32 v211, v212
	v_mul_f32_e32 v1, v171, v6
	v_fmac_f32_e32 v59, v1, v211
	v_mov_b32_e32 v1, 0
	v_dot4c_i32_i8_e32 v1, v177, v2
	v_dot4c_i32_i8_e32 v1, v179, v3
	;; [unrolled: 1-line block ×4, first 2 shown]
	s_nop 2
	v_mul_lo_u32 v212, v1, v187
	v_mov_b32_e32 v1, 0
	v_dot4c_i32_i8_e32 v1, v182, v116
	v_dot4c_i32_i8_e32 v1, v184, v117
	;; [unrolled: 1-line block ×4, first 2 shown]
	s_nop 2
	v_mad_u64_u32 v[212:213], s[22:23], v1, v189, v[212:213]
	v_cvt_f32_i32_e32 v211, v212
	v_mul_f32_e32 v1, v183, v6
	v_fmac_f32_e32 v57, v1, v211
	v_mov_b32_e32 v1, 0
	v_dot4c_i32_i8_e32 v1, v188, v2
	v_dot4c_i32_i8_e32 v1, v190, v3
	;; [unrolled: 1-line block ×4, first 2 shown]
	s_nop 2
	v_mul_lo_u32 v212, v1, v198
	v_mov_b32_e32 v1, 0
	v_dot4c_i32_i8_e32 v1, v193, v116
	v_dot4c_i32_i8_e32 v1, v195, v117
	;; [unrolled: 1-line block ×4, first 2 shown]
	s_nop 2
	v_mad_u64_u32 v[212:213], s[22:23], v1, v200, v[212:213]
	v_cvt_f32_i32_e32 v211, v212
	v_mul_f32_e32 v1, v194, v6
	v_fmac_f32_e32 v55, v1, v211
	v_mov_b32_e32 v1, 0
	v_dot4c_i32_i8_e32 v1, v199, v2
	v_dot4c_i32_i8_e32 v1, v201, v3
	;; [unrolled: 1-line block ×4, first 2 shown]
                                        ; kill: def $vgpr3 killed $sgpr0 killed $exec
	s_nop 2
	v_mul_lo_u32 v2, v1, v209
	v_mov_b32_e32 v1, 0
	v_dot4c_i32_i8_e32 v1, v204, v116
	v_dot4c_i32_i8_e32 v1, v206, v117
	;; [unrolled: 1-line block ×4, first 2 shown]
	s_nop 2
	v_mad_u64_u32 v[2:3], s[22:23], v1, v210, v[2:3]
	v_cvt_f32_i32_e32 v2, v2
	v_mul_f32_e32 v1, v205, v6
	v_fmac_f32_e32 v53, v1, v2
	ds_read_b128 v[2:5], v165 offset:28416
	ds_read_b128 v[116:119], v165 offset:28432
	v_mov_b32_e32 v1, 0
	s_waitcnt lgkmcnt(1)
	v_dot4c_i32_i8_e32 v1, v167, v2
	v_dot4c_i32_i8_e32 v1, v168, v3
	;; [unrolled: 1-line block ×4, first 2 shown]
	s_nop 2
	v_mul_lo_u32 v6, v1, v176
	v_mov_b32_e32 v1, 0
	s_waitcnt lgkmcnt(0)
	v_dot4c_i32_i8_e32 v1, v172, v116
	v_dot4c_i32_i8_e32 v1, v173, v117
	;; [unrolled: 1-line block ×4, first 2 shown]
	s_nop 2
	v_mad_u64_u32 v[212:213], s[22:23], v1, v178, v[6:7]
	v_cvt_f32_i32_e32 v6, v212
	v_mul_f32_e32 v1, v171, v7
	v_fmac_f32_e32 v51, v1, v6
	v_mov_b32_e32 v1, 0
	v_dot4c_i32_i8_e32 v1, v177, v2
	v_dot4c_i32_i8_e32 v1, v179, v3
	;; [unrolled: 1-line block ×4, first 2 shown]
	s_nop 2
	v_mul_lo_u32 v6, v1, v187
	v_mov_b32_e32 v1, 0
	v_dot4c_i32_i8_e32 v1, v182, v116
	v_dot4c_i32_i8_e32 v1, v184, v117
	;; [unrolled: 1-line block ×4, first 2 shown]
	s_nop 2
	v_mad_u64_u32 v[212:213], s[22:23], v1, v189, v[6:7]
	v_cvt_f32_i32_e32 v6, v212
	v_mul_f32_e32 v1, v183, v7
	v_fmac_f32_e32 v49, v1, v6
	v_mov_b32_e32 v1, 0
	v_dot4c_i32_i8_e32 v1, v188, v2
	v_dot4c_i32_i8_e32 v1, v190, v3
	;; [unrolled: 1-line block ×4, first 2 shown]
	s_nop 2
	v_mul_lo_u32 v6, v1, v198
	v_mov_b32_e32 v1, 0
	v_dot4c_i32_i8_e32 v1, v193, v116
	v_dot4c_i32_i8_e32 v1, v195, v117
	;; [unrolled: 1-line block ×4, first 2 shown]
	s_nop 2
	v_mad_u64_u32 v[212:213], s[22:23], v1, v200, v[6:7]
	v_cvt_f32_i32_e32 v6, v212
	v_mul_f32_e32 v1, v194, v7
	v_fmac_f32_e32 v47, v1, v6
	v_mov_b32_e32 v1, 0
	v_dot4c_i32_i8_e32 v1, v199, v2
	v_dot4c_i32_i8_e32 v1, v201, v3
	;; [unrolled: 1-line block ×4, first 2 shown]
                                        ; kill: def $vgpr3 killed $sgpr0 killed $exec
	s_nop 2
	v_mul_lo_u32 v2, v1, v209
	v_mov_b32_e32 v1, 0
	v_dot4c_i32_i8_e32 v1, v204, v116
	v_dot4c_i32_i8_e32 v1, v206, v117
	;; [unrolled: 1-line block ×4, first 2 shown]
	s_nop 2
	v_mad_u64_u32 v[2:3], s[22:23], v1, v210, v[2:3]
	v_cvt_f32_i32_e32 v2, v2
	v_mul_f32_e32 v1, v205, v7
	v_fmac_f32_e32 v45, v1, v2
	ds_read2_b32 v[6:7], v0 offset0:104 offset1:136
	ds_read_b128 v[2:5], v165 offset:29440
	ds_read_b128 v[116:119], v165 offset:29456
	v_mov_b32_e32 v1, 0
	s_waitcnt lgkmcnt(1)
	v_dot4c_i32_i8_e32 v1, v167, v2
	v_dot4c_i32_i8_e32 v1, v168, v3
	;; [unrolled: 1-line block ×4, first 2 shown]
	s_nop 2
	v_mul_lo_u32 v212, v1, v176
	v_mov_b32_e32 v1, 0
	s_waitcnt lgkmcnt(0)
	v_dot4c_i32_i8_e32 v1, v172, v116
	v_dot4c_i32_i8_e32 v1, v173, v117
	;; [unrolled: 1-line block ×4, first 2 shown]
	s_nop 2
	v_mad_u64_u32 v[212:213], s[22:23], v1, v178, v[212:213]
	v_cvt_f32_i32_e32 v211, v212
	v_mul_f32_e32 v1, v171, v6
	v_fmac_f32_e32 v43, v1, v211
	v_mov_b32_e32 v1, 0
	v_dot4c_i32_i8_e32 v1, v177, v2
	v_dot4c_i32_i8_e32 v1, v179, v3
	v_dot4c_i32_i8_e32 v1, v180, v4
	v_dot4c_i32_i8_e32 v1, v181, v5
	s_nop 2
	v_mul_lo_u32 v212, v1, v187
	v_mov_b32_e32 v1, 0
	v_dot4c_i32_i8_e32 v1, v182, v116
	v_dot4c_i32_i8_e32 v1, v184, v117
	;; [unrolled: 1-line block ×4, first 2 shown]
	s_nop 2
	v_mad_u64_u32 v[212:213], s[22:23], v1, v189, v[212:213]
	v_cvt_f32_i32_e32 v211, v212
	v_mul_f32_e32 v1, v183, v6
	v_fmac_f32_e32 v39, v1, v211
	v_mov_b32_e32 v1, 0
	v_dot4c_i32_i8_e32 v1, v188, v2
	v_dot4c_i32_i8_e32 v1, v190, v3
	;; [unrolled: 1-line block ×4, first 2 shown]
	s_nop 2
	v_mul_lo_u32 v212, v1, v198
	v_mov_b32_e32 v1, 0
	v_dot4c_i32_i8_e32 v1, v193, v116
	v_dot4c_i32_i8_e32 v1, v195, v117
	;; [unrolled: 1-line block ×4, first 2 shown]
	s_nop 2
	v_mad_u64_u32 v[212:213], s[22:23], v1, v200, v[212:213]
	v_cvt_f32_i32_e32 v211, v212
	v_mul_f32_e32 v1, v194, v6
	v_fmac_f32_e32 v35, v1, v211
	v_mov_b32_e32 v1, 0
	v_dot4c_i32_i8_e32 v1, v199, v2
	v_dot4c_i32_i8_e32 v1, v201, v3
	;; [unrolled: 1-line block ×4, first 2 shown]
                                        ; kill: def $vgpr3 killed $sgpr0 killed $exec
	s_nop 2
	v_mul_lo_u32 v2, v1, v209
	v_mov_b32_e32 v1, 0
	v_dot4c_i32_i8_e32 v1, v204, v116
	v_dot4c_i32_i8_e32 v1, v206, v117
	;; [unrolled: 1-line block ×4, first 2 shown]
	s_nop 2
	v_mad_u64_u32 v[2:3], s[22:23], v1, v210, v[2:3]
	v_cvt_f32_i32_e32 v2, v2
	v_mul_f32_e32 v1, v205, v6
	v_fmac_f32_e32 v33, v1, v2
	ds_read_b128 v[2:5], v165 offset:30464
	ds_read_b128 v[116:119], v165 offset:30480
	v_mov_b32_e32 v1, 0
	s_waitcnt lgkmcnt(1)
	v_dot4c_i32_i8_e32 v1, v167, v2
	v_dot4c_i32_i8_e32 v1, v168, v3
	;; [unrolled: 1-line block ×4, first 2 shown]
	s_nop 2
	v_mul_lo_u32 v6, v1, v176
	v_mov_b32_e32 v1, 0
	s_waitcnt lgkmcnt(0)
	v_dot4c_i32_i8_e32 v1, v172, v116
	v_dot4c_i32_i8_e32 v1, v173, v117
	;; [unrolled: 1-line block ×4, first 2 shown]
	s_nop 2
	v_mad_u64_u32 v[212:213], s[22:23], v1, v178, v[6:7]
	v_cvt_f32_i32_e32 v6, v212
	v_mul_f32_e32 v1, v171, v7
	v_fmac_f32_e32 v31, v1, v6
	v_mov_b32_e32 v1, 0
	v_dot4c_i32_i8_e32 v1, v177, v2
	v_dot4c_i32_i8_e32 v1, v179, v3
	;; [unrolled: 1-line block ×4, first 2 shown]
	s_nop 2
	v_mul_lo_u32 v6, v1, v187
	v_mov_b32_e32 v1, 0
	v_dot4c_i32_i8_e32 v1, v182, v116
	v_dot4c_i32_i8_e32 v1, v184, v117
	;; [unrolled: 1-line block ×4, first 2 shown]
	s_nop 2
	v_mad_u64_u32 v[212:213], s[22:23], v1, v189, v[6:7]
	v_cvt_f32_i32_e32 v6, v212
	v_mul_f32_e32 v1, v183, v7
	v_fmac_f32_e32 v29, v1, v6
	v_mov_b32_e32 v1, 0
	v_dot4c_i32_i8_e32 v1, v188, v2
	v_dot4c_i32_i8_e32 v1, v190, v3
	;; [unrolled: 1-line block ×4, first 2 shown]
	s_nop 2
	v_mul_lo_u32 v6, v1, v198
	v_mov_b32_e32 v1, 0
	v_dot4c_i32_i8_e32 v1, v193, v116
	v_dot4c_i32_i8_e32 v1, v195, v117
	;; [unrolled: 1-line block ×4, first 2 shown]
	s_nop 2
	v_mad_u64_u32 v[212:213], s[22:23], v1, v200, v[6:7]
	v_cvt_f32_i32_e32 v6, v212
	v_mul_f32_e32 v1, v194, v7
	v_fmac_f32_e32 v27, v1, v6
	v_mov_b32_e32 v1, 0
	v_dot4c_i32_i8_e32 v1, v199, v2
	v_dot4c_i32_i8_e32 v1, v201, v3
	v_dot4c_i32_i8_e32 v1, v202, v4
	v_dot4c_i32_i8_e32 v1, v203, v5
                                        ; kill: def $vgpr3 killed $sgpr0 killed $exec
	s_nop 2
	v_mul_lo_u32 v2, v1, v209
	v_mov_b32_e32 v1, 0
	v_dot4c_i32_i8_e32 v1, v204, v116
	v_dot4c_i32_i8_e32 v1, v206, v117
	;; [unrolled: 1-line block ×4, first 2 shown]
	v_mov_b32_e32 v118, 0
	v_mov_b32_e32 v119, 0
	s_nop 0
	v_mad_u64_u32 v[2:3], s[22:23], v1, v210, v[2:3]
	v_cvt_f32_i32_e32 v2, v2
	v_mul_f32_e32 v1, v205, v7
	v_fmac_f32_e32 v25, v1, v2
	ds_read2_b32 v[116:117], v0 offset0:168 offset1:200
	ds_read_b128 v[4:7], v165 offset:31488
	ds_read_b128 v[0:3], v165 offset:31504
	s_waitcnt lgkmcnt(1)
	v_dot4c_i32_i8_e32 v118, v167, v4
	v_dot4c_i32_i8_e32 v118, v168, v5
	s_waitcnt lgkmcnt(0)
	v_dot4c_i32_i8_e32 v119, v172, v0
	v_dot4c_i32_i8_e32 v118, v169, v6
	;; [unrolled: 1-line block ×6, first 2 shown]
	s_nop 0
	v_mul_lo_u32 v118, v118, v176
	s_nop 0
	v_mad_u64_u32 v[118:119], s[22:23], v119, v178, v[118:119]
	v_cvt_f32_i32_e32 v118, v118
	v_mul_f32_e32 v119, v171, v116
	v_fmac_f32_e32 v23, v119, v118
	v_mov_b32_e32 v118, 0
	v_dot4c_i32_i8_e32 v118, v177, v4
	v_mov_b32_e32 v119, 0
	v_dot4c_i32_i8_e32 v118, v179, v5
	v_dot4c_i32_i8_e32 v119, v182, v0
	;; [unrolled: 1-line block ×7, first 2 shown]
	s_nop 0
	v_mul_lo_u32 v118, v118, v187
	s_nop 0
	v_mad_u64_u32 v[118:119], s[22:23], v119, v189, v[118:119]
	v_cvt_f32_i32_e32 v118, v118
	v_mul_f32_e32 v119, v183, v116
	v_fmac_f32_e32 v21, v119, v118
	v_mov_b32_e32 v118, 0
	v_dot4c_i32_i8_e32 v118, v188, v4
	v_mov_b32_e32 v119, 0
	v_dot4c_i32_i8_e32 v118, v190, v5
	v_dot4c_i32_i8_e32 v119, v193, v0
	;; [unrolled: 1-line block ×7, first 2 shown]
	s_nop 0
	v_mul_lo_u32 v118, v118, v198
	s_nop 0
	v_mad_u64_u32 v[118:119], s[22:23], v119, v200, v[118:119]
	v_cvt_f32_i32_e32 v118, v118
	v_mul_f32_e32 v119, v194, v116
	v_fmac_f32_e32 v19, v119, v118
	v_mov_b32_e32 v118, 0
	v_dot4c_i32_i8_e32 v118, v199, v4
	v_dot4c_i32_i8_e32 v118, v201, v5
	v_mov_b32_e32 v5, 0
	v_dot4c_i32_i8_e32 v5, v204, v0
	v_dot4c_i32_i8_e32 v118, v202, v6
	v_dot4c_i32_i8_e32 v5, v206, v1
	v_dot4c_i32_i8_e32 v118, v203, v7
	v_dot4c_i32_i8_e32 v5, v207, v2
	v_dot4c_i32_i8_e32 v5, v208, v3
	s_nop 0
	v_mul_lo_u32 v4, v118, v209
	v_mov_b32_e32 v118, 0
	v_mad_u64_u32 v[0:1], s[22:23], v5, v210, v[4:5]
	v_cvt_f32_i32_e32 v0, v0
	v_mul_f32_e32 v1, v205, v116
	v_mov_b32_e32 v116, 0
	v_fmac_f32_e32 v17, v1, v0
	ds_read_b128 v[0:3], v165 offset:32512
	ds_read_b128 v[4:7], v165 offset:32528
	v_add_u32_e32 v165, 32, v165
	s_waitcnt lgkmcnt(1)
	v_dot4c_i32_i8_e32 v116, v167, v0
	v_dot4c_i32_i8_e32 v116, v168, v1
	s_waitcnt lgkmcnt(0)
	v_dot4c_i32_i8_e32 v118, v172, v4
	v_dot4c_i32_i8_e32 v116, v169, v2
	;; [unrolled: 1-line block ×6, first 2 shown]
	s_nop 0
	v_mul_lo_u32 v116, v116, v176
	s_nop 0
	v_mad_u64_u32 v[118:119], s[22:23], v118, v178, v[116:117]
	v_cvt_f32_i32_e32 v118, v118
	v_mul_f32_e32 v116, v171, v117
	v_fmac_f32_e32 v15, v116, v118
	v_mov_b32_e32 v116, 0
	v_dot4c_i32_i8_e32 v116, v177, v0
	v_mov_b32_e32 v118, 0
	v_dot4c_i32_i8_e32 v116, v179, v1
	v_dot4c_i32_i8_e32 v118, v182, v4
	v_dot4c_i32_i8_e32 v116, v180, v2
	v_dot4c_i32_i8_e32 v118, v184, v5
	v_dot4c_i32_i8_e32 v116, v181, v3
	v_dot4c_i32_i8_e32 v118, v185, v6
	v_dot4c_i32_i8_e32 v118, v186, v7
	s_nop 0
	v_mul_lo_u32 v116, v116, v187
	s_nop 0
	v_mad_u64_u32 v[118:119], s[22:23], v118, v189, v[116:117]
	v_cvt_f32_i32_e32 v118, v118
	v_mul_f32_e32 v116, v183, v117
	v_fmac_f32_e32 v13, v116, v118
	v_mov_b32_e32 v116, 0
	v_dot4c_i32_i8_e32 v116, v188, v0
	v_mov_b32_e32 v118, 0
	v_dot4c_i32_i8_e32 v116, v190, v1
	v_dot4c_i32_i8_e32 v118, v193, v4
	v_dot4c_i32_i8_e32 v116, v191, v2
	v_dot4c_i32_i8_e32 v118, v195, v5
	v_dot4c_i32_i8_e32 v116, v192, v3
	v_dot4c_i32_i8_e32 v118, v196, v6
	v_dot4c_i32_i8_e32 v118, v197, v7
	s_nop 0
	v_mul_lo_u32 v116, v116, v198
	s_nop 0
	v_mad_u64_u32 v[118:119], s[22:23], v118, v200, v[116:117]
	v_cvt_f32_i32_e32 v118, v118
	v_mul_f32_e32 v116, v194, v117
	v_fmac_f32_e32 v11, v116, v118
	v_mov_b32_e32 v116, 0
	v_dot4c_i32_i8_e32 v116, v199, v0
	v_dot4c_i32_i8_e32 v116, v201, v1
	v_mov_b32_e32 v1, 0
	v_dot4c_i32_i8_e32 v1, v204, v4
	v_dot4c_i32_i8_e32 v116, v202, v2
	;; [unrolled: 1-line block ×6, first 2 shown]
	s_nop 0
	v_mul_lo_u32 v0, v116, v209
	s_nop 0
	v_mad_u64_u32 v[0:1], s[22:23], v1, v210, v[0:1]
	v_cvt_f32_i32_e32 v0, v0
	v_mul_f32_e32 v1, v205, v117
	v_fmac_f32_e32 v9, v1, v0
	s_cbranch_scc1 .LBB150_7
; %bb.8:                                ;   in Loop: Header=BB150_6 Depth=1
	v_add_u32_e32 v165, s17, v137
	v_add_u32_e32 v0, v165, v87
	;; [unrolled: 1-line block ×9, first 2 shown]
	v_mad_i64_i32 v[168:169], s[18:19], v165, 36, v[112:113]
	v_add_u32_e32 v165, 4, v164
	v_mad_i64_i32 v[0:1], s[18:19], v0, 36, v[112:113]
	v_mad_i64_i32 v[2:3], s[18:19], v2, 36, v[112:113]
	;; [unrolled: 1-line block ×4, first 2 shown]
	v_mad_u64_u32 v[170:171], s[18:19], v165, 36, s[2:3]
	s_barrier
	v_mad_i64_i32 v[116:117], s[18:19], v116, 36, v[112:113]
	v_mad_i64_i32 v[118:119], s[18:19], v118, 36, v[112:113]
	;; [unrolled: 1-line block ×3, first 2 shown]
	global_load_dword v170, v[170:171], off
	s_nop 0
	global_load_dword v0, v[0:1], off offset:4
	s_nop 0
	global_load_dword v1, v[2:3], off offset:4
	;; [unrolled: 2-line block ×3, first 2 shown]
	global_load_dword v3, v[6:7], off offset:4
	s_nop 0
	global_load_dword v4, v[116:117], off offset:4
	global_load_dword v5, v[118:119], off offset:4
	;; [unrolled: 1-line block ×4, first 2 shown]
	s_mov_b32 s18, 4
	s_mov_b32 s19, 8
	;; [unrolled: 1-line block ×3, first 2 shown]
	v_mov_b32_e32 v165, v89
	v_mov_b32_e32 v166, v61
	s_waitcnt vmcnt(8)
	v_cvt_f32_f16_e32 v116, v170
	s_waitcnt vmcnt(7)
	ds_write_b32 v91, v0
	s_waitcnt vmcnt(6)
	ds_write_b32 v97, v1
	;; [unrolled: 2-line block ×8, first 2 shown]
	ds_write_b32 v85, v116
	s_waitcnt lgkmcnt(0)
	s_barrier
.LBB150_9:                              ;   Parent Loop BB150_6 Depth=1
                                        ; =>  This Inner Loop Header: Depth=2
	s_and_b32 s20, s19, -16
	v_add_u32_e32 v118, s20, v124
	s_add_i32 s20, s21, 2
	s_lshr_b32 s25, s20, 4
	s_and_b32 s24, s20, 0x3ffffff8
	s_lshl_b32 s23, s25, 3
	s_lshl_b32 s24, s24, 2
	v_add_lshl_u32 v176, v125, s23, 2
	v_add_u32_e32 v0, 0x9600, v166
	v_add_u32_e32 v119, s24, v126
	;; [unrolled: 1-line block ×3, first 2 shown]
	ds_read2_b32 v[116:117], v0 offset0:104 offset1:136
	ds_read_b128 v[4:7], v165 offset:25344
	ds_read_b128 v[0:3], v165 offset:25360
	ds_read2_b32 v[168:169], v119 offset1:1
	ds_read2_b32 v[170:171], v170 offset1:1
	s_add_i32 s22, s21, -6
	s_lshl_b32 s25, s25, 2
	v_add_lshl_u32 v198, v131, s23, 2
	s_waitcnt lgkmcnt(1)
	v_ashrrev_i32_e32 v167, s22, v168
	s_waitcnt lgkmcnt(0)
	v_ashrrev_i32_e32 v170, s18, v170
	v_lshlrev_b32_e32 v170, 2, v170
	v_and_b32_e32 v168, 0x3030303, v167
	v_bfe_u32 v167, v167, 24, 2
	v_and_b32_e32 v170, 0x4040404, v170
	v_sub_u16_e32 v172, v168, v170
	v_sub_u16_sdwa v173, v168, v170 dst_sel:BYTE_1 dst_unused:UNUSED_PAD src0_sel:BYTE_1 src1_sel:BYTE_1
	v_sub_u16_sdwa v167, v167, v170 dst_sel:BYTE_1 dst_unused:UNUSED_PAD src0_sel:DWORD src1_sel:BYTE_3
	v_sub_u16_sdwa v168, v168, v170 dst_sel:DWORD dst_unused:UNUSED_PAD src0_sel:WORD_1 src1_sel:WORD_1
	v_ashrrev_i32_e32 v170, s18, v171
	v_or_b32_sdwa v167, v168, v167 dst_sel:WORD_1 dst_unused:UNUSED_PAD src0_sel:BYTE_0 src1_sel:DWORD
	v_ashrrev_i32_e32 v168, s22, v169
	v_lshlrev_b32_e32 v170, 2, v170
	v_or_b32_sdwa v172, v172, v173 dst_sel:DWORD dst_unused:UNUSED_PAD src0_sel:BYTE_0 src1_sel:DWORD
	v_and_b32_e32 v169, 0x3030303, v168
	v_bfe_u32 v168, v168, 24, 2
	v_and_b32_e32 v170, 0x4040404, v170
	v_or_b32_sdwa v167, v172, v167 dst_sel:DWORD dst_unused:UNUSED_PAD src0_sel:WORD_0 src1_sel:DWORD
	v_sub_u16_e32 v171, v169, v170
	v_sub_u16_sdwa v172, v169, v170 dst_sel:BYTE_1 dst_unused:UNUSED_PAD src0_sel:BYTE_1 src1_sel:BYTE_1
	v_sub_u16_sdwa v168, v168, v170 dst_sel:BYTE_1 dst_unused:UNUSED_PAD src0_sel:DWORD src1_sel:BYTE_3
	v_sub_u16_sdwa v169, v169, v170 dst_sel:DWORD dst_unused:UNUSED_PAD src0_sel:WORD_1 src1_sel:WORD_1
	v_or_b32_sdwa v171, v171, v172 dst_sel:DWORD dst_unused:UNUSED_PAD src0_sel:BYTE_0 src1_sel:DWORD
	v_or_b32_sdwa v168, v169, v168 dst_sel:WORD_1 dst_unused:UNUSED_PAD src0_sel:BYTE_0 src1_sel:DWORD
	v_add_u32_e32 v172, 0x4208, v176
	v_or_b32_sdwa v168, v171, v168 dst_sel:DWORD dst_unused:UNUSED_PAD src0_sel:WORD_0 src1_sel:DWORD
	ds_read2_b32 v[170:171], v119 offset0:2 offset1:3
	ds_read2_b32 v[172:173], v172 offset1:1
	v_add_lshl_u32 v188, v128, s23, 2
	v_add_u32_e32 v192, 0x4200, v198
	v_add_lshl_u32 v210, v134, s23, 2
	s_waitcnt lgkmcnt(1)
	v_ashrrev_i32_e32 v169, s22, v170
	s_waitcnt lgkmcnt(0)
	v_ashrrev_i32_e32 v172, s18, v172
	v_lshlrev_b32_e32 v172, 2, v172
	v_and_b32_e32 v170, 0x3030303, v169
	v_bfe_u32 v169, v169, 24, 2
	v_and_b32_e32 v172, 0x4040404, v172
	v_sub_u16_e32 v174, v170, v172
	v_sub_u16_sdwa v175, v170, v172 dst_sel:BYTE_1 dst_unused:UNUSED_PAD src0_sel:BYTE_1 src1_sel:BYTE_1
	v_sub_u16_sdwa v169, v169, v172 dst_sel:BYTE_1 dst_unused:UNUSED_PAD src0_sel:DWORD src1_sel:BYTE_3
	v_sub_u16_sdwa v170, v170, v172 dst_sel:DWORD dst_unused:UNUSED_PAD src0_sel:WORD_1 src1_sel:WORD_1
	v_ashrrev_i32_e32 v172, s18, v173
	v_or_b32_sdwa v169, v170, v169 dst_sel:WORD_1 dst_unused:UNUSED_PAD src0_sel:BYTE_0 src1_sel:DWORD
	v_ashrrev_i32_e32 v170, s22, v171
	v_lshlrev_b32_e32 v172, 2, v172
	v_or_b32_sdwa v174, v174, v175 dst_sel:DWORD dst_unused:UNUSED_PAD src0_sel:BYTE_0 src1_sel:DWORD
	v_and_b32_e32 v171, 0x3030303, v170
	v_bfe_u32 v170, v170, 24, 2
	v_and_b32_e32 v172, 0x4040404, v172
	v_or_b32_sdwa v169, v174, v169 dst_sel:DWORD dst_unused:UNUSED_PAD src0_sel:WORD_0 src1_sel:DWORD
	v_sub_u16_e32 v173, v171, v172
	v_sub_u16_sdwa v174, v171, v172 dst_sel:BYTE_1 dst_unused:UNUSED_PAD src0_sel:BYTE_1 src1_sel:BYTE_1
	v_sub_u16_sdwa v170, v170, v172 dst_sel:BYTE_1 dst_unused:UNUSED_PAD src0_sel:DWORD src1_sel:BYTE_3
	v_sub_u16_sdwa v171, v171, v172 dst_sel:DWORD dst_unused:UNUSED_PAD src0_sel:WORD_1 src1_sel:WORD_1
	v_or_b32_sdwa v173, v173, v174 dst_sel:DWORD dst_unused:UNUSED_PAD src0_sel:BYTE_0 src1_sel:DWORD
	v_or_b32_sdwa v170, v171, v170 dst_sel:WORD_1 dst_unused:UNUSED_PAD src0_sel:BYTE_0 src1_sel:DWORD
	v_add_u32_e32 v174, 0x4210, v176
	v_or_b32_sdwa v170, v173, v170 dst_sel:DWORD dst_unused:UNUSED_PAD src0_sel:WORD_0 src1_sel:DWORD
	ds_read2_b32 v[172:173], v119 offset0:4 offset1:5
	ds_read2_b32 v[174:175], v174 offset1:1
	s_add_i32 s19, s19, 2
	ds_read2_b32 v[192:193], v192 offset1:1
	s_waitcnt lgkmcnt(2)
	v_ashrrev_i32_e32 v171, s22, v172
	s_waitcnt lgkmcnt(1)
	v_ashrrev_i32_e32 v174, s18, v174
	v_lshlrev_b32_e32 v174, 2, v174
	v_and_b32_e32 v172, 0x3030303, v171
	v_bfe_u32 v171, v171, 24, 2
	v_and_b32_e32 v174, 0x4040404, v174
	v_sub_u16_e32 v177, v172, v174
	v_sub_u16_sdwa v178, v172, v174 dst_sel:BYTE_1 dst_unused:UNUSED_PAD src0_sel:BYTE_1 src1_sel:BYTE_1
	v_sub_u16_sdwa v171, v171, v174 dst_sel:BYTE_1 dst_unused:UNUSED_PAD src0_sel:DWORD src1_sel:BYTE_3
	v_sub_u16_sdwa v172, v172, v174 dst_sel:DWORD dst_unused:UNUSED_PAD src0_sel:WORD_1 src1_sel:WORD_1
	v_or_b32_sdwa v177, v177, v178 dst_sel:DWORD dst_unused:UNUSED_PAD src0_sel:BYTE_0 src1_sel:DWORD
	v_or_b32_sdwa v171, v172, v171 dst_sel:WORD_1 dst_unused:UNUSED_PAD src0_sel:BYTE_0 src1_sel:DWORD
	v_ashrrev_i32_e32 v174, s18, v175
	v_or_b32_sdwa v172, v177, v171 dst_sel:DWORD dst_unused:UNUSED_PAD src0_sel:WORD_0 src1_sel:DWORD
	v_ashrrev_i32_e32 v171, s22, v173
	v_lshlrev_b32_e32 v174, 2, v174
	v_and_b32_e32 v173, 0x3030303, v171
	v_bfe_u32 v171, v171, 24, 2
	v_and_b32_e32 v174, 0x4040404, v174
	v_sub_u16_e32 v175, v173, v174
	v_sub_u16_sdwa v177, v173, v174 dst_sel:BYTE_1 dst_unused:UNUSED_PAD src0_sel:BYTE_1 src1_sel:BYTE_1
	v_sub_u16_sdwa v171, v171, v174 dst_sel:BYTE_1 dst_unused:UNUSED_PAD src0_sel:DWORD src1_sel:BYTE_3
	v_sub_u16_sdwa v173, v173, v174 dst_sel:DWORD dst_unused:UNUSED_PAD src0_sel:WORD_1 src1_sel:WORD_1
	v_or_b32_sdwa v175, v175, v177 dst_sel:DWORD dst_unused:UNUSED_PAD src0_sel:BYTE_0 src1_sel:DWORD
	v_or_b32_sdwa v171, v173, v171 dst_sel:WORD_1 dst_unused:UNUSED_PAD src0_sel:BYTE_0 src1_sel:DWORD
	v_or_b32_sdwa v173, v175, v171 dst_sel:DWORD dst_unused:UNUSED_PAD src0_sel:WORD_0 src1_sel:DWORD
	ds_read2_b32 v[174:175], v119 offset0:6 offset1:7
	s_waitcnt lgkmcnt(1)
	v_ashrrev_i32_e32 v192, s18, v192
	v_lshlrev_b32_e32 v192, 2, v192
	v_and_b32_e32 v192, 0x4040404, v192
	s_waitcnt lgkmcnt(0)
	v_ashrrev_i32_e32 v119, s22, v174
	v_add_u32_e32 v174, 0x4218, v176
	ds_read2_b32 v[176:177], v174 offset1:1
	v_and_b32_e32 v171, 0x3030303, v119
	v_bfe_u32 v119, v119, 24, 2
	s_waitcnt lgkmcnt(0)
	v_ashrrev_i32_e32 v174, s18, v176
	v_lshlrev_b32_e32 v174, 2, v174
	v_and_b32_e32 v174, 0x4040404, v174
	v_sub_u16_e32 v176, v171, v174
	v_sub_u16_sdwa v178, v171, v174 dst_sel:BYTE_1 dst_unused:UNUSED_PAD src0_sel:BYTE_1 src1_sel:BYTE_1
	v_sub_u16_sdwa v119, v119, v174 dst_sel:BYTE_1 dst_unused:UNUSED_PAD src0_sel:DWORD src1_sel:BYTE_3
	v_sub_u16_sdwa v171, v171, v174 dst_sel:DWORD dst_unused:UNUSED_PAD src0_sel:WORD_1 src1_sel:WORD_1
	v_or_b32_sdwa v176, v176, v178 dst_sel:DWORD dst_unused:UNUSED_PAD src0_sel:BYTE_0 src1_sel:DWORD
	v_or_b32_sdwa v119, v171, v119 dst_sel:WORD_1 dst_unused:UNUSED_PAD src0_sel:BYTE_0 src1_sel:DWORD
	v_or_b32_sdwa v174, v176, v119 dst_sel:DWORD dst_unused:UNUSED_PAD src0_sel:WORD_0 src1_sel:DWORD
	v_ashrrev_i32_e32 v119, s22, v175
	v_ashrrev_i32_e32 v175, s18, v177
	v_lshlrev_b32_e32 v175, 2, v175
	v_and_b32_e32 v171, 0x3030303, v119
	v_bfe_u32 v119, v119, 24, 2
	v_and_b32_e32 v175, 0x4040404, v175
	v_sub_u16_e32 v176, v171, v175
	v_sub_u16_sdwa v177, v171, v175 dst_sel:BYTE_1 dst_unused:UNUSED_PAD src0_sel:BYTE_1 src1_sel:BYTE_1
	v_sub_u16_sdwa v119, v119, v175 dst_sel:BYTE_1 dst_unused:UNUSED_PAD src0_sel:DWORD src1_sel:BYTE_3
	v_sub_u16_sdwa v171, v171, v175 dst_sel:DWORD dst_unused:UNUSED_PAD src0_sel:WORD_1 src1_sel:WORD_1
	v_or_b32_sdwa v176, v176, v177 dst_sel:DWORD dst_unused:UNUSED_PAD src0_sel:BYTE_0 src1_sel:DWORD
	v_or_b32_sdwa v119, v171, v119 dst_sel:WORD_1 dst_unused:UNUSED_PAD src0_sel:BYTE_0 src1_sel:DWORD
	v_or_b32_sdwa v175, v176, v119 dst_sel:DWORD dst_unused:UNUSED_PAD src0_sel:WORD_0 src1_sel:DWORD
	v_add3_u32 v119, v141, s21, v118
	v_add_u32_e32 v171, s25, v127
	ds_read_b32 v171, v171
	ds_read_u16 v119, v119 offset:8194
	v_mov_b32_e32 v177, 0
	v_dot4c_i32_i8_e32 v177, v167, v4
	v_dot4c_i32_i8_e32 v177, v168, v5
	;; [unrolled: 1-line block ×3, first 2 shown]
	s_waitcnt lgkmcnt(0)
	v_lshrrev_b16_e32 v178, 8, v119
	v_bfe_i32 v176, v119, 0, 8
	v_mov_b32_e32 v119, 0
	v_dot4c_i32_i8_e32 v119, v172, v0
	v_dot4c_i32_i8_e32 v119, v173, v1
	;; [unrolled: 1-line block ×5, first 2 shown]
	v_bfe_i32 v178, v178, 0, 8
	v_mul_lo_u32 v180, v177, v176
	s_nop 0
	v_mad_u64_u32 v[180:181], s[26:27], v119, v178, v[180:181]
	v_cvt_f32_i32_e32 v177, v180
	v_mul_f32_e32 v119, v116, v171
	v_fmac_f32_e32 v95, v119, v177
	v_add_u32_e32 v119, s24, v129
	ds_read2_b32 v[180:181], v119 offset1:1
	s_waitcnt lgkmcnt(0)
	v_ashrrev_i32_e32 v177, s22, v180
	v_add_u32_e32 v180, 0x4200, v188
	ds_read2_b32 v[182:183], v180 offset1:1
	v_and_b32_e32 v179, 0x3030303, v177
	v_bfe_u32 v177, v177, 24, 2
	s_waitcnt lgkmcnt(0)
	v_ashrrev_i32_e32 v180, s18, v182
	v_lshlrev_b32_e32 v180, 2, v180
	v_and_b32_e32 v180, 0x4040404, v180
	v_sub_u16_e32 v182, v179, v180
	v_sub_u16_sdwa v184, v179, v180 dst_sel:BYTE_1 dst_unused:UNUSED_PAD src0_sel:BYTE_1 src1_sel:BYTE_1
	v_sub_u16_sdwa v177, v177, v180 dst_sel:BYTE_1 dst_unused:UNUSED_PAD src0_sel:DWORD src1_sel:BYTE_3
	v_sub_u16_sdwa v179, v179, v180 dst_sel:DWORD dst_unused:UNUSED_PAD src0_sel:WORD_1 src1_sel:WORD_1
	v_or_b32_sdwa v177, v179, v177 dst_sel:WORD_1 dst_unused:UNUSED_PAD src0_sel:BYTE_0 src1_sel:DWORD
	v_ashrrev_i32_e32 v179, s22, v181
	v_ashrrev_i32_e32 v181, s18, v183
	v_lshlrev_b32_e32 v181, 2, v181
	v_or_b32_sdwa v182, v182, v184 dst_sel:DWORD dst_unused:UNUSED_PAD src0_sel:BYTE_0 src1_sel:DWORD
	v_and_b32_e32 v180, 0x3030303, v179
	v_bfe_u32 v179, v179, 24, 2
	v_and_b32_e32 v181, 0x4040404, v181
	v_or_b32_sdwa v177, v182, v177 dst_sel:DWORD dst_unused:UNUSED_PAD src0_sel:WORD_0 src1_sel:DWORD
	v_sub_u16_e32 v182, v180, v181
	v_sub_u16_sdwa v183, v180, v181 dst_sel:BYTE_1 dst_unused:UNUSED_PAD src0_sel:BYTE_1 src1_sel:BYTE_1
	v_sub_u16_sdwa v179, v179, v181 dst_sel:BYTE_1 dst_unused:UNUSED_PAD src0_sel:DWORD src1_sel:BYTE_3
	v_sub_u16_sdwa v180, v180, v181 dst_sel:DWORD dst_unused:UNUSED_PAD src0_sel:WORD_1 src1_sel:WORD_1
	v_or_b32_sdwa v182, v182, v183 dst_sel:DWORD dst_unused:UNUSED_PAD src0_sel:BYTE_0 src1_sel:DWORD
	v_or_b32_sdwa v179, v180, v179 dst_sel:WORD_1 dst_unused:UNUSED_PAD src0_sel:BYTE_0 src1_sel:DWORD
	v_or_b32_sdwa v179, v182, v179 dst_sel:DWORD dst_unused:UNUSED_PAD src0_sel:WORD_0 src1_sel:DWORD
	v_add_u32_e32 v182, 0x4208, v188
	ds_read2_b32 v[180:181], v119 offset0:2 offset1:3
	ds_read2_b32 v[182:183], v182 offset1:1
	s_waitcnt lgkmcnt(1)
	v_ashrrev_i32_e32 v180, s22, v180
	s_waitcnt lgkmcnt(0)
	v_ashrrev_i32_e32 v182, s18, v182
	v_lshlrev_b32_e32 v182, 2, v182
	v_and_b32_e32 v184, 0x3030303, v180
	v_bfe_u32 v180, v180, 24, 2
	v_and_b32_e32 v182, 0x4040404, v182
	v_ashrrev_i32_e32 v183, s18, v183
	v_sub_u16_e32 v185, v184, v182
	v_sub_u16_sdwa v186, v184, v182 dst_sel:BYTE_1 dst_unused:UNUSED_PAD src0_sel:BYTE_1 src1_sel:BYTE_1
	v_sub_u16_sdwa v180, v180, v182 dst_sel:BYTE_1 dst_unused:UNUSED_PAD src0_sel:DWORD src1_sel:BYTE_3
	v_sub_u16_sdwa v182, v184, v182 dst_sel:DWORD dst_unused:UNUSED_PAD src0_sel:WORD_1 src1_sel:WORD_1
	v_ashrrev_i32_e32 v181, s22, v181
	v_lshlrev_b32_e32 v183, 2, v183
	v_or_b32_sdwa v185, v185, v186 dst_sel:DWORD dst_unused:UNUSED_PAD src0_sel:BYTE_0 src1_sel:DWORD
	v_or_b32_sdwa v180, v182, v180 dst_sel:WORD_1 dst_unused:UNUSED_PAD src0_sel:BYTE_0 src1_sel:DWORD
	v_and_b32_e32 v182, 0x3030303, v181
	v_bfe_u32 v181, v181, 24, 2
	v_and_b32_e32 v183, 0x4040404, v183
	v_or_b32_sdwa v180, v185, v180 dst_sel:DWORD dst_unused:UNUSED_PAD src0_sel:WORD_0 src1_sel:DWORD
	v_sub_u16_e32 v184, v182, v183
	v_sub_u16_sdwa v185, v182, v183 dst_sel:BYTE_1 dst_unused:UNUSED_PAD src0_sel:BYTE_1 src1_sel:BYTE_1
	v_sub_u16_sdwa v181, v181, v183 dst_sel:BYTE_1 dst_unused:UNUSED_PAD src0_sel:DWORD src1_sel:BYTE_3
	v_sub_u16_sdwa v182, v182, v183 dst_sel:DWORD dst_unused:UNUSED_PAD src0_sel:WORD_1 src1_sel:WORD_1
	v_or_b32_sdwa v184, v184, v185 dst_sel:DWORD dst_unused:UNUSED_PAD src0_sel:BYTE_0 src1_sel:DWORD
	v_or_b32_sdwa v181, v182, v181 dst_sel:WORD_1 dst_unused:UNUSED_PAD src0_sel:BYTE_0 src1_sel:DWORD
	v_or_b32_sdwa v181, v184, v181 dst_sel:DWORD dst_unused:UNUSED_PAD src0_sel:WORD_0 src1_sel:DWORD
	v_add_u32_e32 v184, 0x4210, v188
	ds_read2_b32 v[182:183], v119 offset0:4 offset1:5
	ds_read2_b32 v[184:185], v184 offset1:1
	s_waitcnt lgkmcnt(1)
	v_ashrrev_i32_e32 v182, s22, v182
	s_waitcnt lgkmcnt(0)
	v_ashrrev_i32_e32 v184, s18, v184
	v_lshlrev_b32_e32 v184, 2, v184
	v_and_b32_e32 v186, 0x3030303, v182
	v_bfe_u32 v182, v182, 24, 2
	v_and_b32_e32 v184, 0x4040404, v184
	v_ashrrev_i32_e32 v185, s18, v185
	v_sub_u16_e32 v187, v186, v184
	v_sub_u16_sdwa v189, v186, v184 dst_sel:BYTE_1 dst_unused:UNUSED_PAD src0_sel:BYTE_1 src1_sel:BYTE_1
	v_sub_u16_sdwa v182, v182, v184 dst_sel:BYTE_1 dst_unused:UNUSED_PAD src0_sel:DWORD src1_sel:BYTE_3
	v_sub_u16_sdwa v184, v186, v184 dst_sel:DWORD dst_unused:UNUSED_PAD src0_sel:WORD_1 src1_sel:WORD_1
	v_ashrrev_i32_e32 v183, s22, v183
	v_lshlrev_b32_e32 v185, 2, v185
	v_or_b32_sdwa v187, v187, v189 dst_sel:DWORD dst_unused:UNUSED_PAD src0_sel:BYTE_0 src1_sel:DWORD
	v_or_b32_sdwa v182, v184, v182 dst_sel:WORD_1 dst_unused:UNUSED_PAD src0_sel:BYTE_0 src1_sel:DWORD
	v_and_b32_e32 v184, 0x3030303, v183
	v_bfe_u32 v183, v183, 24, 2
	v_and_b32_e32 v185, 0x4040404, v185
	v_or_b32_sdwa v182, v187, v182 dst_sel:DWORD dst_unused:UNUSED_PAD src0_sel:WORD_0 src1_sel:DWORD
	v_sub_u16_e32 v186, v184, v185
	v_sub_u16_sdwa v187, v184, v185 dst_sel:BYTE_1 dst_unused:UNUSED_PAD src0_sel:BYTE_1 src1_sel:BYTE_1
	v_sub_u16_sdwa v183, v183, v185 dst_sel:BYTE_1 dst_unused:UNUSED_PAD src0_sel:DWORD src1_sel:BYTE_3
	v_sub_u16_sdwa v184, v184, v185 dst_sel:DWORD dst_unused:UNUSED_PAD src0_sel:WORD_1 src1_sel:WORD_1
	v_or_b32_sdwa v186, v186, v187 dst_sel:DWORD dst_unused:UNUSED_PAD src0_sel:BYTE_0 src1_sel:DWORD
	v_or_b32_sdwa v183, v184, v183 dst_sel:WORD_1 dst_unused:UNUSED_PAD src0_sel:BYTE_0 src1_sel:DWORD
	v_add_u32_e32 v185, 0x4218, v188
	v_or_b32_sdwa v184, v186, v183 dst_sel:DWORD dst_unused:UNUSED_PAD src0_sel:WORD_0 src1_sel:DWORD
	ds_read2_b32 v[186:187], v119 offset0:6 offset1:7
	ds_read2_b32 v[188:189], v185 offset1:1
	s_waitcnt lgkmcnt(1)
	v_ashrrev_i32_e32 v119, s22, v186
	s_waitcnt lgkmcnt(0)
	v_ashrrev_i32_e32 v185, s18, v188
	v_lshlrev_b32_e32 v185, 2, v185
	v_and_b32_e32 v183, 0x3030303, v119
	v_bfe_u32 v119, v119, 24, 2
	v_and_b32_e32 v185, 0x4040404, v185
	v_sub_u16_e32 v186, v183, v185
	v_sub_u16_sdwa v188, v183, v185 dst_sel:BYTE_1 dst_unused:UNUSED_PAD src0_sel:BYTE_1 src1_sel:BYTE_1
	v_sub_u16_sdwa v119, v119, v185 dst_sel:BYTE_1 dst_unused:UNUSED_PAD src0_sel:DWORD src1_sel:BYTE_3
	v_sub_u16_sdwa v183, v183, v185 dst_sel:DWORD dst_unused:UNUSED_PAD src0_sel:WORD_1 src1_sel:WORD_1
	v_or_b32_sdwa v186, v186, v188 dst_sel:DWORD dst_unused:UNUSED_PAD src0_sel:BYTE_0 src1_sel:DWORD
	v_or_b32_sdwa v119, v183, v119 dst_sel:WORD_1 dst_unused:UNUSED_PAD src0_sel:BYTE_0 src1_sel:DWORD
	v_or_b32_sdwa v185, v186, v119 dst_sel:DWORD dst_unused:UNUSED_PAD src0_sel:WORD_0 src1_sel:DWORD
	v_ashrrev_i32_e32 v186, s18, v189
	v_ashrrev_i32_e32 v119, s22, v187
	v_lshlrev_b32_e32 v186, 2, v186
	v_and_b32_e32 v183, 0x3030303, v119
	v_bfe_u32 v119, v119, 24, 2
	v_and_b32_e32 v186, 0x4040404, v186
	v_sub_u16_e32 v187, v183, v186
	v_sub_u16_sdwa v188, v183, v186 dst_sel:BYTE_1 dst_unused:UNUSED_PAD src0_sel:BYTE_1 src1_sel:BYTE_1
	v_sub_u16_sdwa v119, v119, v186 dst_sel:BYTE_1 dst_unused:UNUSED_PAD src0_sel:DWORD src1_sel:BYTE_3
	v_sub_u16_sdwa v183, v183, v186 dst_sel:DWORD dst_unused:UNUSED_PAD src0_sel:WORD_1 src1_sel:WORD_1
	v_or_b32_sdwa v187, v187, v188 dst_sel:DWORD dst_unused:UNUSED_PAD src0_sel:BYTE_0 src1_sel:DWORD
	v_or_b32_sdwa v119, v183, v119 dst_sel:WORD_1 dst_unused:UNUSED_PAD src0_sel:BYTE_0 src1_sel:DWORD
	v_or_b32_sdwa v186, v187, v119 dst_sel:DWORD dst_unused:UNUSED_PAD src0_sel:WORD_0 src1_sel:DWORD
	v_add3_u32 v119, v143, s21, v118
	v_add_u32_e32 v183, s25, v130
	ds_read_b32 v183, v183
	ds_read_u16 v119, v119 offset:9218
	v_mov_b32_e32 v188, 0
	v_dot4c_i32_i8_e32 v188, v177, v4
	v_dot4c_i32_i8_e32 v188, v179, v5
	;; [unrolled: 1-line block ×3, first 2 shown]
	s_waitcnt lgkmcnt(0)
	v_lshrrev_b16_e32 v189, 8, v119
	v_bfe_i32 v187, v119, 0, 8
	v_mov_b32_e32 v119, 0
	v_dot4c_i32_i8_e32 v119, v182, v0
	v_dot4c_i32_i8_e32 v119, v184, v1
	;; [unrolled: 1-line block ×5, first 2 shown]
	v_bfe_i32 v189, v189, 0, 8
	v_mul_lo_u32 v188, v188, v187
	s_nop 0
	v_mad_u64_u32 v[190:191], s[26:27], v119, v189, v[188:189]
	v_cvt_f32_i32_e32 v188, v190
	v_mul_f32_e32 v119, v116, v183
	v_fmac_f32_e32 v83, v119, v188
	v_add_u32_e32 v119, s24, v132
	ds_read2_b32 v[190:191], v119 offset1:1
	s_waitcnt lgkmcnt(0)
	v_ashrrev_i32_e32 v188, s22, v190
	v_and_b32_e32 v190, 0x3030303, v188
	v_bfe_u32 v188, v188, 24, 2
	v_sub_u16_e32 v194, v190, v192
	v_sub_u16_sdwa v195, v190, v192 dst_sel:BYTE_1 dst_unused:UNUSED_PAD src0_sel:BYTE_1 src1_sel:BYTE_1
	v_sub_u16_sdwa v188, v188, v192 dst_sel:BYTE_1 dst_unused:UNUSED_PAD src0_sel:DWORD src1_sel:BYTE_3
	v_sub_u16_sdwa v190, v190, v192 dst_sel:DWORD dst_unused:UNUSED_PAD src0_sel:WORD_1 src1_sel:WORD_1
	v_ashrrev_i32_e32 v192, s18, v193
	v_or_b32_sdwa v188, v190, v188 dst_sel:WORD_1 dst_unused:UNUSED_PAD src0_sel:BYTE_0 src1_sel:DWORD
	v_ashrrev_i32_e32 v190, s22, v191
	v_lshlrev_b32_e32 v192, 2, v192
	v_or_b32_sdwa v194, v194, v195 dst_sel:DWORD dst_unused:UNUSED_PAD src0_sel:BYTE_0 src1_sel:DWORD
	v_and_b32_e32 v191, 0x3030303, v190
	v_bfe_u32 v190, v190, 24, 2
	v_and_b32_e32 v192, 0x4040404, v192
	v_or_b32_sdwa v188, v194, v188 dst_sel:DWORD dst_unused:UNUSED_PAD src0_sel:WORD_0 src1_sel:DWORD
	v_sub_u16_e32 v193, v191, v192
	v_sub_u16_sdwa v194, v191, v192 dst_sel:BYTE_1 dst_unused:UNUSED_PAD src0_sel:BYTE_1 src1_sel:BYTE_1
	v_sub_u16_sdwa v190, v190, v192 dst_sel:BYTE_1 dst_unused:UNUSED_PAD src0_sel:DWORD src1_sel:BYTE_3
	v_sub_u16_sdwa v191, v191, v192 dst_sel:DWORD dst_unused:UNUSED_PAD src0_sel:WORD_1 src1_sel:WORD_1
	v_or_b32_sdwa v193, v193, v194 dst_sel:DWORD dst_unused:UNUSED_PAD src0_sel:BYTE_0 src1_sel:DWORD
	v_or_b32_sdwa v190, v191, v190 dst_sel:WORD_1 dst_unused:UNUSED_PAD src0_sel:BYTE_0 src1_sel:DWORD
	v_add_u32_e32 v194, 0x4208, v198
	v_or_b32_sdwa v190, v193, v190 dst_sel:DWORD dst_unused:UNUSED_PAD src0_sel:WORD_0 src1_sel:DWORD
	ds_read2_b32 v[192:193], v119 offset0:2 offset1:3
	ds_read2_b32 v[194:195], v194 offset1:1
	s_waitcnt lgkmcnt(1)
	v_ashrrev_i32_e32 v191, s22, v192
	s_waitcnt lgkmcnt(0)
	v_ashrrev_i32_e32 v194, s18, v194
	v_lshlrev_b32_e32 v194, 2, v194
	v_and_b32_e32 v192, 0x3030303, v191
	v_bfe_u32 v191, v191, 24, 2
	v_and_b32_e32 v194, 0x4040404, v194
	v_sub_u16_e32 v196, v192, v194
	v_sub_u16_sdwa v197, v192, v194 dst_sel:BYTE_1 dst_unused:UNUSED_PAD src0_sel:BYTE_1 src1_sel:BYTE_1
	v_sub_u16_sdwa v191, v191, v194 dst_sel:BYTE_1 dst_unused:UNUSED_PAD src0_sel:DWORD src1_sel:BYTE_3
	v_sub_u16_sdwa v192, v192, v194 dst_sel:DWORD dst_unused:UNUSED_PAD src0_sel:WORD_1 src1_sel:WORD_1
	v_ashrrev_i32_e32 v194, s18, v195
	v_or_b32_sdwa v191, v192, v191 dst_sel:WORD_1 dst_unused:UNUSED_PAD src0_sel:BYTE_0 src1_sel:DWORD
	v_ashrrev_i32_e32 v192, s22, v193
	v_lshlrev_b32_e32 v194, 2, v194
	v_or_b32_sdwa v196, v196, v197 dst_sel:DWORD dst_unused:UNUSED_PAD src0_sel:BYTE_0 src1_sel:DWORD
	v_and_b32_e32 v193, 0x3030303, v192
	v_bfe_u32 v192, v192, 24, 2
	v_and_b32_e32 v194, 0x4040404, v194
	v_or_b32_sdwa v191, v196, v191 dst_sel:DWORD dst_unused:UNUSED_PAD src0_sel:WORD_0 src1_sel:DWORD
	v_sub_u16_e32 v195, v193, v194
	v_sub_u16_sdwa v196, v193, v194 dst_sel:BYTE_1 dst_unused:UNUSED_PAD src0_sel:BYTE_1 src1_sel:BYTE_1
	v_sub_u16_sdwa v192, v192, v194 dst_sel:BYTE_1 dst_unused:UNUSED_PAD src0_sel:DWORD src1_sel:BYTE_3
	v_sub_u16_sdwa v193, v193, v194 dst_sel:DWORD dst_unused:UNUSED_PAD src0_sel:WORD_1 src1_sel:WORD_1
	v_or_b32_sdwa v195, v195, v196 dst_sel:DWORD dst_unused:UNUSED_PAD src0_sel:BYTE_0 src1_sel:DWORD
	v_or_b32_sdwa v192, v193, v192 dst_sel:WORD_1 dst_unused:UNUSED_PAD src0_sel:BYTE_0 src1_sel:DWORD
	v_add_u32_e32 v196, 0x4210, v198
	v_or_b32_sdwa v192, v195, v192 dst_sel:DWORD dst_unused:UNUSED_PAD src0_sel:WORD_0 src1_sel:DWORD
	ds_read2_b32 v[194:195], v119 offset0:4 offset1:5
	ds_read2_b32 v[196:197], v196 offset1:1
	s_waitcnt lgkmcnt(1)
	v_ashrrev_i32_e32 v193, s22, v194
	s_waitcnt lgkmcnt(0)
	v_ashrrev_i32_e32 v196, s18, v196
	v_lshlrev_b32_e32 v196, 2, v196
	v_and_b32_e32 v194, 0x3030303, v193
	v_bfe_u32 v193, v193, 24, 2
	v_and_b32_e32 v196, 0x4040404, v196
	v_sub_u16_e32 v199, v194, v196
	v_sub_u16_sdwa v200, v194, v196 dst_sel:BYTE_1 dst_unused:UNUSED_PAD src0_sel:BYTE_1 src1_sel:BYTE_1
	v_sub_u16_sdwa v193, v193, v196 dst_sel:BYTE_1 dst_unused:UNUSED_PAD src0_sel:DWORD src1_sel:BYTE_3
	v_sub_u16_sdwa v194, v194, v196 dst_sel:DWORD dst_unused:UNUSED_PAD src0_sel:WORD_1 src1_sel:WORD_1
	v_ashrrev_i32_e32 v196, s18, v197
	v_or_b32_sdwa v193, v194, v193 dst_sel:WORD_1 dst_unused:UNUSED_PAD src0_sel:BYTE_0 src1_sel:DWORD
	v_ashrrev_i32_e32 v194, s22, v195
	v_lshlrev_b32_e32 v196, 2, v196
	v_or_b32_sdwa v199, v199, v200 dst_sel:DWORD dst_unused:UNUSED_PAD src0_sel:BYTE_0 src1_sel:DWORD
	v_and_b32_e32 v195, 0x3030303, v194
	v_bfe_u32 v194, v194, 24, 2
	v_and_b32_e32 v196, 0x4040404, v196
	v_or_b32_sdwa v193, v199, v193 dst_sel:DWORD dst_unused:UNUSED_PAD src0_sel:WORD_0 src1_sel:DWORD
	v_sub_u16_e32 v197, v195, v196
	v_sub_u16_sdwa v199, v195, v196 dst_sel:BYTE_1 dst_unused:UNUSED_PAD src0_sel:BYTE_1 src1_sel:BYTE_1
	v_sub_u16_sdwa v194, v194, v196 dst_sel:BYTE_1 dst_unused:UNUSED_PAD src0_sel:DWORD src1_sel:BYTE_3
	v_sub_u16_sdwa v195, v195, v196 dst_sel:DWORD dst_unused:UNUSED_PAD src0_sel:WORD_1 src1_sel:WORD_1
	v_or_b32_sdwa v197, v197, v199 dst_sel:DWORD dst_unused:UNUSED_PAD src0_sel:BYTE_0 src1_sel:DWORD
	v_or_b32_sdwa v194, v195, v194 dst_sel:WORD_1 dst_unused:UNUSED_PAD src0_sel:BYTE_0 src1_sel:DWORD
	v_or_b32_sdwa v195, v197, v194 dst_sel:DWORD dst_unused:UNUSED_PAD src0_sel:WORD_0 src1_sel:DWORD
	ds_read2_b32 v[196:197], v119 offset0:6 offset1:7
	s_waitcnt lgkmcnt(0)
	v_ashrrev_i32_e32 v119, s22, v196
	v_add_u32_e32 v196, 0x4218, v198
	ds_read2_b32 v[198:199], v196 offset1:1
	v_and_b32_e32 v194, 0x3030303, v119
	v_bfe_u32 v119, v119, 24, 2
	s_waitcnt lgkmcnt(0)
	v_ashrrev_i32_e32 v196, s18, v198
	v_lshlrev_b32_e32 v196, 2, v196
	v_and_b32_e32 v196, 0x4040404, v196
	v_sub_u16_e32 v198, v194, v196
	v_sub_u16_sdwa v200, v194, v196 dst_sel:BYTE_1 dst_unused:UNUSED_PAD src0_sel:BYTE_1 src1_sel:BYTE_1
	v_sub_u16_sdwa v119, v119, v196 dst_sel:BYTE_1 dst_unused:UNUSED_PAD src0_sel:DWORD src1_sel:BYTE_3
	v_sub_u16_sdwa v194, v194, v196 dst_sel:DWORD dst_unused:UNUSED_PAD src0_sel:WORD_1 src1_sel:WORD_1
	v_or_b32_sdwa v198, v198, v200 dst_sel:DWORD dst_unused:UNUSED_PAD src0_sel:BYTE_0 src1_sel:DWORD
	v_or_b32_sdwa v119, v194, v119 dst_sel:WORD_1 dst_unused:UNUSED_PAD src0_sel:BYTE_0 src1_sel:DWORD
	v_or_b32_sdwa v196, v198, v119 dst_sel:DWORD dst_unused:UNUSED_PAD src0_sel:WORD_0 src1_sel:DWORD
	v_ashrrev_i32_e32 v119, s22, v197
	v_ashrrev_i32_e32 v197, s18, v199
	v_lshlrev_b32_e32 v197, 2, v197
	v_and_b32_e32 v194, 0x3030303, v119
	v_bfe_u32 v119, v119, 24, 2
	v_and_b32_e32 v197, 0x4040404, v197
	v_sub_u16_e32 v198, v194, v197
	v_sub_u16_sdwa v199, v194, v197 dst_sel:BYTE_1 dst_unused:UNUSED_PAD src0_sel:BYTE_1 src1_sel:BYTE_1
	v_sub_u16_sdwa v119, v119, v197 dst_sel:BYTE_1 dst_unused:UNUSED_PAD src0_sel:DWORD src1_sel:BYTE_3
	v_sub_u16_sdwa v194, v194, v197 dst_sel:DWORD dst_unused:UNUSED_PAD src0_sel:WORD_1 src1_sel:WORD_1
	v_or_b32_sdwa v198, v198, v199 dst_sel:DWORD dst_unused:UNUSED_PAD src0_sel:BYTE_0 src1_sel:DWORD
	v_or_b32_sdwa v119, v194, v119 dst_sel:WORD_1 dst_unused:UNUSED_PAD src0_sel:BYTE_0 src1_sel:DWORD
	v_or_b32_sdwa v197, v198, v119 dst_sel:DWORD dst_unused:UNUSED_PAD src0_sel:WORD_0 src1_sel:DWORD
	v_add3_u32 v119, v145, s21, v118
	v_add_u32_e32 v194, s25, v133
	ds_read_b32 v194, v194
	ds_read_u16 v119, v119 offset:10242
	v_mov_b32_e32 v199, 0
	v_dot4c_i32_i8_e32 v199, v188, v4
	v_dot4c_i32_i8_e32 v199, v190, v5
	;; [unrolled: 1-line block ×3, first 2 shown]
	s_waitcnt lgkmcnt(0)
	v_lshrrev_b16_e32 v200, 8, v119
	v_bfe_i32 v198, v119, 0, 8
	v_mov_b32_e32 v119, 0
	v_dot4c_i32_i8_e32 v119, v193, v0
	v_dot4c_i32_i8_e32 v119, v195, v1
	;; [unrolled: 1-line block ×5, first 2 shown]
	v_bfe_i32 v200, v200, 0, 8
	v_mul_lo_u32 v202, v199, v198
	v_add3_u32 v118, v147, s21, v118
	v_mad_u64_u32 v[202:203], s[26:27], v119, v200, v[202:203]
	v_cvt_f32_i32_e32 v199, v202
	v_mul_f32_e32 v119, v116, v194
	s_mov_b32 s21, s20
	v_fmac_f32_e32 v81, v119, v199
	v_add_u32_e32 v119, s24, v135
	ds_read2_b32 v[202:203], v119 offset1:1
	s_waitcnt lgkmcnt(0)
	v_ashrrev_i32_e32 v199, s22, v202
	v_add_u32_e32 v202, 0x4200, v210
	ds_read2_b32 v[204:205], v202 offset1:1
	v_and_b32_e32 v201, 0x3030303, v199
	v_bfe_u32 v199, v199, 24, 2
	s_waitcnt lgkmcnt(0)
	v_ashrrev_i32_e32 v202, s18, v204
	v_lshlrev_b32_e32 v202, 2, v202
	v_and_b32_e32 v202, 0x4040404, v202
	v_sub_u16_e32 v204, v201, v202
	v_sub_u16_sdwa v206, v201, v202 dst_sel:BYTE_1 dst_unused:UNUSED_PAD src0_sel:BYTE_1 src1_sel:BYTE_1
	v_sub_u16_sdwa v199, v199, v202 dst_sel:BYTE_1 dst_unused:UNUSED_PAD src0_sel:DWORD src1_sel:BYTE_3
	v_sub_u16_sdwa v201, v201, v202 dst_sel:DWORD dst_unused:UNUSED_PAD src0_sel:WORD_1 src1_sel:WORD_1
	v_or_b32_sdwa v199, v201, v199 dst_sel:WORD_1 dst_unused:UNUSED_PAD src0_sel:BYTE_0 src1_sel:DWORD
	v_ashrrev_i32_e32 v201, s22, v203
	v_ashrrev_i32_e32 v203, s18, v205
	v_lshlrev_b32_e32 v203, 2, v203
	v_or_b32_sdwa v204, v204, v206 dst_sel:DWORD dst_unused:UNUSED_PAD src0_sel:BYTE_0 src1_sel:DWORD
	v_and_b32_e32 v202, 0x3030303, v201
	v_bfe_u32 v201, v201, 24, 2
	v_and_b32_e32 v203, 0x4040404, v203
	v_or_b32_sdwa v199, v204, v199 dst_sel:DWORD dst_unused:UNUSED_PAD src0_sel:WORD_0 src1_sel:DWORD
	v_sub_u16_e32 v204, v202, v203
	v_sub_u16_sdwa v205, v202, v203 dst_sel:BYTE_1 dst_unused:UNUSED_PAD src0_sel:BYTE_1 src1_sel:BYTE_1
	v_sub_u16_sdwa v201, v201, v203 dst_sel:BYTE_1 dst_unused:UNUSED_PAD src0_sel:DWORD src1_sel:BYTE_3
	v_sub_u16_sdwa v202, v202, v203 dst_sel:DWORD dst_unused:UNUSED_PAD src0_sel:WORD_1 src1_sel:WORD_1
	v_or_b32_sdwa v204, v204, v205 dst_sel:DWORD dst_unused:UNUSED_PAD src0_sel:BYTE_0 src1_sel:DWORD
	v_or_b32_sdwa v201, v202, v201 dst_sel:WORD_1 dst_unused:UNUSED_PAD src0_sel:BYTE_0 src1_sel:DWORD
	v_or_b32_sdwa v201, v204, v201 dst_sel:DWORD dst_unused:UNUSED_PAD src0_sel:WORD_0 src1_sel:DWORD
	v_add_u32_e32 v204, 0x4208, v210
	ds_read2_b32 v[202:203], v119 offset0:2 offset1:3
	ds_read2_b32 v[204:205], v204 offset1:1
	s_waitcnt lgkmcnt(1)
	v_ashrrev_i32_e32 v202, s22, v202
	s_waitcnt lgkmcnt(0)
	v_ashrrev_i32_e32 v204, s18, v204
	v_lshlrev_b32_e32 v204, 2, v204
	v_and_b32_e32 v206, 0x3030303, v202
	v_bfe_u32 v202, v202, 24, 2
	v_and_b32_e32 v204, 0x4040404, v204
	v_ashrrev_i32_e32 v205, s18, v205
	v_sub_u16_e32 v207, v206, v204
	v_sub_u16_sdwa v208, v206, v204 dst_sel:BYTE_1 dst_unused:UNUSED_PAD src0_sel:BYTE_1 src1_sel:BYTE_1
	v_sub_u16_sdwa v202, v202, v204 dst_sel:BYTE_1 dst_unused:UNUSED_PAD src0_sel:DWORD src1_sel:BYTE_3
	v_sub_u16_sdwa v204, v206, v204 dst_sel:DWORD dst_unused:UNUSED_PAD src0_sel:WORD_1 src1_sel:WORD_1
	v_ashrrev_i32_e32 v203, s22, v203
	v_lshlrev_b32_e32 v205, 2, v205
	v_or_b32_sdwa v207, v207, v208 dst_sel:DWORD dst_unused:UNUSED_PAD src0_sel:BYTE_0 src1_sel:DWORD
	v_or_b32_sdwa v202, v204, v202 dst_sel:WORD_1 dst_unused:UNUSED_PAD src0_sel:BYTE_0 src1_sel:DWORD
	v_and_b32_e32 v204, 0x3030303, v203
	v_bfe_u32 v203, v203, 24, 2
	v_and_b32_e32 v205, 0x4040404, v205
	v_or_b32_sdwa v202, v207, v202 dst_sel:DWORD dst_unused:UNUSED_PAD src0_sel:WORD_0 src1_sel:DWORD
	v_sub_u16_e32 v206, v204, v205
	v_sub_u16_sdwa v207, v204, v205 dst_sel:BYTE_1 dst_unused:UNUSED_PAD src0_sel:BYTE_1 src1_sel:BYTE_1
	v_sub_u16_sdwa v203, v203, v205 dst_sel:BYTE_1 dst_unused:UNUSED_PAD src0_sel:DWORD src1_sel:BYTE_3
	v_sub_u16_sdwa v204, v204, v205 dst_sel:DWORD dst_unused:UNUSED_PAD src0_sel:WORD_1 src1_sel:WORD_1
	v_or_b32_sdwa v206, v206, v207 dst_sel:DWORD dst_unused:UNUSED_PAD src0_sel:BYTE_0 src1_sel:DWORD
	v_or_b32_sdwa v203, v204, v203 dst_sel:WORD_1 dst_unused:UNUSED_PAD src0_sel:BYTE_0 src1_sel:DWORD
	v_or_b32_sdwa v203, v206, v203 dst_sel:DWORD dst_unused:UNUSED_PAD src0_sel:WORD_0 src1_sel:DWORD
	v_add_u32_e32 v206, 0x4210, v210
	ds_read2_b32 v[204:205], v119 offset0:4 offset1:5
	ds_read2_b32 v[206:207], v206 offset1:1
	s_waitcnt lgkmcnt(1)
	v_ashrrev_i32_e32 v204, s22, v204
	s_waitcnt lgkmcnt(0)
	v_ashrrev_i32_e32 v206, s18, v206
	v_lshlrev_b32_e32 v206, 2, v206
	v_and_b32_e32 v208, 0x3030303, v204
	v_bfe_u32 v204, v204, 24, 2
	v_and_b32_e32 v206, 0x4040404, v206
	v_ashrrev_i32_e32 v207, s18, v207
	v_sub_u16_e32 v209, v208, v206
	v_sub_u16_sdwa v211, v208, v206 dst_sel:BYTE_1 dst_unused:UNUSED_PAD src0_sel:BYTE_1 src1_sel:BYTE_1
	v_sub_u16_sdwa v204, v204, v206 dst_sel:BYTE_1 dst_unused:UNUSED_PAD src0_sel:DWORD src1_sel:BYTE_3
	v_sub_u16_sdwa v206, v208, v206 dst_sel:DWORD dst_unused:UNUSED_PAD src0_sel:WORD_1 src1_sel:WORD_1
	v_ashrrev_i32_e32 v205, s22, v205
	v_lshlrev_b32_e32 v207, 2, v207
	v_or_b32_sdwa v209, v209, v211 dst_sel:DWORD dst_unused:UNUSED_PAD src0_sel:BYTE_0 src1_sel:DWORD
	v_or_b32_sdwa v204, v206, v204 dst_sel:WORD_1 dst_unused:UNUSED_PAD src0_sel:BYTE_0 src1_sel:DWORD
	v_and_b32_e32 v206, 0x3030303, v205
	v_bfe_u32 v205, v205, 24, 2
	v_and_b32_e32 v207, 0x4040404, v207
	v_or_b32_sdwa v204, v209, v204 dst_sel:DWORD dst_unused:UNUSED_PAD src0_sel:WORD_0 src1_sel:DWORD
	v_sub_u16_e32 v208, v206, v207
	v_sub_u16_sdwa v209, v206, v207 dst_sel:BYTE_1 dst_unused:UNUSED_PAD src0_sel:BYTE_1 src1_sel:BYTE_1
	v_sub_u16_sdwa v205, v205, v207 dst_sel:BYTE_1 dst_unused:UNUSED_PAD src0_sel:DWORD src1_sel:BYTE_3
	v_sub_u16_sdwa v206, v206, v207 dst_sel:DWORD dst_unused:UNUSED_PAD src0_sel:WORD_1 src1_sel:WORD_1
	v_or_b32_sdwa v208, v208, v209 dst_sel:DWORD dst_unused:UNUSED_PAD src0_sel:BYTE_0 src1_sel:DWORD
	v_or_b32_sdwa v205, v206, v205 dst_sel:WORD_1 dst_unused:UNUSED_PAD src0_sel:BYTE_0 src1_sel:DWORD
	v_add_u32_e32 v207, 0x4218, v210
	v_or_b32_sdwa v206, v208, v205 dst_sel:DWORD dst_unused:UNUSED_PAD src0_sel:WORD_0 src1_sel:DWORD
	ds_read2_b32 v[208:209], v119 offset0:6 offset1:7
	ds_read2_b32 v[210:211], v207 offset1:1
	s_waitcnt lgkmcnt(1)
	v_ashrrev_i32_e32 v119, s22, v208
	s_waitcnt lgkmcnt(0)
	v_ashrrev_i32_e32 v207, s18, v210
	v_lshlrev_b32_e32 v207, 2, v207
	v_and_b32_e32 v205, 0x3030303, v119
	v_bfe_u32 v119, v119, 24, 2
	v_and_b32_e32 v207, 0x4040404, v207
	v_sub_u16_e32 v208, v205, v207
	v_sub_u16_sdwa v210, v205, v207 dst_sel:BYTE_1 dst_unused:UNUSED_PAD src0_sel:BYTE_1 src1_sel:BYTE_1
	v_sub_u16_sdwa v119, v119, v207 dst_sel:BYTE_1 dst_unused:UNUSED_PAD src0_sel:DWORD src1_sel:BYTE_3
	v_sub_u16_sdwa v205, v205, v207 dst_sel:DWORD dst_unused:UNUSED_PAD src0_sel:WORD_1 src1_sel:WORD_1
	v_or_b32_sdwa v208, v208, v210 dst_sel:DWORD dst_unused:UNUSED_PAD src0_sel:BYTE_0 src1_sel:DWORD
	v_or_b32_sdwa v119, v205, v119 dst_sel:WORD_1 dst_unused:UNUSED_PAD src0_sel:BYTE_0 src1_sel:DWORD
	v_or_b32_sdwa v207, v208, v119 dst_sel:DWORD dst_unused:UNUSED_PAD src0_sel:WORD_0 src1_sel:DWORD
	v_ashrrev_i32_e32 v208, s18, v211
	v_ashrrev_i32_e32 v119, s22, v209
	v_lshlrev_b32_e32 v208, 2, v208
	v_and_b32_e32 v205, 0x3030303, v119
	v_bfe_u32 v119, v119, 24, 2
	v_and_b32_e32 v208, 0x4040404, v208
	v_sub_u16_e32 v209, v205, v208
	v_sub_u16_sdwa v210, v205, v208 dst_sel:BYTE_1 dst_unused:UNUSED_PAD src0_sel:BYTE_1 src1_sel:BYTE_1
	v_sub_u16_sdwa v119, v119, v208 dst_sel:BYTE_1 dst_unused:UNUSED_PAD src0_sel:DWORD src1_sel:BYTE_3
	v_sub_u16_sdwa v205, v205, v208 dst_sel:DWORD dst_unused:UNUSED_PAD src0_sel:WORD_1 src1_sel:WORD_1
	v_or_b32_sdwa v209, v209, v210 dst_sel:DWORD dst_unused:UNUSED_PAD src0_sel:BYTE_0 src1_sel:DWORD
	v_or_b32_sdwa v119, v205, v119 dst_sel:WORD_1 dst_unused:UNUSED_PAD src0_sel:BYTE_0 src1_sel:DWORD
	v_or_b32_sdwa v208, v209, v119 dst_sel:DWORD dst_unused:UNUSED_PAD src0_sel:WORD_0 src1_sel:DWORD
	v_add_u32_e32 v119, s25, v136
	ds_read_b32 v205, v119
	v_mov_b32_e32 v119, 0
	v_dot4c_i32_i8_e32 v119, v199, v4
	ds_read_u16 v4, v118 offset:11266
	v_dot4c_i32_i8_e32 v119, v201, v5
	v_dot4c_i32_i8_e32 v119, v202, v6
	v_mov_b32_e32 v6, 0
	v_dot4c_i32_i8_e32 v6, v204, v0
	v_dot4c_i32_i8_e32 v6, v206, v1
	v_dot4c_i32_i8_e32 v119, v203, v7
	s_waitcnt lgkmcnt(0)
	v_lshrrev_b16_e32 v5, 8, v4
	v_bfe_i32 v209, v4, 0, 8
	v_dot4c_i32_i8_e32 v6, v207, v2
	v_mul_lo_u32 v4, v119, v209
	v_dot4c_i32_i8_e32 v6, v208, v3
	v_bfe_i32 v210, v5, 0, 8
	v_mov_b32_e32 v118, 0
	s_add_i32 s18, s18, 1
	v_mad_u64_u32 v[0:1], s[22:23], v6, v210, v[4:5]
	v_cvt_f32_i32_e32 v0, v0
	v_mul_f32_e32 v1, v116, v205
	v_mov_b32_e32 v116, 0
	s_cmp_lt_u32 s20, 14
	v_fmac_f32_e32 v79, v1, v0
	ds_read_b128 v[0:3], v165 offset:26368
	ds_read_b128 v[4:7], v165 offset:26384
	s_waitcnt lgkmcnt(1)
	v_dot4c_i32_i8_e32 v116, v167, v0
	v_dot4c_i32_i8_e32 v116, v168, v1
	s_waitcnt lgkmcnt(0)
	v_dot4c_i32_i8_e32 v118, v172, v4
	v_dot4c_i32_i8_e32 v116, v169, v2
	;; [unrolled: 1-line block ×6, first 2 shown]
	s_nop 0
	v_mul_lo_u32 v116, v116, v176
	s_nop 0
	v_mad_u64_u32 v[118:119], s[22:23], v118, v178, v[116:117]
	v_cvt_f32_i32_e32 v118, v118
	v_mul_f32_e32 v116, v171, v117
	v_fmac_f32_e32 v71, v116, v118
	v_mov_b32_e32 v116, 0
	v_dot4c_i32_i8_e32 v116, v177, v0
	v_mov_b32_e32 v118, 0
	v_dot4c_i32_i8_e32 v116, v179, v1
	v_dot4c_i32_i8_e32 v118, v182, v4
	;; [unrolled: 1-line block ×7, first 2 shown]
	s_nop 0
	v_mul_lo_u32 v116, v116, v187
	s_nop 0
	v_mad_u64_u32 v[118:119], s[22:23], v118, v189, v[116:117]
	v_cvt_f32_i32_e32 v118, v118
	v_mul_f32_e32 v116, v183, v117
	v_fmac_f32_e32 v69, v116, v118
	v_mov_b32_e32 v116, 0
	v_dot4c_i32_i8_e32 v116, v188, v0
	v_mov_b32_e32 v118, 0
	v_dot4c_i32_i8_e32 v116, v190, v1
	v_dot4c_i32_i8_e32 v118, v193, v4
	v_dot4c_i32_i8_e32 v116, v191, v2
	v_dot4c_i32_i8_e32 v118, v195, v5
	v_dot4c_i32_i8_e32 v116, v192, v3
	v_dot4c_i32_i8_e32 v118, v196, v6
	v_dot4c_i32_i8_e32 v118, v197, v7
	s_nop 0
	v_mul_lo_u32 v116, v116, v198
	s_nop 0
	v_mad_u64_u32 v[118:119], s[22:23], v118, v200, v[116:117]
	v_cvt_f32_i32_e32 v118, v118
	v_mul_f32_e32 v116, v194, v117
	v_fmac_f32_e32 v67, v116, v118
	v_mov_b32_e32 v116, 0
	v_dot4c_i32_i8_e32 v116, v199, v0
	v_dot4c_i32_i8_e32 v116, v201, v1
	v_mov_b32_e32 v1, 0
	v_dot4c_i32_i8_e32 v1, v204, v4
	v_dot4c_i32_i8_e32 v116, v202, v2
	;; [unrolled: 1-line block ×6, first 2 shown]
	s_nop 0
	v_mul_lo_u32 v0, v116, v209
	s_nop 0
	v_mad_u64_u32 v[0:1], s[22:23], v1, v210, v[0:1]
	v_cvt_f32_i32_e32 v0, v0
	v_mul_f32_e32 v1, v205, v117
	v_fmac_f32_e32 v65, v1, v0
	v_add_u32_e32 v0, 0x9800, v166
	ds_read2_b32 v[6:7], v0 offset0:40 offset1:72
	ds_read_b128 v[2:5], v165 offset:27392
	ds_read_b128 v[116:119], v165 offset:27408
	v_mov_b32_e32 v1, 0
	v_add_u32_e32 v166, 4, v166
	s_waitcnt lgkmcnt(1)
	v_dot4c_i32_i8_e32 v1, v167, v2
	v_dot4c_i32_i8_e32 v1, v168, v3
	;; [unrolled: 1-line block ×4, first 2 shown]
	s_nop 2
	v_mul_lo_u32 v212, v1, v176
	v_mov_b32_e32 v1, 0
	s_waitcnt lgkmcnt(0)
	v_dot4c_i32_i8_e32 v1, v172, v116
	v_dot4c_i32_i8_e32 v1, v173, v117
	;; [unrolled: 1-line block ×4, first 2 shown]
	s_nop 2
	v_mad_u64_u32 v[212:213], s[22:23], v1, v178, v[212:213]
	v_cvt_f32_i32_e32 v211, v212
	v_mul_f32_e32 v1, v171, v6
	v_fmac_f32_e32 v59, v1, v211
	v_mov_b32_e32 v1, 0
	v_dot4c_i32_i8_e32 v1, v177, v2
	v_dot4c_i32_i8_e32 v1, v179, v3
	v_dot4c_i32_i8_e32 v1, v180, v4
	v_dot4c_i32_i8_e32 v1, v181, v5
	s_nop 2
	v_mul_lo_u32 v212, v1, v187
	v_mov_b32_e32 v1, 0
	v_dot4c_i32_i8_e32 v1, v182, v116
	v_dot4c_i32_i8_e32 v1, v184, v117
	;; [unrolled: 1-line block ×4, first 2 shown]
	s_nop 2
	v_mad_u64_u32 v[212:213], s[22:23], v1, v189, v[212:213]
	v_cvt_f32_i32_e32 v211, v212
	v_mul_f32_e32 v1, v183, v6
	v_fmac_f32_e32 v57, v1, v211
	v_mov_b32_e32 v1, 0
	v_dot4c_i32_i8_e32 v1, v188, v2
	v_dot4c_i32_i8_e32 v1, v190, v3
	;; [unrolled: 1-line block ×4, first 2 shown]
	s_nop 2
	v_mul_lo_u32 v212, v1, v198
	v_mov_b32_e32 v1, 0
	v_dot4c_i32_i8_e32 v1, v193, v116
	v_dot4c_i32_i8_e32 v1, v195, v117
	;; [unrolled: 1-line block ×4, first 2 shown]
	s_nop 2
	v_mad_u64_u32 v[212:213], s[22:23], v1, v200, v[212:213]
	v_cvt_f32_i32_e32 v211, v212
	v_mul_f32_e32 v1, v194, v6
	v_fmac_f32_e32 v55, v1, v211
	v_mov_b32_e32 v1, 0
	v_dot4c_i32_i8_e32 v1, v199, v2
	v_dot4c_i32_i8_e32 v1, v201, v3
	;; [unrolled: 1-line block ×4, first 2 shown]
                                        ; kill: def $vgpr3 killed $sgpr0 killed $exec
	s_nop 2
	v_mul_lo_u32 v2, v1, v209
	v_mov_b32_e32 v1, 0
	v_dot4c_i32_i8_e32 v1, v204, v116
	v_dot4c_i32_i8_e32 v1, v206, v117
	;; [unrolled: 1-line block ×4, first 2 shown]
	s_nop 2
	v_mad_u64_u32 v[2:3], s[22:23], v1, v210, v[2:3]
	v_cvt_f32_i32_e32 v2, v2
	v_mul_f32_e32 v1, v205, v6
	v_fmac_f32_e32 v53, v1, v2
	ds_read_b128 v[2:5], v165 offset:28416
	ds_read_b128 v[116:119], v165 offset:28432
	v_mov_b32_e32 v1, 0
	s_waitcnt lgkmcnt(1)
	v_dot4c_i32_i8_e32 v1, v167, v2
	v_dot4c_i32_i8_e32 v1, v168, v3
	;; [unrolled: 1-line block ×4, first 2 shown]
	s_nop 2
	v_mul_lo_u32 v6, v1, v176
	v_mov_b32_e32 v1, 0
	s_waitcnt lgkmcnt(0)
	v_dot4c_i32_i8_e32 v1, v172, v116
	v_dot4c_i32_i8_e32 v1, v173, v117
	;; [unrolled: 1-line block ×4, first 2 shown]
	s_nop 2
	v_mad_u64_u32 v[212:213], s[22:23], v1, v178, v[6:7]
	v_cvt_f32_i32_e32 v6, v212
	v_mul_f32_e32 v1, v171, v7
	v_fmac_f32_e32 v51, v1, v6
	v_mov_b32_e32 v1, 0
	v_dot4c_i32_i8_e32 v1, v177, v2
	v_dot4c_i32_i8_e32 v1, v179, v3
	;; [unrolled: 1-line block ×4, first 2 shown]
	s_nop 2
	v_mul_lo_u32 v6, v1, v187
	v_mov_b32_e32 v1, 0
	v_dot4c_i32_i8_e32 v1, v182, v116
	v_dot4c_i32_i8_e32 v1, v184, v117
	;; [unrolled: 1-line block ×4, first 2 shown]
	s_nop 2
	v_mad_u64_u32 v[212:213], s[22:23], v1, v189, v[6:7]
	v_cvt_f32_i32_e32 v6, v212
	v_mul_f32_e32 v1, v183, v7
	v_fmac_f32_e32 v49, v1, v6
	v_mov_b32_e32 v1, 0
	v_dot4c_i32_i8_e32 v1, v188, v2
	v_dot4c_i32_i8_e32 v1, v190, v3
	;; [unrolled: 1-line block ×4, first 2 shown]
	s_nop 2
	v_mul_lo_u32 v6, v1, v198
	v_mov_b32_e32 v1, 0
	v_dot4c_i32_i8_e32 v1, v193, v116
	v_dot4c_i32_i8_e32 v1, v195, v117
	;; [unrolled: 1-line block ×4, first 2 shown]
	s_nop 2
	v_mad_u64_u32 v[212:213], s[22:23], v1, v200, v[6:7]
	v_cvt_f32_i32_e32 v6, v212
	v_mul_f32_e32 v1, v194, v7
	v_fmac_f32_e32 v47, v1, v6
	v_mov_b32_e32 v1, 0
	v_dot4c_i32_i8_e32 v1, v199, v2
	v_dot4c_i32_i8_e32 v1, v201, v3
	v_dot4c_i32_i8_e32 v1, v202, v4
	v_dot4c_i32_i8_e32 v1, v203, v5
                                        ; kill: def $vgpr3 killed $sgpr0 killed $exec
	s_nop 2
	v_mul_lo_u32 v2, v1, v209
	v_mov_b32_e32 v1, 0
	v_dot4c_i32_i8_e32 v1, v204, v116
	v_dot4c_i32_i8_e32 v1, v206, v117
	;; [unrolled: 1-line block ×4, first 2 shown]
	s_nop 2
	v_mad_u64_u32 v[2:3], s[22:23], v1, v210, v[2:3]
	v_cvt_f32_i32_e32 v2, v2
	v_mul_f32_e32 v1, v205, v7
	v_fmac_f32_e32 v45, v1, v2
	ds_read2_b32 v[6:7], v0 offset0:104 offset1:136
	ds_read_b128 v[2:5], v165 offset:29440
	ds_read_b128 v[116:119], v165 offset:29456
	v_mov_b32_e32 v1, 0
	s_waitcnt lgkmcnt(1)
	v_dot4c_i32_i8_e32 v1, v167, v2
	v_dot4c_i32_i8_e32 v1, v168, v3
	;; [unrolled: 1-line block ×4, first 2 shown]
	s_nop 2
	v_mul_lo_u32 v212, v1, v176
	v_mov_b32_e32 v1, 0
	s_waitcnt lgkmcnt(0)
	v_dot4c_i32_i8_e32 v1, v172, v116
	v_dot4c_i32_i8_e32 v1, v173, v117
	;; [unrolled: 1-line block ×4, first 2 shown]
	s_nop 2
	v_mad_u64_u32 v[212:213], s[22:23], v1, v178, v[212:213]
	v_cvt_f32_i32_e32 v211, v212
	v_mul_f32_e32 v1, v171, v6
	v_fmac_f32_e32 v43, v1, v211
	v_mov_b32_e32 v1, 0
	v_dot4c_i32_i8_e32 v1, v177, v2
	v_dot4c_i32_i8_e32 v1, v179, v3
	;; [unrolled: 1-line block ×4, first 2 shown]
	s_nop 2
	v_mul_lo_u32 v212, v1, v187
	v_mov_b32_e32 v1, 0
	v_dot4c_i32_i8_e32 v1, v182, v116
	v_dot4c_i32_i8_e32 v1, v184, v117
	;; [unrolled: 1-line block ×4, first 2 shown]
	s_nop 2
	v_mad_u64_u32 v[212:213], s[22:23], v1, v189, v[212:213]
	v_cvt_f32_i32_e32 v211, v212
	v_mul_f32_e32 v1, v183, v6
	v_fmac_f32_e32 v39, v1, v211
	v_mov_b32_e32 v1, 0
	v_dot4c_i32_i8_e32 v1, v188, v2
	v_dot4c_i32_i8_e32 v1, v190, v3
	;; [unrolled: 1-line block ×4, first 2 shown]
	s_nop 2
	v_mul_lo_u32 v212, v1, v198
	v_mov_b32_e32 v1, 0
	v_dot4c_i32_i8_e32 v1, v193, v116
	v_dot4c_i32_i8_e32 v1, v195, v117
	;; [unrolled: 1-line block ×4, first 2 shown]
	s_nop 2
	v_mad_u64_u32 v[212:213], s[22:23], v1, v200, v[212:213]
	v_cvt_f32_i32_e32 v211, v212
	v_mul_f32_e32 v1, v194, v6
	v_fmac_f32_e32 v35, v1, v211
	v_mov_b32_e32 v1, 0
	v_dot4c_i32_i8_e32 v1, v199, v2
	v_dot4c_i32_i8_e32 v1, v201, v3
	;; [unrolled: 1-line block ×4, first 2 shown]
                                        ; kill: def $vgpr3 killed $sgpr0 killed $exec
	s_nop 2
	v_mul_lo_u32 v2, v1, v209
	v_mov_b32_e32 v1, 0
	v_dot4c_i32_i8_e32 v1, v204, v116
	v_dot4c_i32_i8_e32 v1, v206, v117
	;; [unrolled: 1-line block ×4, first 2 shown]
	s_nop 2
	v_mad_u64_u32 v[2:3], s[22:23], v1, v210, v[2:3]
	v_cvt_f32_i32_e32 v2, v2
	v_mul_f32_e32 v1, v205, v6
	v_fmac_f32_e32 v33, v1, v2
	ds_read_b128 v[2:5], v165 offset:30464
	ds_read_b128 v[116:119], v165 offset:30480
	v_mov_b32_e32 v1, 0
	s_waitcnt lgkmcnt(1)
	v_dot4c_i32_i8_e32 v1, v167, v2
	v_dot4c_i32_i8_e32 v1, v168, v3
	;; [unrolled: 1-line block ×4, first 2 shown]
	s_nop 2
	v_mul_lo_u32 v6, v1, v176
	v_mov_b32_e32 v1, 0
	s_waitcnt lgkmcnt(0)
	v_dot4c_i32_i8_e32 v1, v172, v116
	v_dot4c_i32_i8_e32 v1, v173, v117
	;; [unrolled: 1-line block ×4, first 2 shown]
	s_nop 2
	v_mad_u64_u32 v[212:213], s[22:23], v1, v178, v[6:7]
	v_cvt_f32_i32_e32 v6, v212
	v_mul_f32_e32 v1, v171, v7
	v_fmac_f32_e32 v31, v1, v6
	v_mov_b32_e32 v1, 0
	v_dot4c_i32_i8_e32 v1, v177, v2
	v_dot4c_i32_i8_e32 v1, v179, v3
	;; [unrolled: 1-line block ×4, first 2 shown]
	s_nop 2
	v_mul_lo_u32 v6, v1, v187
	v_mov_b32_e32 v1, 0
	v_dot4c_i32_i8_e32 v1, v182, v116
	v_dot4c_i32_i8_e32 v1, v184, v117
	;; [unrolled: 1-line block ×4, first 2 shown]
	s_nop 2
	v_mad_u64_u32 v[212:213], s[22:23], v1, v189, v[6:7]
	v_cvt_f32_i32_e32 v6, v212
	v_mul_f32_e32 v1, v183, v7
	v_fmac_f32_e32 v29, v1, v6
	v_mov_b32_e32 v1, 0
	v_dot4c_i32_i8_e32 v1, v188, v2
	v_dot4c_i32_i8_e32 v1, v190, v3
	;; [unrolled: 1-line block ×4, first 2 shown]
	s_nop 2
	v_mul_lo_u32 v6, v1, v198
	v_mov_b32_e32 v1, 0
	v_dot4c_i32_i8_e32 v1, v193, v116
	v_dot4c_i32_i8_e32 v1, v195, v117
	v_dot4c_i32_i8_e32 v1, v196, v118
	v_dot4c_i32_i8_e32 v1, v197, v119
	s_nop 2
	v_mad_u64_u32 v[212:213], s[22:23], v1, v200, v[6:7]
	v_cvt_f32_i32_e32 v6, v212
	v_mul_f32_e32 v1, v194, v7
	v_fmac_f32_e32 v27, v1, v6
	v_mov_b32_e32 v1, 0
	v_dot4c_i32_i8_e32 v1, v199, v2
	v_dot4c_i32_i8_e32 v1, v201, v3
	;; [unrolled: 1-line block ×4, first 2 shown]
                                        ; kill: def $vgpr3 killed $sgpr0 killed $exec
	s_nop 2
	v_mul_lo_u32 v2, v1, v209
	v_mov_b32_e32 v1, 0
	v_dot4c_i32_i8_e32 v1, v204, v116
	v_dot4c_i32_i8_e32 v1, v206, v117
	;; [unrolled: 1-line block ×4, first 2 shown]
	v_mov_b32_e32 v118, 0
	v_mov_b32_e32 v119, 0
	s_nop 0
	v_mad_u64_u32 v[2:3], s[22:23], v1, v210, v[2:3]
	v_cvt_f32_i32_e32 v2, v2
	v_mul_f32_e32 v1, v205, v7
	v_fmac_f32_e32 v25, v1, v2
	ds_read2_b32 v[116:117], v0 offset0:168 offset1:200
	ds_read_b128 v[4:7], v165 offset:31488
	ds_read_b128 v[0:3], v165 offset:31504
	s_waitcnt lgkmcnt(1)
	v_dot4c_i32_i8_e32 v118, v167, v4
	v_dot4c_i32_i8_e32 v118, v168, v5
	s_waitcnt lgkmcnt(0)
	v_dot4c_i32_i8_e32 v119, v172, v0
	v_dot4c_i32_i8_e32 v118, v169, v6
	;; [unrolled: 1-line block ×6, first 2 shown]
	s_nop 0
	v_mul_lo_u32 v118, v118, v176
	s_nop 0
	v_mad_u64_u32 v[118:119], s[22:23], v119, v178, v[118:119]
	v_cvt_f32_i32_e32 v118, v118
	v_mul_f32_e32 v119, v171, v116
	v_fmac_f32_e32 v23, v119, v118
	v_mov_b32_e32 v118, 0
	v_dot4c_i32_i8_e32 v118, v177, v4
	v_mov_b32_e32 v119, 0
	v_dot4c_i32_i8_e32 v118, v179, v5
	v_dot4c_i32_i8_e32 v119, v182, v0
	;; [unrolled: 1-line block ×7, first 2 shown]
	s_nop 0
	v_mul_lo_u32 v118, v118, v187
	s_nop 0
	v_mad_u64_u32 v[118:119], s[22:23], v119, v189, v[118:119]
	v_cvt_f32_i32_e32 v118, v118
	v_mul_f32_e32 v119, v183, v116
	v_fmac_f32_e32 v21, v119, v118
	v_mov_b32_e32 v118, 0
	v_dot4c_i32_i8_e32 v118, v188, v4
	v_mov_b32_e32 v119, 0
	v_dot4c_i32_i8_e32 v118, v190, v5
	v_dot4c_i32_i8_e32 v119, v193, v0
	;; [unrolled: 1-line block ×7, first 2 shown]
	s_nop 0
	v_mul_lo_u32 v118, v118, v198
	s_nop 0
	v_mad_u64_u32 v[118:119], s[22:23], v119, v200, v[118:119]
	v_cvt_f32_i32_e32 v118, v118
	v_mul_f32_e32 v119, v194, v116
	v_fmac_f32_e32 v19, v119, v118
	v_mov_b32_e32 v118, 0
	v_dot4c_i32_i8_e32 v118, v199, v4
	v_dot4c_i32_i8_e32 v118, v201, v5
	v_mov_b32_e32 v5, 0
	v_dot4c_i32_i8_e32 v5, v204, v0
	v_dot4c_i32_i8_e32 v118, v202, v6
	;; [unrolled: 1-line block ×6, first 2 shown]
	s_nop 0
	v_mul_lo_u32 v4, v118, v209
	v_mov_b32_e32 v118, 0
	v_mad_u64_u32 v[0:1], s[22:23], v5, v210, v[4:5]
	v_cvt_f32_i32_e32 v0, v0
	v_mul_f32_e32 v1, v205, v116
	v_mov_b32_e32 v116, 0
	v_fmac_f32_e32 v17, v1, v0
	ds_read_b128 v[0:3], v165 offset:32512
	ds_read_b128 v[4:7], v165 offset:32528
	v_add_u32_e32 v165, 32, v165
	s_waitcnt lgkmcnt(1)
	v_dot4c_i32_i8_e32 v116, v167, v0
	v_dot4c_i32_i8_e32 v116, v168, v1
	s_waitcnt lgkmcnt(0)
	v_dot4c_i32_i8_e32 v118, v172, v4
	v_dot4c_i32_i8_e32 v116, v169, v2
	v_dot4c_i32_i8_e32 v118, v173, v5
	v_dot4c_i32_i8_e32 v116, v170, v3
	v_dot4c_i32_i8_e32 v118, v174, v6
	v_dot4c_i32_i8_e32 v118, v175, v7
	s_nop 0
	v_mul_lo_u32 v116, v116, v176
	s_nop 0
	v_mad_u64_u32 v[118:119], s[22:23], v118, v178, v[116:117]
	v_cvt_f32_i32_e32 v118, v118
	v_mul_f32_e32 v116, v171, v117
	v_fmac_f32_e32 v15, v116, v118
	v_mov_b32_e32 v116, 0
	v_dot4c_i32_i8_e32 v116, v177, v0
	v_mov_b32_e32 v118, 0
	v_dot4c_i32_i8_e32 v116, v179, v1
	v_dot4c_i32_i8_e32 v118, v182, v4
	;; [unrolled: 1-line block ×7, first 2 shown]
	s_nop 0
	v_mul_lo_u32 v116, v116, v187
	s_nop 0
	v_mad_u64_u32 v[118:119], s[22:23], v118, v189, v[116:117]
	v_cvt_f32_i32_e32 v118, v118
	v_mul_f32_e32 v116, v183, v117
	v_fmac_f32_e32 v13, v116, v118
	v_mov_b32_e32 v116, 0
	v_dot4c_i32_i8_e32 v116, v188, v0
	v_mov_b32_e32 v118, 0
	v_dot4c_i32_i8_e32 v116, v190, v1
	v_dot4c_i32_i8_e32 v118, v193, v4
	;; [unrolled: 1-line block ×7, first 2 shown]
	s_nop 0
	v_mul_lo_u32 v116, v116, v198
	s_nop 0
	v_mad_u64_u32 v[118:119], s[22:23], v118, v200, v[116:117]
	v_cvt_f32_i32_e32 v118, v118
	v_mul_f32_e32 v116, v194, v117
	v_fmac_f32_e32 v11, v116, v118
	v_mov_b32_e32 v116, 0
	v_dot4c_i32_i8_e32 v116, v199, v0
	v_dot4c_i32_i8_e32 v116, v201, v1
	v_mov_b32_e32 v1, 0
	v_dot4c_i32_i8_e32 v1, v204, v4
	v_dot4c_i32_i8_e32 v116, v202, v2
	v_dot4c_i32_i8_e32 v1, v206, v5
	v_dot4c_i32_i8_e32 v116, v203, v3
	v_dot4c_i32_i8_e32 v1, v207, v6
	v_dot4c_i32_i8_e32 v1, v208, v7
	s_nop 0
	v_mul_lo_u32 v0, v116, v209
	s_nop 0
	v_mad_u64_u32 v[0:1], s[22:23], v1, v210, v[0:1]
	v_cvt_f32_i32_e32 v0, v0
	v_mul_f32_e32 v1, v205, v117
	v_fmac_f32_e32 v9, v1, v0
	s_cbranch_scc1 .LBB150_9
; %bb.10:                               ;   in Loop: Header=BB150_6 Depth=1
	s_or_b32 s18, s7, 1
	s_cmp_ge_i32 s18, s4
	s_barrier
	s_cbranch_scc1 .LBB150_5
; %bb.11:                               ;   in Loop: Header=BB150_6 Depth=1
	v_add_u32_e32 v165, s17, v138
	v_add_u32_e32 v0, v165, v87
	;; [unrolled: 1-line block ×9, first 2 shown]
	v_mad_i64_i32 v[168:169], s[18:19], v165, 36, v[112:113]
	v_add_u32_e32 v165, 8, v164
	v_mad_i64_i32 v[0:1], s[18:19], v0, 36, v[112:113]
	v_mad_i64_i32 v[2:3], s[18:19], v2, 36, v[112:113]
	;; [unrolled: 1-line block ×4, first 2 shown]
	v_mad_u64_u32 v[170:171], s[18:19], v165, 36, s[2:3]
	v_mad_i64_i32 v[116:117], s[18:19], v116, 36, v[112:113]
	v_mad_i64_i32 v[118:119], s[18:19], v118, 36, v[112:113]
	;; [unrolled: 1-line block ×3, first 2 shown]
	global_load_dword v170, v[170:171], off
	s_nop 0
	global_load_dword v0, v[0:1], off offset:4
	s_nop 0
	global_load_dword v1, v[2:3], off offset:4
	;; [unrolled: 2-line block ×3, first 2 shown]
	global_load_dword v3, v[6:7], off offset:4
	s_nop 0
	global_load_dword v4, v[116:117], off offset:4
	global_load_dword v5, v[118:119], off offset:4
	;; [unrolled: 1-line block ×4, first 2 shown]
	s_mov_b32 s18, 16
	s_mov_b32 s21, 14
	;; [unrolled: 1-line block ×3, first 2 shown]
	v_mov_b32_e32 v165, v149
	v_mov_b32_e32 v166, v148
	s_waitcnt vmcnt(8)
	v_cvt_f32_f16_e32 v116, v170
	s_waitcnt vmcnt(7)
	ds_write_b32 v91, v0
	s_waitcnt vmcnt(6)
	ds_write_b32 v97, v1
	s_waitcnt vmcnt(5)
	ds_write_b32 v101, v2
	s_waitcnt vmcnt(4)
	ds_write_b32 v105, v3
	s_waitcnt vmcnt(3)
	ds_write_b32 v109, v4
	s_waitcnt vmcnt(2)
	ds_write_b32 v115, v5
	s_waitcnt vmcnt(1)
	ds_write_b32 v121, v6
	s_waitcnt vmcnt(0)
	ds_write_b32 v123, v7
	ds_write_b32 v85, v116
	s_waitcnt lgkmcnt(0)
	s_barrier
.LBB150_12:                             ;   Parent Loop BB150_6 Depth=1
                                        ; =>  This Inner Loop Header: Depth=2
	s_add_i32 s20, s21, 2
	s_lshr_b32 s25, s20, 4
	s_and_b32 s24, s20, 0x3ffffff8
	s_lshl_b32 s23, s25, 3
	s_lshl_b32 s24, s24, 2
	v_add_lshl_u32 v176, v125, s23, 2
	v_add_u32_e32 v119, s24, v126
	v_add_u32_e32 v170, 0x4200, v176
	ds_read2_b32 v[116:117], v166 offset1:32
	ds_read_b128 v[4:7], v165
	ds_read_b128 v[0:3], v165 offset:16
	ds_read2_b32 v[168:169], v119 offset1:1
	ds_read2_b32 v[170:171], v170 offset1:1
	s_and_b32 s22, s18, -16
	v_add_u32_e32 v118, s22, v124
	s_add_i32 s22, s21, -14
	s_waitcnt lgkmcnt(1)
	v_ashrrev_i32_e32 v167, s22, v168
	s_waitcnt lgkmcnt(0)
	v_ashrrev_i32_e32 v170, s19, v170
	v_lshlrev_b32_e32 v170, 2, v170
	v_and_b32_e32 v168, 0x3030303, v167
	v_bfe_u32 v167, v167, 24, 2
	v_and_b32_e32 v170, 0x4040404, v170
	v_sub_u16_e32 v172, v168, v170
	v_sub_u16_sdwa v173, v168, v170 dst_sel:BYTE_1 dst_unused:UNUSED_PAD src0_sel:BYTE_1 src1_sel:BYTE_1
	v_sub_u16_sdwa v167, v167, v170 dst_sel:BYTE_1 dst_unused:UNUSED_PAD src0_sel:DWORD src1_sel:BYTE_3
	v_sub_u16_sdwa v168, v168, v170 dst_sel:DWORD dst_unused:UNUSED_PAD src0_sel:WORD_1 src1_sel:WORD_1
	v_ashrrev_i32_e32 v170, s19, v171
	v_or_b32_sdwa v167, v168, v167 dst_sel:WORD_1 dst_unused:UNUSED_PAD src0_sel:BYTE_0 src1_sel:DWORD
	v_ashrrev_i32_e32 v168, s22, v169
	v_lshlrev_b32_e32 v170, 2, v170
	v_or_b32_sdwa v172, v172, v173 dst_sel:DWORD dst_unused:UNUSED_PAD src0_sel:BYTE_0 src1_sel:DWORD
	v_and_b32_e32 v169, 0x3030303, v168
	v_bfe_u32 v168, v168, 24, 2
	v_and_b32_e32 v170, 0x4040404, v170
	v_or_b32_sdwa v167, v172, v167 dst_sel:DWORD dst_unused:UNUSED_PAD src0_sel:WORD_0 src1_sel:DWORD
	v_sub_u16_e32 v171, v169, v170
	v_sub_u16_sdwa v172, v169, v170 dst_sel:BYTE_1 dst_unused:UNUSED_PAD src0_sel:BYTE_1 src1_sel:BYTE_1
	v_sub_u16_sdwa v168, v168, v170 dst_sel:BYTE_1 dst_unused:UNUSED_PAD src0_sel:DWORD src1_sel:BYTE_3
	v_sub_u16_sdwa v169, v169, v170 dst_sel:DWORD dst_unused:UNUSED_PAD src0_sel:WORD_1 src1_sel:WORD_1
	v_or_b32_sdwa v171, v171, v172 dst_sel:DWORD dst_unused:UNUSED_PAD src0_sel:BYTE_0 src1_sel:DWORD
	v_or_b32_sdwa v168, v169, v168 dst_sel:WORD_1 dst_unused:UNUSED_PAD src0_sel:BYTE_0 src1_sel:DWORD
	v_add_u32_e32 v172, 0x4208, v176
	v_or_b32_sdwa v168, v171, v168 dst_sel:DWORD dst_unused:UNUSED_PAD src0_sel:WORD_0 src1_sel:DWORD
	ds_read2_b32 v[170:171], v119 offset0:2 offset1:3
	ds_read2_b32 v[172:173], v172 offset1:1
	s_lshl_b32 s25, s25, 2
	v_add_lshl_u32 v198, v131, s23, 2
	v_add_lshl_u32 v188, v128, s23, 2
	s_waitcnt lgkmcnt(1)
	v_ashrrev_i32_e32 v169, s22, v170
	s_waitcnt lgkmcnt(0)
	v_ashrrev_i32_e32 v172, s19, v172
	v_lshlrev_b32_e32 v172, 2, v172
	v_and_b32_e32 v170, 0x3030303, v169
	v_bfe_u32 v169, v169, 24, 2
	v_and_b32_e32 v172, 0x4040404, v172
	v_sub_u16_e32 v174, v170, v172
	v_sub_u16_sdwa v175, v170, v172 dst_sel:BYTE_1 dst_unused:UNUSED_PAD src0_sel:BYTE_1 src1_sel:BYTE_1
	v_sub_u16_sdwa v169, v169, v172 dst_sel:BYTE_1 dst_unused:UNUSED_PAD src0_sel:DWORD src1_sel:BYTE_3
	v_sub_u16_sdwa v170, v170, v172 dst_sel:DWORD dst_unused:UNUSED_PAD src0_sel:WORD_1 src1_sel:WORD_1
	v_ashrrev_i32_e32 v172, s19, v173
	v_or_b32_sdwa v169, v170, v169 dst_sel:WORD_1 dst_unused:UNUSED_PAD src0_sel:BYTE_0 src1_sel:DWORD
	v_ashrrev_i32_e32 v170, s22, v171
	v_lshlrev_b32_e32 v172, 2, v172
	v_or_b32_sdwa v174, v174, v175 dst_sel:DWORD dst_unused:UNUSED_PAD src0_sel:BYTE_0 src1_sel:DWORD
	v_and_b32_e32 v171, 0x3030303, v170
	v_bfe_u32 v170, v170, 24, 2
	v_and_b32_e32 v172, 0x4040404, v172
	v_or_b32_sdwa v169, v174, v169 dst_sel:DWORD dst_unused:UNUSED_PAD src0_sel:WORD_0 src1_sel:DWORD
	v_sub_u16_e32 v173, v171, v172
	v_sub_u16_sdwa v174, v171, v172 dst_sel:BYTE_1 dst_unused:UNUSED_PAD src0_sel:BYTE_1 src1_sel:BYTE_1
	v_sub_u16_sdwa v170, v170, v172 dst_sel:BYTE_1 dst_unused:UNUSED_PAD src0_sel:DWORD src1_sel:BYTE_3
	v_sub_u16_sdwa v171, v171, v172 dst_sel:DWORD dst_unused:UNUSED_PAD src0_sel:WORD_1 src1_sel:WORD_1
	v_or_b32_sdwa v173, v173, v174 dst_sel:DWORD dst_unused:UNUSED_PAD src0_sel:BYTE_0 src1_sel:DWORD
	v_or_b32_sdwa v170, v171, v170 dst_sel:WORD_1 dst_unused:UNUSED_PAD src0_sel:BYTE_0 src1_sel:DWORD
	v_add_u32_e32 v174, 0x4210, v176
	v_or_b32_sdwa v170, v173, v170 dst_sel:DWORD dst_unused:UNUSED_PAD src0_sel:WORD_0 src1_sel:DWORD
	ds_read2_b32 v[172:173], v119 offset0:4 offset1:5
	ds_read2_b32 v[174:175], v174 offset1:1
	v_add_u32_e32 v192, 0x4200, v198
	v_add_lshl_u32 v210, v134, s23, 2
	s_add_i32 s18, s18, 2
	s_waitcnt lgkmcnt(1)
	v_ashrrev_i32_e32 v171, s22, v172
	s_waitcnt lgkmcnt(0)
	v_ashrrev_i32_e32 v174, s19, v174
	v_lshlrev_b32_e32 v174, 2, v174
	v_and_b32_e32 v172, 0x3030303, v171
	v_bfe_u32 v171, v171, 24, 2
	v_and_b32_e32 v174, 0x4040404, v174
	v_sub_u16_e32 v177, v172, v174
	v_sub_u16_sdwa v178, v172, v174 dst_sel:BYTE_1 dst_unused:UNUSED_PAD src0_sel:BYTE_1 src1_sel:BYTE_1
	v_sub_u16_sdwa v171, v171, v174 dst_sel:BYTE_1 dst_unused:UNUSED_PAD src0_sel:DWORD src1_sel:BYTE_3
	v_sub_u16_sdwa v172, v172, v174 dst_sel:DWORD dst_unused:UNUSED_PAD src0_sel:WORD_1 src1_sel:WORD_1
	v_or_b32_sdwa v177, v177, v178 dst_sel:DWORD dst_unused:UNUSED_PAD src0_sel:BYTE_0 src1_sel:DWORD
	v_or_b32_sdwa v171, v172, v171 dst_sel:WORD_1 dst_unused:UNUSED_PAD src0_sel:BYTE_0 src1_sel:DWORD
	v_ashrrev_i32_e32 v174, s19, v175
	v_or_b32_sdwa v172, v177, v171 dst_sel:DWORD dst_unused:UNUSED_PAD src0_sel:WORD_0 src1_sel:DWORD
	v_ashrrev_i32_e32 v171, s22, v173
	v_lshlrev_b32_e32 v174, 2, v174
	v_and_b32_e32 v173, 0x3030303, v171
	v_bfe_u32 v171, v171, 24, 2
	v_and_b32_e32 v174, 0x4040404, v174
	v_sub_u16_e32 v175, v173, v174
	v_sub_u16_sdwa v177, v173, v174 dst_sel:BYTE_1 dst_unused:UNUSED_PAD src0_sel:BYTE_1 src1_sel:BYTE_1
	v_sub_u16_sdwa v171, v171, v174 dst_sel:BYTE_1 dst_unused:UNUSED_PAD src0_sel:DWORD src1_sel:BYTE_3
	v_sub_u16_sdwa v173, v173, v174 dst_sel:DWORD dst_unused:UNUSED_PAD src0_sel:WORD_1 src1_sel:WORD_1
	v_or_b32_sdwa v175, v175, v177 dst_sel:DWORD dst_unused:UNUSED_PAD src0_sel:BYTE_0 src1_sel:DWORD
	v_or_b32_sdwa v171, v173, v171 dst_sel:WORD_1 dst_unused:UNUSED_PAD src0_sel:BYTE_0 src1_sel:DWORD
	v_or_b32_sdwa v173, v175, v171 dst_sel:DWORD dst_unused:UNUSED_PAD src0_sel:WORD_0 src1_sel:DWORD
	ds_read2_b32 v[174:175], v119 offset0:6 offset1:7
	ds_read2_b32 v[192:193], v192 offset1:1
	s_waitcnt lgkmcnt(1)
	v_ashrrev_i32_e32 v119, s22, v174
	v_add_u32_e32 v174, 0x4218, v176
	ds_read2_b32 v[176:177], v174 offset1:1
	v_and_b32_e32 v171, 0x3030303, v119
	v_bfe_u32 v119, v119, 24, 2
	s_waitcnt lgkmcnt(1)
	v_ashrrev_i32_e32 v192, s19, v192
	v_lshlrev_b32_e32 v192, 2, v192
	s_waitcnt lgkmcnt(0)
	v_ashrrev_i32_e32 v174, s19, v176
	v_lshlrev_b32_e32 v174, 2, v174
	v_and_b32_e32 v174, 0x4040404, v174
	v_sub_u16_e32 v176, v171, v174
	v_sub_u16_sdwa v178, v171, v174 dst_sel:BYTE_1 dst_unused:UNUSED_PAD src0_sel:BYTE_1 src1_sel:BYTE_1
	v_sub_u16_sdwa v119, v119, v174 dst_sel:BYTE_1 dst_unused:UNUSED_PAD src0_sel:DWORD src1_sel:BYTE_3
	v_sub_u16_sdwa v171, v171, v174 dst_sel:DWORD dst_unused:UNUSED_PAD src0_sel:WORD_1 src1_sel:WORD_1
	v_or_b32_sdwa v176, v176, v178 dst_sel:DWORD dst_unused:UNUSED_PAD src0_sel:BYTE_0 src1_sel:DWORD
	v_or_b32_sdwa v119, v171, v119 dst_sel:WORD_1 dst_unused:UNUSED_PAD src0_sel:BYTE_0 src1_sel:DWORD
	v_or_b32_sdwa v174, v176, v119 dst_sel:DWORD dst_unused:UNUSED_PAD src0_sel:WORD_0 src1_sel:DWORD
	v_ashrrev_i32_e32 v119, s22, v175
	v_ashrrev_i32_e32 v175, s19, v177
	v_lshlrev_b32_e32 v175, 2, v175
	v_and_b32_e32 v171, 0x3030303, v119
	v_bfe_u32 v119, v119, 24, 2
	v_and_b32_e32 v175, 0x4040404, v175
	v_sub_u16_e32 v176, v171, v175
	v_sub_u16_sdwa v177, v171, v175 dst_sel:BYTE_1 dst_unused:UNUSED_PAD src0_sel:BYTE_1 src1_sel:BYTE_1
	v_sub_u16_sdwa v119, v119, v175 dst_sel:BYTE_1 dst_unused:UNUSED_PAD src0_sel:DWORD src1_sel:BYTE_3
	v_sub_u16_sdwa v171, v171, v175 dst_sel:DWORD dst_unused:UNUSED_PAD src0_sel:WORD_1 src1_sel:WORD_1
	v_or_b32_sdwa v176, v176, v177 dst_sel:DWORD dst_unused:UNUSED_PAD src0_sel:BYTE_0 src1_sel:DWORD
	v_or_b32_sdwa v119, v171, v119 dst_sel:WORD_1 dst_unused:UNUSED_PAD src0_sel:BYTE_0 src1_sel:DWORD
	v_or_b32_sdwa v175, v176, v119 dst_sel:DWORD dst_unused:UNUSED_PAD src0_sel:WORD_0 src1_sel:DWORD
	v_add3_u32 v119, v140, s21, v118
	v_add_u32_e32 v171, s25, v127
	ds_read_b32 v171, v171
	ds_read_u16 v119, v119 offset:33522
	v_mov_b32_e32 v177, 0
	v_dot4c_i32_i8_e32 v177, v167, v4
	v_dot4c_i32_i8_e32 v177, v168, v5
	;; [unrolled: 1-line block ×3, first 2 shown]
	s_waitcnt lgkmcnt(0)
	v_lshrrev_b16_e32 v178, 8, v119
	v_bfe_i32 v176, v119, 0, 8
	v_mov_b32_e32 v119, 0
	v_dot4c_i32_i8_e32 v119, v172, v0
	v_dot4c_i32_i8_e32 v119, v173, v1
	;; [unrolled: 1-line block ×5, first 2 shown]
	v_bfe_i32 v178, v178, 0, 8
	v_mul_lo_u32 v180, v177, v176
	v_and_b32_e32 v192, 0x4040404, v192
	v_mad_u64_u32 v[180:181], s[26:27], v119, v178, v[180:181]
	v_cvt_f32_i32_e32 v177, v180
	v_mul_f32_e32 v119, v116, v171
	v_fmac_f32_e32 v95, v119, v177
	v_add_u32_e32 v119, s24, v129
	ds_read2_b32 v[180:181], v119 offset1:1
	s_waitcnt lgkmcnt(0)
	v_ashrrev_i32_e32 v177, s22, v180
	v_add_u32_e32 v180, 0x4200, v188
	ds_read2_b32 v[182:183], v180 offset1:1
	v_and_b32_e32 v179, 0x3030303, v177
	v_bfe_u32 v177, v177, 24, 2
	s_waitcnt lgkmcnt(0)
	v_ashrrev_i32_e32 v180, s19, v182
	v_lshlrev_b32_e32 v180, 2, v180
	v_and_b32_e32 v180, 0x4040404, v180
	v_sub_u16_e32 v182, v179, v180
	v_sub_u16_sdwa v184, v179, v180 dst_sel:BYTE_1 dst_unused:UNUSED_PAD src0_sel:BYTE_1 src1_sel:BYTE_1
	v_sub_u16_sdwa v177, v177, v180 dst_sel:BYTE_1 dst_unused:UNUSED_PAD src0_sel:DWORD src1_sel:BYTE_3
	v_sub_u16_sdwa v179, v179, v180 dst_sel:DWORD dst_unused:UNUSED_PAD src0_sel:WORD_1 src1_sel:WORD_1
	v_or_b32_sdwa v177, v179, v177 dst_sel:WORD_1 dst_unused:UNUSED_PAD src0_sel:BYTE_0 src1_sel:DWORD
	v_ashrrev_i32_e32 v179, s22, v181
	v_ashrrev_i32_e32 v181, s19, v183
	v_lshlrev_b32_e32 v181, 2, v181
	v_or_b32_sdwa v182, v182, v184 dst_sel:DWORD dst_unused:UNUSED_PAD src0_sel:BYTE_0 src1_sel:DWORD
	v_and_b32_e32 v180, 0x3030303, v179
	v_bfe_u32 v179, v179, 24, 2
	v_and_b32_e32 v181, 0x4040404, v181
	v_or_b32_sdwa v177, v182, v177 dst_sel:DWORD dst_unused:UNUSED_PAD src0_sel:WORD_0 src1_sel:DWORD
	v_sub_u16_e32 v182, v180, v181
	v_sub_u16_sdwa v183, v180, v181 dst_sel:BYTE_1 dst_unused:UNUSED_PAD src0_sel:BYTE_1 src1_sel:BYTE_1
	v_sub_u16_sdwa v179, v179, v181 dst_sel:BYTE_1 dst_unused:UNUSED_PAD src0_sel:DWORD src1_sel:BYTE_3
	v_sub_u16_sdwa v180, v180, v181 dst_sel:DWORD dst_unused:UNUSED_PAD src0_sel:WORD_1 src1_sel:WORD_1
	v_or_b32_sdwa v182, v182, v183 dst_sel:DWORD dst_unused:UNUSED_PAD src0_sel:BYTE_0 src1_sel:DWORD
	v_or_b32_sdwa v179, v180, v179 dst_sel:WORD_1 dst_unused:UNUSED_PAD src0_sel:BYTE_0 src1_sel:DWORD
	v_or_b32_sdwa v179, v182, v179 dst_sel:DWORD dst_unused:UNUSED_PAD src0_sel:WORD_0 src1_sel:DWORD
	v_add_u32_e32 v182, 0x4208, v188
	ds_read2_b32 v[180:181], v119 offset0:2 offset1:3
	ds_read2_b32 v[182:183], v182 offset1:1
	s_waitcnt lgkmcnt(1)
	v_ashrrev_i32_e32 v180, s22, v180
	s_waitcnt lgkmcnt(0)
	v_ashrrev_i32_e32 v182, s19, v182
	v_lshlrev_b32_e32 v182, 2, v182
	v_and_b32_e32 v184, 0x3030303, v180
	v_bfe_u32 v180, v180, 24, 2
	v_and_b32_e32 v182, 0x4040404, v182
	v_ashrrev_i32_e32 v183, s19, v183
	v_sub_u16_e32 v185, v184, v182
	v_sub_u16_sdwa v186, v184, v182 dst_sel:BYTE_1 dst_unused:UNUSED_PAD src0_sel:BYTE_1 src1_sel:BYTE_1
	v_sub_u16_sdwa v180, v180, v182 dst_sel:BYTE_1 dst_unused:UNUSED_PAD src0_sel:DWORD src1_sel:BYTE_3
	v_sub_u16_sdwa v182, v184, v182 dst_sel:DWORD dst_unused:UNUSED_PAD src0_sel:WORD_1 src1_sel:WORD_1
	v_ashrrev_i32_e32 v181, s22, v181
	v_lshlrev_b32_e32 v183, 2, v183
	v_or_b32_sdwa v185, v185, v186 dst_sel:DWORD dst_unused:UNUSED_PAD src0_sel:BYTE_0 src1_sel:DWORD
	v_or_b32_sdwa v180, v182, v180 dst_sel:WORD_1 dst_unused:UNUSED_PAD src0_sel:BYTE_0 src1_sel:DWORD
	v_and_b32_e32 v182, 0x3030303, v181
	v_bfe_u32 v181, v181, 24, 2
	v_and_b32_e32 v183, 0x4040404, v183
	v_or_b32_sdwa v180, v185, v180 dst_sel:DWORD dst_unused:UNUSED_PAD src0_sel:WORD_0 src1_sel:DWORD
	v_sub_u16_e32 v184, v182, v183
	v_sub_u16_sdwa v185, v182, v183 dst_sel:BYTE_1 dst_unused:UNUSED_PAD src0_sel:BYTE_1 src1_sel:BYTE_1
	v_sub_u16_sdwa v181, v181, v183 dst_sel:BYTE_1 dst_unused:UNUSED_PAD src0_sel:DWORD src1_sel:BYTE_3
	v_sub_u16_sdwa v182, v182, v183 dst_sel:DWORD dst_unused:UNUSED_PAD src0_sel:WORD_1 src1_sel:WORD_1
	v_or_b32_sdwa v184, v184, v185 dst_sel:DWORD dst_unused:UNUSED_PAD src0_sel:BYTE_0 src1_sel:DWORD
	v_or_b32_sdwa v181, v182, v181 dst_sel:WORD_1 dst_unused:UNUSED_PAD src0_sel:BYTE_0 src1_sel:DWORD
	v_or_b32_sdwa v181, v184, v181 dst_sel:DWORD dst_unused:UNUSED_PAD src0_sel:WORD_0 src1_sel:DWORD
	v_add_u32_e32 v184, 0x4210, v188
	ds_read2_b32 v[182:183], v119 offset0:4 offset1:5
	ds_read2_b32 v[184:185], v184 offset1:1
	s_waitcnt lgkmcnt(1)
	v_ashrrev_i32_e32 v182, s22, v182
	s_waitcnt lgkmcnt(0)
	v_ashrrev_i32_e32 v184, s19, v184
	v_lshlrev_b32_e32 v184, 2, v184
	v_and_b32_e32 v186, 0x3030303, v182
	v_bfe_u32 v182, v182, 24, 2
	v_and_b32_e32 v184, 0x4040404, v184
	v_ashrrev_i32_e32 v185, s19, v185
	v_sub_u16_e32 v187, v186, v184
	v_sub_u16_sdwa v189, v186, v184 dst_sel:BYTE_1 dst_unused:UNUSED_PAD src0_sel:BYTE_1 src1_sel:BYTE_1
	v_sub_u16_sdwa v182, v182, v184 dst_sel:BYTE_1 dst_unused:UNUSED_PAD src0_sel:DWORD src1_sel:BYTE_3
	v_sub_u16_sdwa v184, v186, v184 dst_sel:DWORD dst_unused:UNUSED_PAD src0_sel:WORD_1 src1_sel:WORD_1
	v_ashrrev_i32_e32 v183, s22, v183
	v_lshlrev_b32_e32 v185, 2, v185
	v_or_b32_sdwa v187, v187, v189 dst_sel:DWORD dst_unused:UNUSED_PAD src0_sel:BYTE_0 src1_sel:DWORD
	v_or_b32_sdwa v182, v184, v182 dst_sel:WORD_1 dst_unused:UNUSED_PAD src0_sel:BYTE_0 src1_sel:DWORD
	v_and_b32_e32 v184, 0x3030303, v183
	v_bfe_u32 v183, v183, 24, 2
	v_and_b32_e32 v185, 0x4040404, v185
	v_or_b32_sdwa v182, v187, v182 dst_sel:DWORD dst_unused:UNUSED_PAD src0_sel:WORD_0 src1_sel:DWORD
	v_sub_u16_e32 v186, v184, v185
	v_sub_u16_sdwa v187, v184, v185 dst_sel:BYTE_1 dst_unused:UNUSED_PAD src0_sel:BYTE_1 src1_sel:BYTE_1
	v_sub_u16_sdwa v183, v183, v185 dst_sel:BYTE_1 dst_unused:UNUSED_PAD src0_sel:DWORD src1_sel:BYTE_3
	v_sub_u16_sdwa v184, v184, v185 dst_sel:DWORD dst_unused:UNUSED_PAD src0_sel:WORD_1 src1_sel:WORD_1
	v_or_b32_sdwa v186, v186, v187 dst_sel:DWORD dst_unused:UNUSED_PAD src0_sel:BYTE_0 src1_sel:DWORD
	v_or_b32_sdwa v183, v184, v183 dst_sel:WORD_1 dst_unused:UNUSED_PAD src0_sel:BYTE_0 src1_sel:DWORD
	v_add_u32_e32 v185, 0x4218, v188
	v_or_b32_sdwa v184, v186, v183 dst_sel:DWORD dst_unused:UNUSED_PAD src0_sel:WORD_0 src1_sel:DWORD
	ds_read2_b32 v[186:187], v119 offset0:6 offset1:7
	ds_read2_b32 v[188:189], v185 offset1:1
	s_waitcnt lgkmcnt(1)
	v_ashrrev_i32_e32 v119, s22, v186
	s_waitcnt lgkmcnt(0)
	v_ashrrev_i32_e32 v185, s19, v188
	v_lshlrev_b32_e32 v185, 2, v185
	v_and_b32_e32 v183, 0x3030303, v119
	v_bfe_u32 v119, v119, 24, 2
	v_and_b32_e32 v185, 0x4040404, v185
	v_sub_u16_e32 v186, v183, v185
	v_sub_u16_sdwa v188, v183, v185 dst_sel:BYTE_1 dst_unused:UNUSED_PAD src0_sel:BYTE_1 src1_sel:BYTE_1
	v_sub_u16_sdwa v119, v119, v185 dst_sel:BYTE_1 dst_unused:UNUSED_PAD src0_sel:DWORD src1_sel:BYTE_3
	v_sub_u16_sdwa v183, v183, v185 dst_sel:DWORD dst_unused:UNUSED_PAD src0_sel:WORD_1 src1_sel:WORD_1
	v_or_b32_sdwa v186, v186, v188 dst_sel:DWORD dst_unused:UNUSED_PAD src0_sel:BYTE_0 src1_sel:DWORD
	v_or_b32_sdwa v119, v183, v119 dst_sel:WORD_1 dst_unused:UNUSED_PAD src0_sel:BYTE_0 src1_sel:DWORD
	v_or_b32_sdwa v185, v186, v119 dst_sel:DWORD dst_unused:UNUSED_PAD src0_sel:WORD_0 src1_sel:DWORD
	v_ashrrev_i32_e32 v186, s19, v189
	v_ashrrev_i32_e32 v119, s22, v187
	v_lshlrev_b32_e32 v186, 2, v186
	v_and_b32_e32 v183, 0x3030303, v119
	v_bfe_u32 v119, v119, 24, 2
	v_and_b32_e32 v186, 0x4040404, v186
	v_sub_u16_e32 v187, v183, v186
	v_sub_u16_sdwa v188, v183, v186 dst_sel:BYTE_1 dst_unused:UNUSED_PAD src0_sel:BYTE_1 src1_sel:BYTE_1
	v_sub_u16_sdwa v119, v119, v186 dst_sel:BYTE_1 dst_unused:UNUSED_PAD src0_sel:DWORD src1_sel:BYTE_3
	v_sub_u16_sdwa v183, v183, v186 dst_sel:DWORD dst_unused:UNUSED_PAD src0_sel:WORD_1 src1_sel:WORD_1
	v_or_b32_sdwa v187, v187, v188 dst_sel:DWORD dst_unused:UNUSED_PAD src0_sel:BYTE_0 src1_sel:DWORD
	v_or_b32_sdwa v119, v183, v119 dst_sel:WORD_1 dst_unused:UNUSED_PAD src0_sel:BYTE_0 src1_sel:DWORD
	v_or_b32_sdwa v186, v187, v119 dst_sel:DWORD dst_unused:UNUSED_PAD src0_sel:WORD_0 src1_sel:DWORD
	v_add3_u32 v119, v142, s21, v118
	v_add_u32_e32 v183, s25, v130
	ds_read_b32 v183, v183
	ds_read_u16 v119, v119 offset:34546
	v_mov_b32_e32 v188, 0
	v_dot4c_i32_i8_e32 v188, v177, v4
	v_dot4c_i32_i8_e32 v188, v179, v5
	;; [unrolled: 1-line block ×3, first 2 shown]
	s_waitcnt lgkmcnt(0)
	v_lshrrev_b16_e32 v189, 8, v119
	v_bfe_i32 v187, v119, 0, 8
	v_mov_b32_e32 v119, 0
	v_dot4c_i32_i8_e32 v119, v182, v0
	v_dot4c_i32_i8_e32 v119, v184, v1
	;; [unrolled: 1-line block ×5, first 2 shown]
	v_bfe_i32 v189, v189, 0, 8
	v_mul_lo_u32 v188, v188, v187
	s_nop 0
	v_mad_u64_u32 v[190:191], s[26:27], v119, v189, v[188:189]
	v_cvt_f32_i32_e32 v188, v190
	v_mul_f32_e32 v119, v116, v183
	v_fmac_f32_e32 v83, v119, v188
	v_add_u32_e32 v119, s24, v132
	ds_read2_b32 v[190:191], v119 offset1:1
	s_waitcnt lgkmcnt(0)
	v_ashrrev_i32_e32 v188, s22, v190
	v_and_b32_e32 v190, 0x3030303, v188
	v_bfe_u32 v188, v188, 24, 2
	v_sub_u16_e32 v194, v190, v192
	v_sub_u16_sdwa v195, v190, v192 dst_sel:BYTE_1 dst_unused:UNUSED_PAD src0_sel:BYTE_1 src1_sel:BYTE_1
	v_sub_u16_sdwa v188, v188, v192 dst_sel:BYTE_1 dst_unused:UNUSED_PAD src0_sel:DWORD src1_sel:BYTE_3
	v_sub_u16_sdwa v190, v190, v192 dst_sel:DWORD dst_unused:UNUSED_PAD src0_sel:WORD_1 src1_sel:WORD_1
	v_ashrrev_i32_e32 v192, s19, v193
	v_or_b32_sdwa v188, v190, v188 dst_sel:WORD_1 dst_unused:UNUSED_PAD src0_sel:BYTE_0 src1_sel:DWORD
	v_ashrrev_i32_e32 v190, s22, v191
	v_lshlrev_b32_e32 v192, 2, v192
	v_or_b32_sdwa v194, v194, v195 dst_sel:DWORD dst_unused:UNUSED_PAD src0_sel:BYTE_0 src1_sel:DWORD
	v_and_b32_e32 v191, 0x3030303, v190
	v_bfe_u32 v190, v190, 24, 2
	v_and_b32_e32 v192, 0x4040404, v192
	v_or_b32_sdwa v188, v194, v188 dst_sel:DWORD dst_unused:UNUSED_PAD src0_sel:WORD_0 src1_sel:DWORD
	v_sub_u16_e32 v193, v191, v192
	v_sub_u16_sdwa v194, v191, v192 dst_sel:BYTE_1 dst_unused:UNUSED_PAD src0_sel:BYTE_1 src1_sel:BYTE_1
	v_sub_u16_sdwa v190, v190, v192 dst_sel:BYTE_1 dst_unused:UNUSED_PAD src0_sel:DWORD src1_sel:BYTE_3
	v_sub_u16_sdwa v191, v191, v192 dst_sel:DWORD dst_unused:UNUSED_PAD src0_sel:WORD_1 src1_sel:WORD_1
	v_or_b32_sdwa v193, v193, v194 dst_sel:DWORD dst_unused:UNUSED_PAD src0_sel:BYTE_0 src1_sel:DWORD
	v_or_b32_sdwa v190, v191, v190 dst_sel:WORD_1 dst_unused:UNUSED_PAD src0_sel:BYTE_0 src1_sel:DWORD
	v_add_u32_e32 v194, 0x4208, v198
	v_or_b32_sdwa v190, v193, v190 dst_sel:DWORD dst_unused:UNUSED_PAD src0_sel:WORD_0 src1_sel:DWORD
	ds_read2_b32 v[192:193], v119 offset0:2 offset1:3
	ds_read2_b32 v[194:195], v194 offset1:1
	s_waitcnt lgkmcnt(1)
	v_ashrrev_i32_e32 v191, s22, v192
	s_waitcnt lgkmcnt(0)
	v_ashrrev_i32_e32 v194, s19, v194
	v_lshlrev_b32_e32 v194, 2, v194
	v_and_b32_e32 v192, 0x3030303, v191
	v_bfe_u32 v191, v191, 24, 2
	v_and_b32_e32 v194, 0x4040404, v194
	v_sub_u16_e32 v196, v192, v194
	v_sub_u16_sdwa v197, v192, v194 dst_sel:BYTE_1 dst_unused:UNUSED_PAD src0_sel:BYTE_1 src1_sel:BYTE_1
	v_sub_u16_sdwa v191, v191, v194 dst_sel:BYTE_1 dst_unused:UNUSED_PAD src0_sel:DWORD src1_sel:BYTE_3
	v_sub_u16_sdwa v192, v192, v194 dst_sel:DWORD dst_unused:UNUSED_PAD src0_sel:WORD_1 src1_sel:WORD_1
	v_ashrrev_i32_e32 v194, s19, v195
	v_or_b32_sdwa v191, v192, v191 dst_sel:WORD_1 dst_unused:UNUSED_PAD src0_sel:BYTE_0 src1_sel:DWORD
	v_ashrrev_i32_e32 v192, s22, v193
	v_lshlrev_b32_e32 v194, 2, v194
	v_or_b32_sdwa v196, v196, v197 dst_sel:DWORD dst_unused:UNUSED_PAD src0_sel:BYTE_0 src1_sel:DWORD
	v_and_b32_e32 v193, 0x3030303, v192
	v_bfe_u32 v192, v192, 24, 2
	v_and_b32_e32 v194, 0x4040404, v194
	v_or_b32_sdwa v191, v196, v191 dst_sel:DWORD dst_unused:UNUSED_PAD src0_sel:WORD_0 src1_sel:DWORD
	v_sub_u16_e32 v195, v193, v194
	v_sub_u16_sdwa v196, v193, v194 dst_sel:BYTE_1 dst_unused:UNUSED_PAD src0_sel:BYTE_1 src1_sel:BYTE_1
	v_sub_u16_sdwa v192, v192, v194 dst_sel:BYTE_1 dst_unused:UNUSED_PAD src0_sel:DWORD src1_sel:BYTE_3
	v_sub_u16_sdwa v193, v193, v194 dst_sel:DWORD dst_unused:UNUSED_PAD src0_sel:WORD_1 src1_sel:WORD_1
	v_or_b32_sdwa v195, v195, v196 dst_sel:DWORD dst_unused:UNUSED_PAD src0_sel:BYTE_0 src1_sel:DWORD
	v_or_b32_sdwa v192, v193, v192 dst_sel:WORD_1 dst_unused:UNUSED_PAD src0_sel:BYTE_0 src1_sel:DWORD
	v_add_u32_e32 v196, 0x4210, v198
	v_or_b32_sdwa v192, v195, v192 dst_sel:DWORD dst_unused:UNUSED_PAD src0_sel:WORD_0 src1_sel:DWORD
	ds_read2_b32 v[194:195], v119 offset0:4 offset1:5
	ds_read2_b32 v[196:197], v196 offset1:1
	s_waitcnt lgkmcnt(1)
	v_ashrrev_i32_e32 v193, s22, v194
	s_waitcnt lgkmcnt(0)
	v_ashrrev_i32_e32 v196, s19, v196
	v_lshlrev_b32_e32 v196, 2, v196
	v_and_b32_e32 v194, 0x3030303, v193
	v_bfe_u32 v193, v193, 24, 2
	v_and_b32_e32 v196, 0x4040404, v196
	v_sub_u16_e32 v199, v194, v196
	v_sub_u16_sdwa v200, v194, v196 dst_sel:BYTE_1 dst_unused:UNUSED_PAD src0_sel:BYTE_1 src1_sel:BYTE_1
	v_sub_u16_sdwa v193, v193, v196 dst_sel:BYTE_1 dst_unused:UNUSED_PAD src0_sel:DWORD src1_sel:BYTE_3
	v_sub_u16_sdwa v194, v194, v196 dst_sel:DWORD dst_unused:UNUSED_PAD src0_sel:WORD_1 src1_sel:WORD_1
	v_ashrrev_i32_e32 v196, s19, v197
	v_or_b32_sdwa v193, v194, v193 dst_sel:WORD_1 dst_unused:UNUSED_PAD src0_sel:BYTE_0 src1_sel:DWORD
	v_ashrrev_i32_e32 v194, s22, v195
	v_lshlrev_b32_e32 v196, 2, v196
	v_or_b32_sdwa v199, v199, v200 dst_sel:DWORD dst_unused:UNUSED_PAD src0_sel:BYTE_0 src1_sel:DWORD
	v_and_b32_e32 v195, 0x3030303, v194
	v_bfe_u32 v194, v194, 24, 2
	v_and_b32_e32 v196, 0x4040404, v196
	v_or_b32_sdwa v193, v199, v193 dst_sel:DWORD dst_unused:UNUSED_PAD src0_sel:WORD_0 src1_sel:DWORD
	v_sub_u16_e32 v197, v195, v196
	v_sub_u16_sdwa v199, v195, v196 dst_sel:BYTE_1 dst_unused:UNUSED_PAD src0_sel:BYTE_1 src1_sel:BYTE_1
	v_sub_u16_sdwa v194, v194, v196 dst_sel:BYTE_1 dst_unused:UNUSED_PAD src0_sel:DWORD src1_sel:BYTE_3
	v_sub_u16_sdwa v195, v195, v196 dst_sel:DWORD dst_unused:UNUSED_PAD src0_sel:WORD_1 src1_sel:WORD_1
	v_or_b32_sdwa v197, v197, v199 dst_sel:DWORD dst_unused:UNUSED_PAD src0_sel:BYTE_0 src1_sel:DWORD
	v_or_b32_sdwa v194, v195, v194 dst_sel:WORD_1 dst_unused:UNUSED_PAD src0_sel:BYTE_0 src1_sel:DWORD
	v_or_b32_sdwa v195, v197, v194 dst_sel:DWORD dst_unused:UNUSED_PAD src0_sel:WORD_0 src1_sel:DWORD
	ds_read2_b32 v[196:197], v119 offset0:6 offset1:7
	s_waitcnt lgkmcnt(0)
	v_ashrrev_i32_e32 v119, s22, v196
	v_add_u32_e32 v196, 0x4218, v198
	ds_read2_b32 v[198:199], v196 offset1:1
	v_and_b32_e32 v194, 0x3030303, v119
	v_bfe_u32 v119, v119, 24, 2
	s_waitcnt lgkmcnt(0)
	v_ashrrev_i32_e32 v196, s19, v198
	v_lshlrev_b32_e32 v196, 2, v196
	v_and_b32_e32 v196, 0x4040404, v196
	v_sub_u16_e32 v198, v194, v196
	v_sub_u16_sdwa v200, v194, v196 dst_sel:BYTE_1 dst_unused:UNUSED_PAD src0_sel:BYTE_1 src1_sel:BYTE_1
	v_sub_u16_sdwa v119, v119, v196 dst_sel:BYTE_1 dst_unused:UNUSED_PAD src0_sel:DWORD src1_sel:BYTE_3
	v_sub_u16_sdwa v194, v194, v196 dst_sel:DWORD dst_unused:UNUSED_PAD src0_sel:WORD_1 src1_sel:WORD_1
	v_or_b32_sdwa v198, v198, v200 dst_sel:DWORD dst_unused:UNUSED_PAD src0_sel:BYTE_0 src1_sel:DWORD
	v_or_b32_sdwa v119, v194, v119 dst_sel:WORD_1 dst_unused:UNUSED_PAD src0_sel:BYTE_0 src1_sel:DWORD
	v_or_b32_sdwa v196, v198, v119 dst_sel:DWORD dst_unused:UNUSED_PAD src0_sel:WORD_0 src1_sel:DWORD
	v_ashrrev_i32_e32 v119, s22, v197
	v_ashrrev_i32_e32 v197, s19, v199
	v_lshlrev_b32_e32 v197, 2, v197
	v_and_b32_e32 v194, 0x3030303, v119
	v_bfe_u32 v119, v119, 24, 2
	v_and_b32_e32 v197, 0x4040404, v197
	v_sub_u16_e32 v198, v194, v197
	v_sub_u16_sdwa v199, v194, v197 dst_sel:BYTE_1 dst_unused:UNUSED_PAD src0_sel:BYTE_1 src1_sel:BYTE_1
	v_sub_u16_sdwa v119, v119, v197 dst_sel:BYTE_1 dst_unused:UNUSED_PAD src0_sel:DWORD src1_sel:BYTE_3
	v_sub_u16_sdwa v194, v194, v197 dst_sel:DWORD dst_unused:UNUSED_PAD src0_sel:WORD_1 src1_sel:WORD_1
	v_or_b32_sdwa v198, v198, v199 dst_sel:DWORD dst_unused:UNUSED_PAD src0_sel:BYTE_0 src1_sel:DWORD
	v_or_b32_sdwa v119, v194, v119 dst_sel:WORD_1 dst_unused:UNUSED_PAD src0_sel:BYTE_0 src1_sel:DWORD
	v_or_b32_sdwa v197, v198, v119 dst_sel:DWORD dst_unused:UNUSED_PAD src0_sel:WORD_0 src1_sel:DWORD
	v_add3_u32 v119, v144, s21, v118
	v_add_u32_e32 v194, s25, v133
	ds_read_b32 v194, v194
	ds_read_u16 v119, v119 offset:35570
	v_mov_b32_e32 v199, 0
	v_dot4c_i32_i8_e32 v199, v188, v4
	v_dot4c_i32_i8_e32 v199, v190, v5
	;; [unrolled: 1-line block ×3, first 2 shown]
	s_waitcnt lgkmcnt(0)
	v_lshrrev_b16_e32 v200, 8, v119
	v_bfe_i32 v198, v119, 0, 8
	v_mov_b32_e32 v119, 0
	v_dot4c_i32_i8_e32 v119, v193, v0
	v_dot4c_i32_i8_e32 v119, v195, v1
	;; [unrolled: 1-line block ×5, first 2 shown]
	v_bfe_i32 v200, v200, 0, 8
	v_mul_lo_u32 v202, v199, v198
	v_add3_u32 v118, v146, s21, v118
	v_mad_u64_u32 v[202:203], s[26:27], v119, v200, v[202:203]
	v_cvt_f32_i32_e32 v199, v202
	v_mul_f32_e32 v119, v116, v194
	s_mov_b32 s21, s20
	v_fmac_f32_e32 v81, v119, v199
	v_add_u32_e32 v119, s24, v135
	ds_read2_b32 v[202:203], v119 offset1:1
	s_waitcnt lgkmcnt(0)
	v_ashrrev_i32_e32 v199, s22, v202
	v_add_u32_e32 v202, 0x4200, v210
	ds_read2_b32 v[204:205], v202 offset1:1
	v_and_b32_e32 v201, 0x3030303, v199
	v_bfe_u32 v199, v199, 24, 2
	s_waitcnt lgkmcnt(0)
	v_ashrrev_i32_e32 v202, s19, v204
	v_lshlrev_b32_e32 v202, 2, v202
	v_and_b32_e32 v202, 0x4040404, v202
	v_sub_u16_e32 v204, v201, v202
	v_sub_u16_sdwa v206, v201, v202 dst_sel:BYTE_1 dst_unused:UNUSED_PAD src0_sel:BYTE_1 src1_sel:BYTE_1
	v_sub_u16_sdwa v199, v199, v202 dst_sel:BYTE_1 dst_unused:UNUSED_PAD src0_sel:DWORD src1_sel:BYTE_3
	v_sub_u16_sdwa v201, v201, v202 dst_sel:DWORD dst_unused:UNUSED_PAD src0_sel:WORD_1 src1_sel:WORD_1
	v_or_b32_sdwa v199, v201, v199 dst_sel:WORD_1 dst_unused:UNUSED_PAD src0_sel:BYTE_0 src1_sel:DWORD
	v_ashrrev_i32_e32 v201, s22, v203
	v_ashrrev_i32_e32 v203, s19, v205
	v_lshlrev_b32_e32 v203, 2, v203
	v_or_b32_sdwa v204, v204, v206 dst_sel:DWORD dst_unused:UNUSED_PAD src0_sel:BYTE_0 src1_sel:DWORD
	v_and_b32_e32 v202, 0x3030303, v201
	v_bfe_u32 v201, v201, 24, 2
	v_and_b32_e32 v203, 0x4040404, v203
	v_or_b32_sdwa v199, v204, v199 dst_sel:DWORD dst_unused:UNUSED_PAD src0_sel:WORD_0 src1_sel:DWORD
	v_sub_u16_e32 v204, v202, v203
	v_sub_u16_sdwa v205, v202, v203 dst_sel:BYTE_1 dst_unused:UNUSED_PAD src0_sel:BYTE_1 src1_sel:BYTE_1
	v_sub_u16_sdwa v201, v201, v203 dst_sel:BYTE_1 dst_unused:UNUSED_PAD src0_sel:DWORD src1_sel:BYTE_3
	v_sub_u16_sdwa v202, v202, v203 dst_sel:DWORD dst_unused:UNUSED_PAD src0_sel:WORD_1 src1_sel:WORD_1
	v_or_b32_sdwa v204, v204, v205 dst_sel:DWORD dst_unused:UNUSED_PAD src0_sel:BYTE_0 src1_sel:DWORD
	v_or_b32_sdwa v201, v202, v201 dst_sel:WORD_1 dst_unused:UNUSED_PAD src0_sel:BYTE_0 src1_sel:DWORD
	v_or_b32_sdwa v201, v204, v201 dst_sel:DWORD dst_unused:UNUSED_PAD src0_sel:WORD_0 src1_sel:DWORD
	v_add_u32_e32 v204, 0x4208, v210
	ds_read2_b32 v[202:203], v119 offset0:2 offset1:3
	ds_read2_b32 v[204:205], v204 offset1:1
	s_waitcnt lgkmcnt(1)
	v_ashrrev_i32_e32 v202, s22, v202
	s_waitcnt lgkmcnt(0)
	v_ashrrev_i32_e32 v204, s19, v204
	v_lshlrev_b32_e32 v204, 2, v204
	v_and_b32_e32 v206, 0x3030303, v202
	v_bfe_u32 v202, v202, 24, 2
	v_and_b32_e32 v204, 0x4040404, v204
	v_ashrrev_i32_e32 v205, s19, v205
	v_sub_u16_e32 v207, v206, v204
	v_sub_u16_sdwa v208, v206, v204 dst_sel:BYTE_1 dst_unused:UNUSED_PAD src0_sel:BYTE_1 src1_sel:BYTE_1
	v_sub_u16_sdwa v202, v202, v204 dst_sel:BYTE_1 dst_unused:UNUSED_PAD src0_sel:DWORD src1_sel:BYTE_3
	v_sub_u16_sdwa v204, v206, v204 dst_sel:DWORD dst_unused:UNUSED_PAD src0_sel:WORD_1 src1_sel:WORD_1
	v_ashrrev_i32_e32 v203, s22, v203
	v_lshlrev_b32_e32 v205, 2, v205
	v_or_b32_sdwa v207, v207, v208 dst_sel:DWORD dst_unused:UNUSED_PAD src0_sel:BYTE_0 src1_sel:DWORD
	v_or_b32_sdwa v202, v204, v202 dst_sel:WORD_1 dst_unused:UNUSED_PAD src0_sel:BYTE_0 src1_sel:DWORD
	v_and_b32_e32 v204, 0x3030303, v203
	v_bfe_u32 v203, v203, 24, 2
	v_and_b32_e32 v205, 0x4040404, v205
	v_or_b32_sdwa v202, v207, v202 dst_sel:DWORD dst_unused:UNUSED_PAD src0_sel:WORD_0 src1_sel:DWORD
	v_sub_u16_e32 v206, v204, v205
	v_sub_u16_sdwa v207, v204, v205 dst_sel:BYTE_1 dst_unused:UNUSED_PAD src0_sel:BYTE_1 src1_sel:BYTE_1
	v_sub_u16_sdwa v203, v203, v205 dst_sel:BYTE_1 dst_unused:UNUSED_PAD src0_sel:DWORD src1_sel:BYTE_3
	v_sub_u16_sdwa v204, v204, v205 dst_sel:DWORD dst_unused:UNUSED_PAD src0_sel:WORD_1 src1_sel:WORD_1
	v_or_b32_sdwa v206, v206, v207 dst_sel:DWORD dst_unused:UNUSED_PAD src0_sel:BYTE_0 src1_sel:DWORD
	v_or_b32_sdwa v203, v204, v203 dst_sel:WORD_1 dst_unused:UNUSED_PAD src0_sel:BYTE_0 src1_sel:DWORD
	v_or_b32_sdwa v203, v206, v203 dst_sel:DWORD dst_unused:UNUSED_PAD src0_sel:WORD_0 src1_sel:DWORD
	v_add_u32_e32 v206, 0x4210, v210
	ds_read2_b32 v[204:205], v119 offset0:4 offset1:5
	ds_read2_b32 v[206:207], v206 offset1:1
	s_waitcnt lgkmcnt(1)
	v_ashrrev_i32_e32 v204, s22, v204
	s_waitcnt lgkmcnt(0)
	v_ashrrev_i32_e32 v206, s19, v206
	v_lshlrev_b32_e32 v206, 2, v206
	v_and_b32_e32 v208, 0x3030303, v204
	v_bfe_u32 v204, v204, 24, 2
	v_and_b32_e32 v206, 0x4040404, v206
	v_ashrrev_i32_e32 v207, s19, v207
	v_sub_u16_e32 v209, v208, v206
	v_sub_u16_sdwa v211, v208, v206 dst_sel:BYTE_1 dst_unused:UNUSED_PAD src0_sel:BYTE_1 src1_sel:BYTE_1
	v_sub_u16_sdwa v204, v204, v206 dst_sel:BYTE_1 dst_unused:UNUSED_PAD src0_sel:DWORD src1_sel:BYTE_3
	v_sub_u16_sdwa v206, v208, v206 dst_sel:DWORD dst_unused:UNUSED_PAD src0_sel:WORD_1 src1_sel:WORD_1
	v_ashrrev_i32_e32 v205, s22, v205
	v_lshlrev_b32_e32 v207, 2, v207
	v_or_b32_sdwa v209, v209, v211 dst_sel:DWORD dst_unused:UNUSED_PAD src0_sel:BYTE_0 src1_sel:DWORD
	v_or_b32_sdwa v204, v206, v204 dst_sel:WORD_1 dst_unused:UNUSED_PAD src0_sel:BYTE_0 src1_sel:DWORD
	v_and_b32_e32 v206, 0x3030303, v205
	v_bfe_u32 v205, v205, 24, 2
	v_and_b32_e32 v207, 0x4040404, v207
	v_or_b32_sdwa v204, v209, v204 dst_sel:DWORD dst_unused:UNUSED_PAD src0_sel:WORD_0 src1_sel:DWORD
	v_sub_u16_e32 v208, v206, v207
	v_sub_u16_sdwa v209, v206, v207 dst_sel:BYTE_1 dst_unused:UNUSED_PAD src0_sel:BYTE_1 src1_sel:BYTE_1
	v_sub_u16_sdwa v205, v205, v207 dst_sel:BYTE_1 dst_unused:UNUSED_PAD src0_sel:DWORD src1_sel:BYTE_3
	v_sub_u16_sdwa v206, v206, v207 dst_sel:DWORD dst_unused:UNUSED_PAD src0_sel:WORD_1 src1_sel:WORD_1
	v_or_b32_sdwa v208, v208, v209 dst_sel:DWORD dst_unused:UNUSED_PAD src0_sel:BYTE_0 src1_sel:DWORD
	v_or_b32_sdwa v205, v206, v205 dst_sel:WORD_1 dst_unused:UNUSED_PAD src0_sel:BYTE_0 src1_sel:DWORD
	v_add_u32_e32 v207, 0x4218, v210
	v_or_b32_sdwa v206, v208, v205 dst_sel:DWORD dst_unused:UNUSED_PAD src0_sel:WORD_0 src1_sel:DWORD
	ds_read2_b32 v[208:209], v119 offset0:6 offset1:7
	ds_read2_b32 v[210:211], v207 offset1:1
	s_waitcnt lgkmcnt(1)
	v_ashrrev_i32_e32 v119, s22, v208
	s_waitcnt lgkmcnt(0)
	v_ashrrev_i32_e32 v207, s19, v210
	v_lshlrev_b32_e32 v207, 2, v207
	v_and_b32_e32 v205, 0x3030303, v119
	v_bfe_u32 v119, v119, 24, 2
	v_and_b32_e32 v207, 0x4040404, v207
	v_sub_u16_e32 v208, v205, v207
	v_sub_u16_sdwa v210, v205, v207 dst_sel:BYTE_1 dst_unused:UNUSED_PAD src0_sel:BYTE_1 src1_sel:BYTE_1
	v_sub_u16_sdwa v119, v119, v207 dst_sel:BYTE_1 dst_unused:UNUSED_PAD src0_sel:DWORD src1_sel:BYTE_3
	v_sub_u16_sdwa v205, v205, v207 dst_sel:DWORD dst_unused:UNUSED_PAD src0_sel:WORD_1 src1_sel:WORD_1
	v_or_b32_sdwa v208, v208, v210 dst_sel:DWORD dst_unused:UNUSED_PAD src0_sel:BYTE_0 src1_sel:DWORD
	v_or_b32_sdwa v119, v205, v119 dst_sel:WORD_1 dst_unused:UNUSED_PAD src0_sel:BYTE_0 src1_sel:DWORD
	v_or_b32_sdwa v207, v208, v119 dst_sel:DWORD dst_unused:UNUSED_PAD src0_sel:WORD_0 src1_sel:DWORD
	v_ashrrev_i32_e32 v208, s19, v211
	v_ashrrev_i32_e32 v119, s22, v209
	v_lshlrev_b32_e32 v208, 2, v208
	v_and_b32_e32 v205, 0x3030303, v119
	v_bfe_u32 v119, v119, 24, 2
	v_and_b32_e32 v208, 0x4040404, v208
	v_sub_u16_e32 v209, v205, v208
	v_sub_u16_sdwa v210, v205, v208 dst_sel:BYTE_1 dst_unused:UNUSED_PAD src0_sel:BYTE_1 src1_sel:BYTE_1
	v_sub_u16_sdwa v119, v119, v208 dst_sel:BYTE_1 dst_unused:UNUSED_PAD src0_sel:DWORD src1_sel:BYTE_3
	v_sub_u16_sdwa v205, v205, v208 dst_sel:DWORD dst_unused:UNUSED_PAD src0_sel:WORD_1 src1_sel:WORD_1
	v_or_b32_sdwa v209, v209, v210 dst_sel:DWORD dst_unused:UNUSED_PAD src0_sel:BYTE_0 src1_sel:DWORD
	v_or_b32_sdwa v119, v205, v119 dst_sel:WORD_1 dst_unused:UNUSED_PAD src0_sel:BYTE_0 src1_sel:DWORD
	v_or_b32_sdwa v208, v209, v119 dst_sel:DWORD dst_unused:UNUSED_PAD src0_sel:WORD_0 src1_sel:DWORD
	v_add_u32_e32 v119, s25, v136
	ds_read_b32 v205, v119
	v_mov_b32_e32 v119, 0
	v_dot4c_i32_i8_e32 v119, v199, v4
	ds_read_u16 v4, v118 offset:36594
	v_dot4c_i32_i8_e32 v119, v201, v5
	v_dot4c_i32_i8_e32 v119, v202, v6
	v_mov_b32_e32 v6, 0
	v_dot4c_i32_i8_e32 v6, v204, v0
	v_dot4c_i32_i8_e32 v6, v206, v1
	;; [unrolled: 1-line block ×3, first 2 shown]
	s_waitcnt lgkmcnt(0)
	v_lshrrev_b16_e32 v5, 8, v4
	v_bfe_i32 v209, v4, 0, 8
	v_dot4c_i32_i8_e32 v6, v207, v2
	v_mul_lo_u32 v4, v119, v209
	v_dot4c_i32_i8_e32 v6, v208, v3
	v_bfe_i32 v210, v5, 0, 8
	v_mov_b32_e32 v118, 0
	s_add_i32 s19, s19, 1
	v_mad_u64_u32 v[0:1], s[22:23], v6, v210, v[4:5]
	v_cvt_f32_i32_e32 v0, v0
	v_mul_f32_e32 v1, v116, v205
	v_mov_b32_e32 v116, 0
	s_cmp_lt_u32 s20, 22
	v_fmac_f32_e32 v79, v1, v0
	ds_read_b128 v[0:3], v165 offset:1024
	ds_read_b128 v[4:7], v165 offset:1040
	s_waitcnt lgkmcnt(1)
	v_dot4c_i32_i8_e32 v116, v167, v0
	v_dot4c_i32_i8_e32 v116, v168, v1
	s_waitcnt lgkmcnt(0)
	v_dot4c_i32_i8_e32 v118, v172, v4
	v_dot4c_i32_i8_e32 v116, v169, v2
	;; [unrolled: 1-line block ×6, first 2 shown]
	s_nop 0
	v_mul_lo_u32 v116, v116, v176
	s_nop 0
	v_mad_u64_u32 v[118:119], s[22:23], v118, v178, v[116:117]
	v_cvt_f32_i32_e32 v118, v118
	v_mul_f32_e32 v116, v171, v117
	v_fmac_f32_e32 v71, v116, v118
	v_mov_b32_e32 v116, 0
	v_dot4c_i32_i8_e32 v116, v177, v0
	v_mov_b32_e32 v118, 0
	v_dot4c_i32_i8_e32 v116, v179, v1
	v_dot4c_i32_i8_e32 v118, v182, v4
	;; [unrolled: 1-line block ×7, first 2 shown]
	s_nop 0
	v_mul_lo_u32 v116, v116, v187
	s_nop 0
	v_mad_u64_u32 v[118:119], s[22:23], v118, v189, v[116:117]
	v_cvt_f32_i32_e32 v118, v118
	v_mul_f32_e32 v116, v183, v117
	v_fmac_f32_e32 v69, v116, v118
	v_mov_b32_e32 v116, 0
	v_dot4c_i32_i8_e32 v116, v188, v0
	v_mov_b32_e32 v118, 0
	v_dot4c_i32_i8_e32 v116, v190, v1
	v_dot4c_i32_i8_e32 v118, v193, v4
	;; [unrolled: 1-line block ×7, first 2 shown]
	s_nop 0
	v_mul_lo_u32 v116, v116, v198
	s_nop 0
	v_mad_u64_u32 v[118:119], s[22:23], v118, v200, v[116:117]
	v_cvt_f32_i32_e32 v118, v118
	v_mul_f32_e32 v116, v194, v117
	v_mov_b32_e32 v119, 0
	v_fmac_f32_e32 v67, v116, v118
	v_mov_b32_e32 v116, 0
	v_dot4c_i32_i8_e32 v116, v199, v0
	v_dot4c_i32_i8_e32 v116, v201, v1
	v_mov_b32_e32 v1, 0
	v_dot4c_i32_i8_e32 v1, v204, v4
	v_dot4c_i32_i8_e32 v116, v202, v2
	;; [unrolled: 1-line block ×6, first 2 shown]
	v_mov_b32_e32 v118, 0
	v_mul_lo_u32 v0, v116, v209
	s_nop 0
	v_mad_u64_u32 v[0:1], s[22:23], v1, v210, v[0:1]
	v_cvt_f32_i32_e32 v0, v0
	v_mul_f32_e32 v1, v205, v117
	v_fmac_f32_e32 v65, v1, v0
	ds_read2_b32 v[116:117], v166 offset0:64 offset1:96
	ds_read_b128 v[0:3], v165 offset:2048
	ds_read_b128 v[4:7], v165 offset:2064
	s_waitcnt lgkmcnt(1)
	v_dot4c_i32_i8_e32 v118, v167, v0
	v_dot4c_i32_i8_e32 v118, v168, v1
	s_waitcnt lgkmcnt(0)
	v_dot4c_i32_i8_e32 v119, v172, v4
	v_dot4c_i32_i8_e32 v118, v169, v2
	;; [unrolled: 1-line block ×6, first 2 shown]
	s_nop 0
	v_mul_lo_u32 v118, v118, v176
	s_nop 0
	v_mad_u64_u32 v[118:119], s[22:23], v119, v178, v[118:119]
	v_cvt_f32_i32_e32 v118, v118
	v_mul_f32_e32 v119, v171, v116
	v_fmac_f32_e32 v59, v119, v118
	v_mov_b32_e32 v118, 0
	v_dot4c_i32_i8_e32 v118, v177, v0
	v_mov_b32_e32 v119, 0
	v_dot4c_i32_i8_e32 v118, v179, v1
	v_dot4c_i32_i8_e32 v119, v182, v4
	;; [unrolled: 1-line block ×7, first 2 shown]
	s_nop 0
	v_mul_lo_u32 v118, v118, v187
	s_nop 0
	v_mad_u64_u32 v[118:119], s[22:23], v119, v189, v[118:119]
	v_cvt_f32_i32_e32 v118, v118
	v_mul_f32_e32 v119, v183, v116
	v_fmac_f32_e32 v57, v119, v118
	v_mov_b32_e32 v118, 0
	v_dot4c_i32_i8_e32 v118, v188, v0
	v_mov_b32_e32 v119, 0
	v_dot4c_i32_i8_e32 v118, v190, v1
	v_dot4c_i32_i8_e32 v119, v193, v4
	;; [unrolled: 1-line block ×7, first 2 shown]
	s_nop 0
	v_mul_lo_u32 v118, v118, v198
	s_nop 0
	v_mad_u64_u32 v[118:119], s[22:23], v119, v200, v[118:119]
	v_cvt_f32_i32_e32 v118, v118
	v_mul_f32_e32 v119, v194, v116
	v_fmac_f32_e32 v55, v119, v118
	v_mov_b32_e32 v118, 0
	v_dot4c_i32_i8_e32 v118, v199, v0
	v_dot4c_i32_i8_e32 v118, v201, v1
	v_mov_b32_e32 v1, 0
	v_dot4c_i32_i8_e32 v1, v204, v4
	v_dot4c_i32_i8_e32 v118, v202, v2
	;; [unrolled: 1-line block ×6, first 2 shown]
	s_nop 0
	v_mul_lo_u32 v0, v118, v209
	v_mov_b32_e32 v118, 0
	v_mad_u64_u32 v[0:1], s[22:23], v1, v210, v[0:1]
	v_cvt_f32_i32_e32 v0, v0
	v_mul_f32_e32 v1, v205, v116
	v_mov_b32_e32 v116, 0
	v_fmac_f32_e32 v53, v1, v0
	ds_read_b128 v[0:3], v165 offset:3072
	ds_read_b128 v[4:7], v165 offset:3088
	s_waitcnt lgkmcnt(1)
	v_dot4c_i32_i8_e32 v116, v167, v0
	v_dot4c_i32_i8_e32 v116, v168, v1
	s_waitcnt lgkmcnt(0)
	v_dot4c_i32_i8_e32 v118, v172, v4
	v_dot4c_i32_i8_e32 v116, v169, v2
	;; [unrolled: 1-line block ×6, first 2 shown]
	s_nop 0
	v_mul_lo_u32 v116, v116, v176
	s_nop 0
	v_mad_u64_u32 v[118:119], s[22:23], v118, v178, v[116:117]
	v_cvt_f32_i32_e32 v118, v118
	v_mul_f32_e32 v116, v171, v117
	v_fmac_f32_e32 v51, v116, v118
	v_mov_b32_e32 v116, 0
	v_dot4c_i32_i8_e32 v116, v177, v0
	v_mov_b32_e32 v118, 0
	v_dot4c_i32_i8_e32 v116, v179, v1
	v_dot4c_i32_i8_e32 v118, v182, v4
	;; [unrolled: 1-line block ×7, first 2 shown]
	s_nop 0
	v_mul_lo_u32 v116, v116, v187
	s_nop 0
	v_mad_u64_u32 v[118:119], s[22:23], v118, v189, v[116:117]
	v_cvt_f32_i32_e32 v118, v118
	v_mul_f32_e32 v116, v183, v117
	v_fmac_f32_e32 v49, v116, v118
	v_mov_b32_e32 v116, 0
	v_dot4c_i32_i8_e32 v116, v188, v0
	v_mov_b32_e32 v118, 0
	v_dot4c_i32_i8_e32 v116, v190, v1
	v_dot4c_i32_i8_e32 v118, v193, v4
	;; [unrolled: 1-line block ×7, first 2 shown]
	s_nop 0
	v_mul_lo_u32 v116, v116, v198
	s_nop 0
	v_mad_u64_u32 v[118:119], s[22:23], v118, v200, v[116:117]
	v_cvt_f32_i32_e32 v118, v118
	v_mul_f32_e32 v116, v194, v117
	v_mov_b32_e32 v119, 0
	v_fmac_f32_e32 v47, v116, v118
	v_mov_b32_e32 v116, 0
	v_dot4c_i32_i8_e32 v116, v199, v0
	v_dot4c_i32_i8_e32 v116, v201, v1
	v_mov_b32_e32 v1, 0
	v_dot4c_i32_i8_e32 v1, v204, v4
	v_dot4c_i32_i8_e32 v116, v202, v2
	;; [unrolled: 1-line block ×6, first 2 shown]
	v_mov_b32_e32 v118, 0
	v_mul_lo_u32 v0, v116, v209
	s_nop 0
	v_mad_u64_u32 v[0:1], s[22:23], v1, v210, v[0:1]
	v_cvt_f32_i32_e32 v0, v0
	v_mul_f32_e32 v1, v205, v117
	v_fmac_f32_e32 v45, v1, v0
	ds_read2_b32 v[116:117], v166 offset0:128 offset1:160
	ds_read_b128 v[0:3], v165 offset:4096
	ds_read_b128 v[4:7], v165 offset:4112
	s_waitcnt lgkmcnt(1)
	v_dot4c_i32_i8_e32 v118, v167, v0
	v_dot4c_i32_i8_e32 v118, v168, v1
	s_waitcnt lgkmcnt(0)
	v_dot4c_i32_i8_e32 v119, v172, v4
	v_dot4c_i32_i8_e32 v118, v169, v2
	;; [unrolled: 1-line block ×6, first 2 shown]
	s_nop 0
	v_mul_lo_u32 v118, v118, v176
	s_nop 0
	v_mad_u64_u32 v[118:119], s[22:23], v119, v178, v[118:119]
	v_cvt_f32_i32_e32 v118, v118
	v_mul_f32_e32 v119, v171, v116
	v_fmac_f32_e32 v43, v119, v118
	v_mov_b32_e32 v118, 0
	v_dot4c_i32_i8_e32 v118, v177, v0
	v_mov_b32_e32 v119, 0
	v_dot4c_i32_i8_e32 v118, v179, v1
	v_dot4c_i32_i8_e32 v119, v182, v4
	v_dot4c_i32_i8_e32 v118, v180, v2
	v_dot4c_i32_i8_e32 v119, v184, v5
	v_dot4c_i32_i8_e32 v118, v181, v3
	v_dot4c_i32_i8_e32 v119, v185, v6
	v_dot4c_i32_i8_e32 v119, v186, v7
	s_nop 0
	v_mul_lo_u32 v118, v118, v187
	s_nop 0
	v_mad_u64_u32 v[118:119], s[22:23], v119, v189, v[118:119]
	v_cvt_f32_i32_e32 v118, v118
	v_mul_f32_e32 v119, v183, v116
	v_fmac_f32_e32 v39, v119, v118
	v_mov_b32_e32 v118, 0
	v_dot4c_i32_i8_e32 v118, v188, v0
	v_mov_b32_e32 v119, 0
	v_dot4c_i32_i8_e32 v118, v190, v1
	v_dot4c_i32_i8_e32 v119, v193, v4
	;; [unrolled: 1-line block ×7, first 2 shown]
	s_nop 0
	v_mul_lo_u32 v118, v118, v198
	s_nop 0
	v_mad_u64_u32 v[118:119], s[22:23], v119, v200, v[118:119]
	v_cvt_f32_i32_e32 v118, v118
	v_mul_f32_e32 v119, v194, v116
	v_fmac_f32_e32 v35, v119, v118
	v_mov_b32_e32 v118, 0
	v_dot4c_i32_i8_e32 v118, v199, v0
	v_dot4c_i32_i8_e32 v118, v201, v1
	v_mov_b32_e32 v1, 0
	v_dot4c_i32_i8_e32 v1, v204, v4
	v_dot4c_i32_i8_e32 v118, v202, v2
	;; [unrolled: 1-line block ×6, first 2 shown]
	s_nop 0
	v_mul_lo_u32 v0, v118, v209
	v_mov_b32_e32 v118, 0
	v_mad_u64_u32 v[0:1], s[22:23], v1, v210, v[0:1]
	v_cvt_f32_i32_e32 v0, v0
	v_mul_f32_e32 v1, v205, v116
	v_mov_b32_e32 v116, 0
	v_fmac_f32_e32 v33, v1, v0
	ds_read_b128 v[0:3], v165 offset:5120
	ds_read_b128 v[4:7], v165 offset:5136
	s_waitcnt lgkmcnt(1)
	v_dot4c_i32_i8_e32 v116, v167, v0
	v_dot4c_i32_i8_e32 v116, v168, v1
	s_waitcnt lgkmcnt(0)
	v_dot4c_i32_i8_e32 v118, v172, v4
	v_dot4c_i32_i8_e32 v116, v169, v2
	;; [unrolled: 1-line block ×6, first 2 shown]
	s_nop 0
	v_mul_lo_u32 v116, v116, v176
	s_nop 0
	v_mad_u64_u32 v[118:119], s[22:23], v118, v178, v[116:117]
	v_cvt_f32_i32_e32 v118, v118
	v_mul_f32_e32 v116, v171, v117
	v_fmac_f32_e32 v31, v116, v118
	v_mov_b32_e32 v116, 0
	v_dot4c_i32_i8_e32 v116, v177, v0
	v_mov_b32_e32 v118, 0
	v_dot4c_i32_i8_e32 v116, v179, v1
	v_dot4c_i32_i8_e32 v118, v182, v4
	;; [unrolled: 1-line block ×7, first 2 shown]
	s_nop 0
	v_mul_lo_u32 v116, v116, v187
	s_nop 0
	v_mad_u64_u32 v[118:119], s[22:23], v118, v189, v[116:117]
	v_cvt_f32_i32_e32 v118, v118
	v_mul_f32_e32 v116, v183, v117
	v_fmac_f32_e32 v29, v116, v118
	v_mov_b32_e32 v116, 0
	v_dot4c_i32_i8_e32 v116, v188, v0
	v_mov_b32_e32 v118, 0
	v_dot4c_i32_i8_e32 v116, v190, v1
	v_dot4c_i32_i8_e32 v118, v193, v4
	;; [unrolled: 1-line block ×7, first 2 shown]
	s_nop 0
	v_mul_lo_u32 v116, v116, v198
	s_nop 0
	v_mad_u64_u32 v[118:119], s[22:23], v118, v200, v[116:117]
	v_cvt_f32_i32_e32 v118, v118
	v_mul_f32_e32 v116, v194, v117
	v_mov_b32_e32 v119, 0
	v_fmac_f32_e32 v27, v116, v118
	v_mov_b32_e32 v116, 0
	v_dot4c_i32_i8_e32 v116, v199, v0
	v_dot4c_i32_i8_e32 v116, v201, v1
	v_mov_b32_e32 v1, 0
	v_dot4c_i32_i8_e32 v1, v204, v4
	v_dot4c_i32_i8_e32 v116, v202, v2
	v_dot4c_i32_i8_e32 v1, v206, v5
	v_dot4c_i32_i8_e32 v116, v203, v3
	v_dot4c_i32_i8_e32 v1, v207, v6
	v_dot4c_i32_i8_e32 v1, v208, v7
	v_mov_b32_e32 v118, 0
	v_mul_lo_u32 v0, v116, v209
	s_nop 0
	v_mad_u64_u32 v[0:1], s[22:23], v1, v210, v[0:1]
	v_cvt_f32_i32_e32 v0, v0
	v_mul_f32_e32 v1, v205, v117
	v_fmac_f32_e32 v25, v1, v0
	ds_read2_b32 v[116:117], v166 offset0:192 offset1:224
	ds_read_b128 v[4:7], v165 offset:6144
	ds_read_b128 v[0:3], v165 offset:6160
	v_add_u32_e32 v166, 4, v166
	s_waitcnt lgkmcnt(1)
	v_dot4c_i32_i8_e32 v118, v167, v4
	v_dot4c_i32_i8_e32 v118, v168, v5
	s_waitcnt lgkmcnt(0)
	v_dot4c_i32_i8_e32 v119, v172, v0
	v_dot4c_i32_i8_e32 v118, v169, v6
	;; [unrolled: 1-line block ×6, first 2 shown]
	s_nop 0
	v_mul_lo_u32 v118, v118, v176
	s_nop 0
	v_mad_u64_u32 v[118:119], s[22:23], v119, v178, v[118:119]
	v_cvt_f32_i32_e32 v118, v118
	v_mul_f32_e32 v119, v171, v116
	v_fmac_f32_e32 v23, v119, v118
	v_mov_b32_e32 v118, 0
	v_dot4c_i32_i8_e32 v118, v177, v4
	v_mov_b32_e32 v119, 0
	v_dot4c_i32_i8_e32 v118, v179, v5
	v_dot4c_i32_i8_e32 v119, v182, v0
	;; [unrolled: 1-line block ×7, first 2 shown]
	s_nop 0
	v_mul_lo_u32 v118, v118, v187
	s_nop 0
	v_mad_u64_u32 v[118:119], s[22:23], v119, v189, v[118:119]
	v_cvt_f32_i32_e32 v118, v118
	v_mul_f32_e32 v119, v183, v116
	v_fmac_f32_e32 v21, v119, v118
	v_mov_b32_e32 v118, 0
	v_dot4c_i32_i8_e32 v118, v188, v4
	v_mov_b32_e32 v119, 0
	v_dot4c_i32_i8_e32 v118, v190, v5
	v_dot4c_i32_i8_e32 v119, v193, v0
	;; [unrolled: 1-line block ×7, first 2 shown]
	s_nop 0
	v_mul_lo_u32 v118, v118, v198
	s_nop 0
	v_mad_u64_u32 v[118:119], s[22:23], v119, v200, v[118:119]
	v_cvt_f32_i32_e32 v118, v118
	v_mul_f32_e32 v119, v194, v116
	v_fmac_f32_e32 v19, v119, v118
	v_mov_b32_e32 v118, 0
	v_dot4c_i32_i8_e32 v118, v199, v4
	v_dot4c_i32_i8_e32 v118, v201, v5
	v_mov_b32_e32 v5, 0
	v_dot4c_i32_i8_e32 v5, v204, v0
	v_dot4c_i32_i8_e32 v118, v202, v6
	;; [unrolled: 1-line block ×6, first 2 shown]
	s_nop 0
	v_mul_lo_u32 v4, v118, v209
	v_mov_b32_e32 v118, 0
	v_mad_u64_u32 v[0:1], s[22:23], v5, v210, v[4:5]
	v_cvt_f32_i32_e32 v0, v0
	v_mul_f32_e32 v1, v205, v116
	v_mov_b32_e32 v116, 0
	v_fmac_f32_e32 v17, v1, v0
	ds_read_b128 v[0:3], v165 offset:7168
	ds_read_b128 v[4:7], v165 offset:7184
	v_add_u32_e32 v165, 32, v165
	s_waitcnt lgkmcnt(1)
	v_dot4c_i32_i8_e32 v116, v167, v0
	v_dot4c_i32_i8_e32 v116, v168, v1
	s_waitcnt lgkmcnt(0)
	v_dot4c_i32_i8_e32 v118, v172, v4
	v_dot4c_i32_i8_e32 v116, v169, v2
	;; [unrolled: 1-line block ×6, first 2 shown]
	s_nop 0
	v_mul_lo_u32 v116, v116, v176
	s_nop 0
	v_mad_u64_u32 v[118:119], s[22:23], v118, v178, v[116:117]
	v_cvt_f32_i32_e32 v118, v118
	v_mul_f32_e32 v116, v171, v117
	v_fmac_f32_e32 v15, v116, v118
	v_mov_b32_e32 v116, 0
	v_dot4c_i32_i8_e32 v116, v177, v0
	v_mov_b32_e32 v118, 0
	v_dot4c_i32_i8_e32 v116, v179, v1
	v_dot4c_i32_i8_e32 v118, v182, v4
	;; [unrolled: 1-line block ×7, first 2 shown]
	s_nop 0
	v_mul_lo_u32 v116, v116, v187
	s_nop 0
	v_mad_u64_u32 v[118:119], s[22:23], v118, v189, v[116:117]
	v_cvt_f32_i32_e32 v118, v118
	v_mul_f32_e32 v116, v183, v117
	v_fmac_f32_e32 v13, v116, v118
	v_mov_b32_e32 v116, 0
	v_dot4c_i32_i8_e32 v116, v188, v0
	v_mov_b32_e32 v118, 0
	v_dot4c_i32_i8_e32 v116, v190, v1
	v_dot4c_i32_i8_e32 v118, v193, v4
	;; [unrolled: 1-line block ×7, first 2 shown]
	s_nop 0
	v_mul_lo_u32 v116, v116, v198
	s_nop 0
	v_mad_u64_u32 v[118:119], s[22:23], v118, v200, v[116:117]
	v_cvt_f32_i32_e32 v118, v118
	v_mul_f32_e32 v116, v194, v117
	v_fmac_f32_e32 v11, v116, v118
	v_mov_b32_e32 v116, 0
	v_dot4c_i32_i8_e32 v116, v199, v0
	v_dot4c_i32_i8_e32 v116, v201, v1
	v_mov_b32_e32 v1, 0
	v_dot4c_i32_i8_e32 v1, v204, v4
	v_dot4c_i32_i8_e32 v116, v202, v2
	;; [unrolled: 1-line block ×6, first 2 shown]
	s_nop 0
	v_mul_lo_u32 v0, v116, v209
	s_nop 0
	v_mad_u64_u32 v[0:1], s[22:23], v1, v210, v[0:1]
	v_cvt_f32_i32_e32 v0, v0
	v_mul_f32_e32 v1, v205, v117
	v_fmac_f32_e32 v9, v1, v0
	s_cbranch_scc1 .LBB150_12
; %bb.13:                               ;   in Loop: Header=BB150_6 Depth=1
	v_add_u32_e32 v165, s17, v139
	v_add_u32_e32 v0, v165, v87
	;; [unrolled: 1-line block ×10, first 2 shown]
	v_mad_i64_i32 v[0:1], s[18:19], v0, 36, v[112:113]
	v_mad_i64_i32 v[2:3], s[18:19], v2, 36, v[112:113]
	;; [unrolled: 1-line block ×5, first 2 shown]
	v_mad_u64_u32 v[164:165], s[18:19], v164, 36, s[2:3]
	s_barrier
	v_mad_i64_i32 v[116:117], s[18:19], v116, 36, v[112:113]
	v_mad_i64_i32 v[118:119], s[18:19], v118, 36, v[112:113]
	;; [unrolled: 1-line block ×3, first 2 shown]
	global_load_dword v165, v[164:165], off
	s_nop 0
	global_load_dword v0, v[0:1], off offset:4
	s_nop 0
	global_load_dword v1, v[2:3], off offset:4
	;; [unrolled: 2-line block ×3, first 2 shown]
	global_load_dword v3, v[6:7], off offset:4
	s_nop 0
	global_load_dword v4, v[116:117], off offset:4
	global_load_dword v5, v[118:119], off offset:4
	;; [unrolled: 1-line block ×4, first 2 shown]
	s_mov_b32 s17, 24
	s_mov_b32 s20, 22
	;; [unrolled: 1-line block ×3, first 2 shown]
	v_mov_b32_e32 v164, v149
	s_waitcnt vmcnt(8)
	v_cvt_f32_f16_e32 v116, v165
	v_mov_b32_e32 v165, v148
	s_waitcnt vmcnt(7)
	ds_write_b32 v91, v0
	s_waitcnt vmcnt(6)
	ds_write_b32 v97, v1
	;; [unrolled: 2-line block ×8, first 2 shown]
	ds_write_b32 v85, v116
	s_waitcnt lgkmcnt(0)
	s_barrier
.LBB150_14:                             ;   Parent Loop BB150_6 Depth=1
                                        ; =>  This Inner Loop Header: Depth=2
	s_add_i32 s19, s20, 2
	s_lshr_b32 s24, s19, 4
	s_and_b32 s23, s19, 0x3ffffff8
	s_lshl_b32 s22, s24, 3
	s_lshl_b32 s23, s23, 2
	v_add_lshl_u32 v176, v125, s22, 2
	v_add_u32_e32 v119, s23, v126
	v_add_u32_e32 v168, 0x4200, v176
	ds_read2_b32 v[116:117], v165 offset1:32
	ds_read_b128 v[4:7], v164
	ds_read_b128 v[0:3], v164 offset:16
	ds_read2_b32 v[166:167], v119 offset1:1
	ds_read2_b32 v[168:169], v168 offset1:1
	s_and_b32 s21, s17, -16
	v_add_u32_e32 v118, s21, v124
	s_sub_i32 s21, s20, 22
	s_waitcnt lgkmcnt(1)
	v_ashrrev_i32_e32 v166, s21, v166
	s_waitcnt lgkmcnt(0)
	v_ashrrev_i32_e32 v168, s18, v168
	v_lshlrev_b32_e32 v168, 2, v168
	v_and_b32_e32 v170, 0x3030303, v166
	v_bfe_u32 v166, v166, 24, 2
	v_and_b32_e32 v168, 0x4040404, v168
	v_ashrrev_i32_e32 v169, s18, v169
	v_sub_u16_e32 v171, v170, v168
	v_sub_u16_sdwa v172, v170, v168 dst_sel:BYTE_1 dst_unused:UNUSED_PAD src0_sel:BYTE_1 src1_sel:BYTE_1
	v_sub_u16_sdwa v166, v166, v168 dst_sel:BYTE_1 dst_unused:UNUSED_PAD src0_sel:DWORD src1_sel:BYTE_3
	v_sub_u16_sdwa v168, v170, v168 dst_sel:DWORD dst_unused:UNUSED_PAD src0_sel:WORD_1 src1_sel:WORD_1
	v_ashrrev_i32_e32 v167, s21, v167
	v_lshlrev_b32_e32 v169, 2, v169
	v_or_b32_sdwa v171, v171, v172 dst_sel:DWORD dst_unused:UNUSED_PAD src0_sel:BYTE_0 src1_sel:DWORD
	v_or_b32_sdwa v166, v168, v166 dst_sel:WORD_1 dst_unused:UNUSED_PAD src0_sel:BYTE_0 src1_sel:DWORD
	v_and_b32_e32 v168, 0x3030303, v167
	v_bfe_u32 v167, v167, 24, 2
	v_and_b32_e32 v169, 0x4040404, v169
	v_or_b32_sdwa v166, v171, v166 dst_sel:DWORD dst_unused:UNUSED_PAD src0_sel:WORD_0 src1_sel:DWORD
	v_sub_u16_e32 v170, v168, v169
	v_sub_u16_sdwa v171, v168, v169 dst_sel:BYTE_1 dst_unused:UNUSED_PAD src0_sel:BYTE_1 src1_sel:BYTE_1
	v_sub_u16_sdwa v167, v167, v169 dst_sel:BYTE_1 dst_unused:UNUSED_PAD src0_sel:DWORD src1_sel:BYTE_3
	v_sub_u16_sdwa v168, v168, v169 dst_sel:DWORD dst_unused:UNUSED_PAD src0_sel:WORD_1 src1_sel:WORD_1
	v_or_b32_sdwa v170, v170, v171 dst_sel:DWORD dst_unused:UNUSED_PAD src0_sel:BYTE_0 src1_sel:DWORD
	v_or_b32_sdwa v167, v168, v167 dst_sel:WORD_1 dst_unused:UNUSED_PAD src0_sel:BYTE_0 src1_sel:DWORD
	v_or_b32_sdwa v167, v170, v167 dst_sel:DWORD dst_unused:UNUSED_PAD src0_sel:WORD_0 src1_sel:DWORD
	v_add_u32_e32 v170, 0x4208, v176
	ds_read2_b32 v[168:169], v119 offset0:2 offset1:3
	ds_read2_b32 v[170:171], v170 offset1:1
	s_lshl_b32 s24, s24, 2
	v_add_lshl_u32 v186, v128, s22, 2
	v_add_u32_e32 v180, 0x4200, v186
	s_waitcnt lgkmcnt(1)
	v_ashrrev_i32_e32 v168, s21, v168
	s_waitcnt lgkmcnt(0)
	v_ashrrev_i32_e32 v170, s18, v170
	v_lshlrev_b32_e32 v170, 2, v170
	v_and_b32_e32 v172, 0x3030303, v168
	v_bfe_u32 v168, v168, 24, 2
	v_and_b32_e32 v170, 0x4040404, v170
	v_ashrrev_i32_e32 v171, s18, v171
	v_sub_u16_e32 v173, v172, v170
	v_sub_u16_sdwa v174, v172, v170 dst_sel:BYTE_1 dst_unused:UNUSED_PAD src0_sel:BYTE_1 src1_sel:BYTE_1
	v_sub_u16_sdwa v168, v168, v170 dst_sel:BYTE_1 dst_unused:UNUSED_PAD src0_sel:DWORD src1_sel:BYTE_3
	v_sub_u16_sdwa v170, v172, v170 dst_sel:DWORD dst_unused:UNUSED_PAD src0_sel:WORD_1 src1_sel:WORD_1
	v_ashrrev_i32_e32 v169, s21, v169
	v_lshlrev_b32_e32 v171, 2, v171
	v_or_b32_sdwa v173, v173, v174 dst_sel:DWORD dst_unused:UNUSED_PAD src0_sel:BYTE_0 src1_sel:DWORD
	v_or_b32_sdwa v168, v170, v168 dst_sel:WORD_1 dst_unused:UNUSED_PAD src0_sel:BYTE_0 src1_sel:DWORD
	v_and_b32_e32 v170, 0x3030303, v169
	v_bfe_u32 v169, v169, 24, 2
	v_and_b32_e32 v171, 0x4040404, v171
	v_or_b32_sdwa v168, v173, v168 dst_sel:DWORD dst_unused:UNUSED_PAD src0_sel:WORD_0 src1_sel:DWORD
	v_sub_u16_e32 v172, v170, v171
	v_sub_u16_sdwa v173, v170, v171 dst_sel:BYTE_1 dst_unused:UNUSED_PAD src0_sel:BYTE_1 src1_sel:BYTE_1
	v_sub_u16_sdwa v169, v169, v171 dst_sel:BYTE_1 dst_unused:UNUSED_PAD src0_sel:DWORD src1_sel:BYTE_3
	v_sub_u16_sdwa v170, v170, v171 dst_sel:DWORD dst_unused:UNUSED_PAD src0_sel:WORD_1 src1_sel:WORD_1
	v_or_b32_sdwa v172, v172, v173 dst_sel:DWORD dst_unused:UNUSED_PAD src0_sel:BYTE_0 src1_sel:DWORD
	v_or_b32_sdwa v169, v170, v169 dst_sel:WORD_1 dst_unused:UNUSED_PAD src0_sel:BYTE_0 src1_sel:DWORD
	v_or_b32_sdwa v169, v172, v169 dst_sel:DWORD dst_unused:UNUSED_PAD src0_sel:WORD_0 src1_sel:DWORD
	ds_read2_b32 v[172:173], v119 offset0:4 offset1:5
	v_add_lshl_u32 v208, v134, s22, 2
	v_add_lshl_u32 v198, v131, s22, 2
	v_add_u32_e32 v202, 0x4200, v208
	s_add_i32 s17, s17, 2
	s_waitcnt lgkmcnt(0)
	v_ashrrev_i32_e32 v170, s21, v172
	v_add_u32_e32 v172, 0x4210, v176
	ds_read2_b32 v[174:175], v172 offset1:1
	v_and_b32_e32 v171, 0x3030303, v170
	v_bfe_u32 v170, v170, 24, 2
	ds_read2_b32 v[180:181], v180 offset1:1
	ds_read2_b32 v[202:203], v202 offset1:1
	s_waitcnt lgkmcnt(2)
	v_ashrrev_i32_e32 v172, s18, v174
	v_lshlrev_b32_e32 v172, 2, v172
	v_and_b32_e32 v172, 0x4040404, v172
	v_sub_u16_e32 v174, v171, v172
	v_sub_u16_sdwa v177, v171, v172 dst_sel:BYTE_1 dst_unused:UNUSED_PAD src0_sel:BYTE_1 src1_sel:BYTE_1
	v_sub_u16_sdwa v170, v170, v172 dst_sel:BYTE_1 dst_unused:UNUSED_PAD src0_sel:DWORD src1_sel:BYTE_3
	v_sub_u16_sdwa v171, v171, v172 dst_sel:DWORD dst_unused:UNUSED_PAD src0_sel:WORD_1 src1_sel:WORD_1
	v_or_b32_sdwa v174, v174, v177 dst_sel:DWORD dst_unused:UNUSED_PAD src0_sel:BYTE_0 src1_sel:DWORD
	v_or_b32_sdwa v170, v171, v170 dst_sel:WORD_1 dst_unused:UNUSED_PAD src0_sel:BYTE_0 src1_sel:DWORD
	v_or_b32_sdwa v171, v174, v170 dst_sel:DWORD dst_unused:UNUSED_PAD src0_sel:WORD_0 src1_sel:DWORD
	v_ashrrev_i32_e32 v170, s21, v173
	v_ashrrev_i32_e32 v173, s18, v175
	v_lshlrev_b32_e32 v173, 2, v173
	v_and_b32_e32 v172, 0x3030303, v170
	v_bfe_u32 v170, v170, 24, 2
	v_and_b32_e32 v173, 0x4040404, v173
	v_sub_u16_e32 v174, v172, v173
	v_sub_u16_sdwa v175, v172, v173 dst_sel:BYTE_1 dst_unused:UNUSED_PAD src0_sel:BYTE_1 src1_sel:BYTE_1
	v_sub_u16_sdwa v170, v170, v173 dst_sel:BYTE_1 dst_unused:UNUSED_PAD src0_sel:DWORD src1_sel:BYTE_3
	v_sub_u16_sdwa v172, v172, v173 dst_sel:DWORD dst_unused:UNUSED_PAD src0_sel:WORD_1 src1_sel:WORD_1
	v_or_b32_sdwa v174, v174, v175 dst_sel:DWORD dst_unused:UNUSED_PAD src0_sel:BYTE_0 src1_sel:DWORD
	v_or_b32_sdwa v170, v172, v170 dst_sel:WORD_1 dst_unused:UNUSED_PAD src0_sel:BYTE_0 src1_sel:DWORD
	v_add_u32_e32 v173, 0x4218, v176
	v_or_b32_sdwa v172, v174, v170 dst_sel:DWORD dst_unused:UNUSED_PAD src0_sel:WORD_0 src1_sel:DWORD
	ds_read2_b32 v[174:175], v119 offset0:6 offset1:7
	ds_read2_b32 v[176:177], v173 offset1:1
	s_waitcnt lgkmcnt(3)
	v_ashrrev_i32_e32 v180, s18, v180
	v_lshlrev_b32_e32 v180, 2, v180
	v_and_b32_e32 v180, 0x4040404, v180
	s_waitcnt lgkmcnt(1)
	v_ashrrev_i32_e32 v119, s21, v174
	s_waitcnt lgkmcnt(0)
	v_ashrrev_i32_e32 v173, s18, v176
	v_lshlrev_b32_e32 v173, 2, v173
	v_and_b32_e32 v170, 0x3030303, v119
	v_bfe_u32 v119, v119, 24, 2
	v_and_b32_e32 v173, 0x4040404, v173
	v_sub_u16_e32 v174, v170, v173
	v_sub_u16_sdwa v176, v170, v173 dst_sel:BYTE_1 dst_unused:UNUSED_PAD src0_sel:BYTE_1 src1_sel:BYTE_1
	v_sub_u16_sdwa v119, v119, v173 dst_sel:BYTE_1 dst_unused:UNUSED_PAD src0_sel:DWORD src1_sel:BYTE_3
	v_sub_u16_sdwa v170, v170, v173 dst_sel:DWORD dst_unused:UNUSED_PAD src0_sel:WORD_1 src1_sel:WORD_1
	v_or_b32_sdwa v174, v174, v176 dst_sel:DWORD dst_unused:UNUSED_PAD src0_sel:BYTE_0 src1_sel:DWORD
	v_or_b32_sdwa v119, v170, v119 dst_sel:WORD_1 dst_unused:UNUSED_PAD src0_sel:BYTE_0 src1_sel:DWORD
	v_or_b32_sdwa v173, v174, v119 dst_sel:DWORD dst_unused:UNUSED_PAD src0_sel:WORD_0 src1_sel:DWORD
	v_ashrrev_i32_e32 v174, s18, v177
	v_ashrrev_i32_e32 v119, s21, v175
	v_lshlrev_b32_e32 v174, 2, v174
	v_and_b32_e32 v170, 0x3030303, v119
	v_bfe_u32 v119, v119, 24, 2
	v_and_b32_e32 v174, 0x4040404, v174
	v_sub_u16_e32 v175, v170, v174
	v_sub_u16_sdwa v176, v170, v174 dst_sel:BYTE_1 dst_unused:UNUSED_PAD src0_sel:BYTE_1 src1_sel:BYTE_1
	v_sub_u16_sdwa v119, v119, v174 dst_sel:BYTE_1 dst_unused:UNUSED_PAD src0_sel:DWORD src1_sel:BYTE_3
	v_sub_u16_sdwa v170, v170, v174 dst_sel:DWORD dst_unused:UNUSED_PAD src0_sel:WORD_1 src1_sel:WORD_1
	v_or_b32_sdwa v175, v175, v176 dst_sel:DWORD dst_unused:UNUSED_PAD src0_sel:BYTE_0 src1_sel:DWORD
	v_or_b32_sdwa v119, v170, v119 dst_sel:WORD_1 dst_unused:UNUSED_PAD src0_sel:BYTE_0 src1_sel:DWORD
	v_or_b32_sdwa v174, v175, v119 dst_sel:DWORD dst_unused:UNUSED_PAD src0_sel:WORD_0 src1_sel:DWORD
	v_add3_u32 v119, v140, s20, v118
	v_add_u32_e32 v170, s24, v127
	ds_read_b32 v170, v170
	ds_read_u16 v119, v119 offset:33522
	v_mov_b32_e32 v176, 0
	v_dot4c_i32_i8_e32 v176, v166, v4
	v_dot4c_i32_i8_e32 v176, v167, v5
	;; [unrolled: 1-line block ×3, first 2 shown]
	s_waitcnt lgkmcnt(0)
	v_lshrrev_b16_e32 v177, 8, v119
	v_bfe_i32 v175, v119, 0, 8
	v_mov_b32_e32 v119, 0
	v_dot4c_i32_i8_e32 v119, v171, v0
	v_dot4c_i32_i8_e32 v119, v172, v1
	;; [unrolled: 1-line block ×5, first 2 shown]
	v_bfe_i32 v177, v177, 0, 8
	v_mul_lo_u32 v176, v176, v175
	v_ashrrev_i32_e32 v202, s18, v202
	v_mad_u64_u32 v[178:179], s[26:27], v119, v177, v[176:177]
	v_cvt_f32_i32_e32 v176, v178
	v_mul_f32_e32 v119, v116, v170
	v_lshlrev_b32_e32 v202, 2, v202
	v_and_b32_e32 v202, 0x4040404, v202
	v_fmac_f32_e32 v95, v119, v176
	v_add_u32_e32 v119, s23, v129
	ds_read2_b32 v[178:179], v119 offset1:1
	s_waitcnt lgkmcnt(0)
	v_ashrrev_i32_e32 v176, s21, v178
	v_and_b32_e32 v178, 0x3030303, v176
	v_bfe_u32 v176, v176, 24, 2
	v_sub_u16_e32 v182, v178, v180
	v_sub_u16_sdwa v183, v178, v180 dst_sel:BYTE_1 dst_unused:UNUSED_PAD src0_sel:BYTE_1 src1_sel:BYTE_1
	v_sub_u16_sdwa v176, v176, v180 dst_sel:BYTE_1 dst_unused:UNUSED_PAD src0_sel:DWORD src1_sel:BYTE_3
	v_sub_u16_sdwa v178, v178, v180 dst_sel:DWORD dst_unused:UNUSED_PAD src0_sel:WORD_1 src1_sel:WORD_1
	v_ashrrev_i32_e32 v180, s18, v181
	v_or_b32_sdwa v176, v178, v176 dst_sel:WORD_1 dst_unused:UNUSED_PAD src0_sel:BYTE_0 src1_sel:DWORD
	v_ashrrev_i32_e32 v178, s21, v179
	v_lshlrev_b32_e32 v180, 2, v180
	v_or_b32_sdwa v182, v182, v183 dst_sel:DWORD dst_unused:UNUSED_PAD src0_sel:BYTE_0 src1_sel:DWORD
	v_and_b32_e32 v179, 0x3030303, v178
	v_bfe_u32 v178, v178, 24, 2
	v_and_b32_e32 v180, 0x4040404, v180
	v_or_b32_sdwa v176, v182, v176 dst_sel:DWORD dst_unused:UNUSED_PAD src0_sel:WORD_0 src1_sel:DWORD
	v_sub_u16_e32 v181, v179, v180
	v_sub_u16_sdwa v182, v179, v180 dst_sel:BYTE_1 dst_unused:UNUSED_PAD src0_sel:BYTE_1 src1_sel:BYTE_1
	v_sub_u16_sdwa v178, v178, v180 dst_sel:BYTE_1 dst_unused:UNUSED_PAD src0_sel:DWORD src1_sel:BYTE_3
	v_sub_u16_sdwa v179, v179, v180 dst_sel:DWORD dst_unused:UNUSED_PAD src0_sel:WORD_1 src1_sel:WORD_1
	v_or_b32_sdwa v181, v181, v182 dst_sel:DWORD dst_unused:UNUSED_PAD src0_sel:BYTE_0 src1_sel:DWORD
	v_or_b32_sdwa v178, v179, v178 dst_sel:WORD_1 dst_unused:UNUSED_PAD src0_sel:BYTE_0 src1_sel:DWORD
	v_add_u32_e32 v182, 0x4208, v186
	v_or_b32_sdwa v178, v181, v178 dst_sel:DWORD dst_unused:UNUSED_PAD src0_sel:WORD_0 src1_sel:DWORD
	ds_read2_b32 v[180:181], v119 offset0:2 offset1:3
	ds_read2_b32 v[182:183], v182 offset1:1
	s_waitcnt lgkmcnt(1)
	v_ashrrev_i32_e32 v179, s21, v180
	s_waitcnt lgkmcnt(0)
	v_ashrrev_i32_e32 v182, s18, v182
	v_lshlrev_b32_e32 v182, 2, v182
	v_and_b32_e32 v180, 0x3030303, v179
	v_bfe_u32 v179, v179, 24, 2
	v_and_b32_e32 v182, 0x4040404, v182
	v_sub_u16_e32 v184, v180, v182
	v_sub_u16_sdwa v185, v180, v182 dst_sel:BYTE_1 dst_unused:UNUSED_PAD src0_sel:BYTE_1 src1_sel:BYTE_1
	v_sub_u16_sdwa v179, v179, v182 dst_sel:BYTE_1 dst_unused:UNUSED_PAD src0_sel:DWORD src1_sel:BYTE_3
	v_sub_u16_sdwa v180, v180, v182 dst_sel:DWORD dst_unused:UNUSED_PAD src0_sel:WORD_1 src1_sel:WORD_1
	v_ashrrev_i32_e32 v182, s18, v183
	v_or_b32_sdwa v179, v180, v179 dst_sel:WORD_1 dst_unused:UNUSED_PAD src0_sel:BYTE_0 src1_sel:DWORD
	v_ashrrev_i32_e32 v180, s21, v181
	v_lshlrev_b32_e32 v182, 2, v182
	v_or_b32_sdwa v184, v184, v185 dst_sel:DWORD dst_unused:UNUSED_PAD src0_sel:BYTE_0 src1_sel:DWORD
	v_and_b32_e32 v181, 0x3030303, v180
	v_bfe_u32 v180, v180, 24, 2
	v_and_b32_e32 v182, 0x4040404, v182
	v_or_b32_sdwa v179, v184, v179 dst_sel:DWORD dst_unused:UNUSED_PAD src0_sel:WORD_0 src1_sel:DWORD
	v_sub_u16_e32 v183, v181, v182
	v_sub_u16_sdwa v184, v181, v182 dst_sel:BYTE_1 dst_unused:UNUSED_PAD src0_sel:BYTE_1 src1_sel:BYTE_1
	v_sub_u16_sdwa v180, v180, v182 dst_sel:BYTE_1 dst_unused:UNUSED_PAD src0_sel:DWORD src1_sel:BYTE_3
	v_sub_u16_sdwa v181, v181, v182 dst_sel:DWORD dst_unused:UNUSED_PAD src0_sel:WORD_1 src1_sel:WORD_1
	v_or_b32_sdwa v183, v183, v184 dst_sel:DWORD dst_unused:UNUSED_PAD src0_sel:BYTE_0 src1_sel:DWORD
	v_or_b32_sdwa v180, v181, v180 dst_sel:WORD_1 dst_unused:UNUSED_PAD src0_sel:BYTE_0 src1_sel:DWORD
	v_add_u32_e32 v184, 0x4210, v186
	v_or_b32_sdwa v180, v183, v180 dst_sel:DWORD dst_unused:UNUSED_PAD src0_sel:WORD_0 src1_sel:DWORD
	ds_read2_b32 v[182:183], v119 offset0:4 offset1:5
	ds_read2_b32 v[184:185], v184 offset1:1
	s_waitcnt lgkmcnt(1)
	v_ashrrev_i32_e32 v181, s21, v182
	s_waitcnt lgkmcnt(0)
	v_ashrrev_i32_e32 v184, s18, v184
	v_lshlrev_b32_e32 v184, 2, v184
	v_and_b32_e32 v182, 0x3030303, v181
	v_bfe_u32 v181, v181, 24, 2
	v_and_b32_e32 v184, 0x4040404, v184
	v_sub_u16_e32 v187, v182, v184
	v_sub_u16_sdwa v188, v182, v184 dst_sel:BYTE_1 dst_unused:UNUSED_PAD src0_sel:BYTE_1 src1_sel:BYTE_1
	v_sub_u16_sdwa v181, v181, v184 dst_sel:BYTE_1 dst_unused:UNUSED_PAD src0_sel:DWORD src1_sel:BYTE_3
	v_sub_u16_sdwa v182, v182, v184 dst_sel:DWORD dst_unused:UNUSED_PAD src0_sel:WORD_1 src1_sel:WORD_1
	v_ashrrev_i32_e32 v184, s18, v185
	v_or_b32_sdwa v181, v182, v181 dst_sel:WORD_1 dst_unused:UNUSED_PAD src0_sel:BYTE_0 src1_sel:DWORD
	v_ashrrev_i32_e32 v182, s21, v183
	v_lshlrev_b32_e32 v184, 2, v184
	v_or_b32_sdwa v187, v187, v188 dst_sel:DWORD dst_unused:UNUSED_PAD src0_sel:BYTE_0 src1_sel:DWORD
	v_and_b32_e32 v183, 0x3030303, v182
	v_bfe_u32 v182, v182, 24, 2
	v_and_b32_e32 v184, 0x4040404, v184
	v_or_b32_sdwa v181, v187, v181 dst_sel:DWORD dst_unused:UNUSED_PAD src0_sel:WORD_0 src1_sel:DWORD
	v_sub_u16_e32 v185, v183, v184
	v_sub_u16_sdwa v187, v183, v184 dst_sel:BYTE_1 dst_unused:UNUSED_PAD src0_sel:BYTE_1 src1_sel:BYTE_1
	v_sub_u16_sdwa v182, v182, v184 dst_sel:BYTE_1 dst_unused:UNUSED_PAD src0_sel:DWORD src1_sel:BYTE_3
	v_sub_u16_sdwa v183, v183, v184 dst_sel:DWORD dst_unused:UNUSED_PAD src0_sel:WORD_1 src1_sel:WORD_1
	v_or_b32_sdwa v185, v185, v187 dst_sel:DWORD dst_unused:UNUSED_PAD src0_sel:BYTE_0 src1_sel:DWORD
	v_or_b32_sdwa v182, v183, v182 dst_sel:WORD_1 dst_unused:UNUSED_PAD src0_sel:BYTE_0 src1_sel:DWORD
	v_or_b32_sdwa v183, v185, v182 dst_sel:DWORD dst_unused:UNUSED_PAD src0_sel:WORD_0 src1_sel:DWORD
	ds_read2_b32 v[184:185], v119 offset0:6 offset1:7
	s_waitcnt lgkmcnt(0)
	v_ashrrev_i32_e32 v119, s21, v184
	v_add_u32_e32 v184, 0x4218, v186
	ds_read2_b32 v[186:187], v184 offset1:1
	v_and_b32_e32 v182, 0x3030303, v119
	v_bfe_u32 v119, v119, 24, 2
	s_waitcnt lgkmcnt(0)
	v_ashrrev_i32_e32 v184, s18, v186
	v_lshlrev_b32_e32 v184, 2, v184
	v_and_b32_e32 v184, 0x4040404, v184
	v_sub_u16_e32 v186, v182, v184
	v_sub_u16_sdwa v188, v182, v184 dst_sel:BYTE_1 dst_unused:UNUSED_PAD src0_sel:BYTE_1 src1_sel:BYTE_1
	v_sub_u16_sdwa v119, v119, v184 dst_sel:BYTE_1 dst_unused:UNUSED_PAD src0_sel:DWORD src1_sel:BYTE_3
	v_sub_u16_sdwa v182, v182, v184 dst_sel:DWORD dst_unused:UNUSED_PAD src0_sel:WORD_1 src1_sel:WORD_1
	v_or_b32_sdwa v186, v186, v188 dst_sel:DWORD dst_unused:UNUSED_PAD src0_sel:BYTE_0 src1_sel:DWORD
	v_or_b32_sdwa v119, v182, v119 dst_sel:WORD_1 dst_unused:UNUSED_PAD src0_sel:BYTE_0 src1_sel:DWORD
	v_or_b32_sdwa v184, v186, v119 dst_sel:DWORD dst_unused:UNUSED_PAD src0_sel:WORD_0 src1_sel:DWORD
	v_ashrrev_i32_e32 v119, s21, v185
	v_ashrrev_i32_e32 v185, s18, v187
	v_lshlrev_b32_e32 v185, 2, v185
	v_and_b32_e32 v182, 0x3030303, v119
	v_bfe_u32 v119, v119, 24, 2
	v_and_b32_e32 v185, 0x4040404, v185
	v_sub_u16_e32 v186, v182, v185
	v_sub_u16_sdwa v187, v182, v185 dst_sel:BYTE_1 dst_unused:UNUSED_PAD src0_sel:BYTE_1 src1_sel:BYTE_1
	v_sub_u16_sdwa v119, v119, v185 dst_sel:BYTE_1 dst_unused:UNUSED_PAD src0_sel:DWORD src1_sel:BYTE_3
	v_sub_u16_sdwa v182, v182, v185 dst_sel:DWORD dst_unused:UNUSED_PAD src0_sel:WORD_1 src1_sel:WORD_1
	v_or_b32_sdwa v186, v186, v187 dst_sel:DWORD dst_unused:UNUSED_PAD src0_sel:BYTE_0 src1_sel:DWORD
	v_or_b32_sdwa v119, v182, v119 dst_sel:WORD_1 dst_unused:UNUSED_PAD src0_sel:BYTE_0 src1_sel:DWORD
	v_or_b32_sdwa v185, v186, v119 dst_sel:DWORD dst_unused:UNUSED_PAD src0_sel:WORD_0 src1_sel:DWORD
	v_add3_u32 v119, v142, s20, v118
	v_add_u32_e32 v182, s24, v130
	ds_read_b32 v182, v182
	ds_read_u16 v119, v119 offset:34546
	v_mov_b32_e32 v187, 0
	v_dot4c_i32_i8_e32 v187, v176, v4
	v_dot4c_i32_i8_e32 v187, v178, v5
	;; [unrolled: 1-line block ×3, first 2 shown]
	s_waitcnt lgkmcnt(0)
	v_lshrrev_b16_e32 v188, 8, v119
	v_bfe_i32 v186, v119, 0, 8
	v_mov_b32_e32 v119, 0
	v_dot4c_i32_i8_e32 v119, v181, v0
	v_dot4c_i32_i8_e32 v119, v183, v1
	;; [unrolled: 1-line block ×5, first 2 shown]
	v_bfe_i32 v188, v188, 0, 8
	v_mul_lo_u32 v190, v187, v186
	s_nop 0
	v_mad_u64_u32 v[190:191], s[26:27], v119, v188, v[190:191]
	v_cvt_f32_i32_e32 v187, v190
	v_mul_f32_e32 v119, v116, v182
	v_fmac_f32_e32 v83, v119, v187
	v_add_u32_e32 v119, s23, v132
	ds_read2_b32 v[190:191], v119 offset1:1
	s_waitcnt lgkmcnt(0)
	v_ashrrev_i32_e32 v187, s21, v190
	v_add_u32_e32 v190, 0x4200, v198
	ds_read2_b32 v[192:193], v190 offset1:1
	v_and_b32_e32 v189, 0x3030303, v187
	v_bfe_u32 v187, v187, 24, 2
	s_waitcnt lgkmcnt(0)
	v_ashrrev_i32_e32 v190, s18, v192
	v_lshlrev_b32_e32 v190, 2, v190
	v_and_b32_e32 v190, 0x4040404, v190
	v_sub_u16_e32 v192, v189, v190
	v_sub_u16_sdwa v194, v189, v190 dst_sel:BYTE_1 dst_unused:UNUSED_PAD src0_sel:BYTE_1 src1_sel:BYTE_1
	v_sub_u16_sdwa v187, v187, v190 dst_sel:BYTE_1 dst_unused:UNUSED_PAD src0_sel:DWORD src1_sel:BYTE_3
	v_sub_u16_sdwa v189, v189, v190 dst_sel:DWORD dst_unused:UNUSED_PAD src0_sel:WORD_1 src1_sel:WORD_1
	v_or_b32_sdwa v187, v189, v187 dst_sel:WORD_1 dst_unused:UNUSED_PAD src0_sel:BYTE_0 src1_sel:DWORD
	v_ashrrev_i32_e32 v189, s21, v191
	v_ashrrev_i32_e32 v191, s18, v193
	v_lshlrev_b32_e32 v191, 2, v191
	v_or_b32_sdwa v192, v192, v194 dst_sel:DWORD dst_unused:UNUSED_PAD src0_sel:BYTE_0 src1_sel:DWORD
	v_and_b32_e32 v190, 0x3030303, v189
	v_bfe_u32 v189, v189, 24, 2
	v_and_b32_e32 v191, 0x4040404, v191
	v_or_b32_sdwa v187, v192, v187 dst_sel:DWORD dst_unused:UNUSED_PAD src0_sel:WORD_0 src1_sel:DWORD
	v_sub_u16_e32 v192, v190, v191
	v_sub_u16_sdwa v193, v190, v191 dst_sel:BYTE_1 dst_unused:UNUSED_PAD src0_sel:BYTE_1 src1_sel:BYTE_1
	v_sub_u16_sdwa v189, v189, v191 dst_sel:BYTE_1 dst_unused:UNUSED_PAD src0_sel:DWORD src1_sel:BYTE_3
	v_sub_u16_sdwa v190, v190, v191 dst_sel:DWORD dst_unused:UNUSED_PAD src0_sel:WORD_1 src1_sel:WORD_1
	v_or_b32_sdwa v192, v192, v193 dst_sel:DWORD dst_unused:UNUSED_PAD src0_sel:BYTE_0 src1_sel:DWORD
	v_or_b32_sdwa v189, v190, v189 dst_sel:WORD_1 dst_unused:UNUSED_PAD src0_sel:BYTE_0 src1_sel:DWORD
	v_or_b32_sdwa v189, v192, v189 dst_sel:DWORD dst_unused:UNUSED_PAD src0_sel:WORD_0 src1_sel:DWORD
	v_add_u32_e32 v192, 0x4208, v198
	ds_read2_b32 v[190:191], v119 offset0:2 offset1:3
	ds_read2_b32 v[192:193], v192 offset1:1
	s_waitcnt lgkmcnt(1)
	v_ashrrev_i32_e32 v190, s21, v190
	s_waitcnt lgkmcnt(0)
	v_ashrrev_i32_e32 v192, s18, v192
	v_lshlrev_b32_e32 v192, 2, v192
	v_and_b32_e32 v194, 0x3030303, v190
	v_bfe_u32 v190, v190, 24, 2
	v_and_b32_e32 v192, 0x4040404, v192
	v_ashrrev_i32_e32 v193, s18, v193
	v_sub_u16_e32 v195, v194, v192
	v_sub_u16_sdwa v196, v194, v192 dst_sel:BYTE_1 dst_unused:UNUSED_PAD src0_sel:BYTE_1 src1_sel:BYTE_1
	v_sub_u16_sdwa v190, v190, v192 dst_sel:BYTE_1 dst_unused:UNUSED_PAD src0_sel:DWORD src1_sel:BYTE_3
	v_sub_u16_sdwa v192, v194, v192 dst_sel:DWORD dst_unused:UNUSED_PAD src0_sel:WORD_1 src1_sel:WORD_1
	v_ashrrev_i32_e32 v191, s21, v191
	v_lshlrev_b32_e32 v193, 2, v193
	v_or_b32_sdwa v195, v195, v196 dst_sel:DWORD dst_unused:UNUSED_PAD src0_sel:BYTE_0 src1_sel:DWORD
	v_or_b32_sdwa v190, v192, v190 dst_sel:WORD_1 dst_unused:UNUSED_PAD src0_sel:BYTE_0 src1_sel:DWORD
	v_and_b32_e32 v192, 0x3030303, v191
	v_bfe_u32 v191, v191, 24, 2
	v_and_b32_e32 v193, 0x4040404, v193
	v_or_b32_sdwa v190, v195, v190 dst_sel:DWORD dst_unused:UNUSED_PAD src0_sel:WORD_0 src1_sel:DWORD
	v_sub_u16_e32 v194, v192, v193
	v_sub_u16_sdwa v195, v192, v193 dst_sel:BYTE_1 dst_unused:UNUSED_PAD src0_sel:BYTE_1 src1_sel:BYTE_1
	v_sub_u16_sdwa v191, v191, v193 dst_sel:BYTE_1 dst_unused:UNUSED_PAD src0_sel:DWORD src1_sel:BYTE_3
	v_sub_u16_sdwa v192, v192, v193 dst_sel:DWORD dst_unused:UNUSED_PAD src0_sel:WORD_1 src1_sel:WORD_1
	v_or_b32_sdwa v194, v194, v195 dst_sel:DWORD dst_unused:UNUSED_PAD src0_sel:BYTE_0 src1_sel:DWORD
	v_or_b32_sdwa v191, v192, v191 dst_sel:WORD_1 dst_unused:UNUSED_PAD src0_sel:BYTE_0 src1_sel:DWORD
	v_or_b32_sdwa v191, v194, v191 dst_sel:DWORD dst_unused:UNUSED_PAD src0_sel:WORD_0 src1_sel:DWORD
	v_add_u32_e32 v194, 0x4210, v198
	ds_read2_b32 v[192:193], v119 offset0:4 offset1:5
	ds_read2_b32 v[194:195], v194 offset1:1
	s_waitcnt lgkmcnt(1)
	v_ashrrev_i32_e32 v192, s21, v192
	s_waitcnt lgkmcnt(0)
	v_ashrrev_i32_e32 v194, s18, v194
	v_lshlrev_b32_e32 v194, 2, v194
	v_and_b32_e32 v196, 0x3030303, v192
	v_bfe_u32 v192, v192, 24, 2
	v_and_b32_e32 v194, 0x4040404, v194
	v_ashrrev_i32_e32 v195, s18, v195
	v_sub_u16_e32 v197, v196, v194
	v_sub_u16_sdwa v199, v196, v194 dst_sel:BYTE_1 dst_unused:UNUSED_PAD src0_sel:BYTE_1 src1_sel:BYTE_1
	v_sub_u16_sdwa v192, v192, v194 dst_sel:BYTE_1 dst_unused:UNUSED_PAD src0_sel:DWORD src1_sel:BYTE_3
	v_sub_u16_sdwa v194, v196, v194 dst_sel:DWORD dst_unused:UNUSED_PAD src0_sel:WORD_1 src1_sel:WORD_1
	v_ashrrev_i32_e32 v193, s21, v193
	v_lshlrev_b32_e32 v195, 2, v195
	v_or_b32_sdwa v197, v197, v199 dst_sel:DWORD dst_unused:UNUSED_PAD src0_sel:BYTE_0 src1_sel:DWORD
	v_or_b32_sdwa v192, v194, v192 dst_sel:WORD_1 dst_unused:UNUSED_PAD src0_sel:BYTE_0 src1_sel:DWORD
	v_and_b32_e32 v194, 0x3030303, v193
	v_bfe_u32 v193, v193, 24, 2
	v_and_b32_e32 v195, 0x4040404, v195
	v_or_b32_sdwa v192, v197, v192 dst_sel:DWORD dst_unused:UNUSED_PAD src0_sel:WORD_0 src1_sel:DWORD
	v_sub_u16_e32 v196, v194, v195
	v_sub_u16_sdwa v197, v194, v195 dst_sel:BYTE_1 dst_unused:UNUSED_PAD src0_sel:BYTE_1 src1_sel:BYTE_1
	v_sub_u16_sdwa v193, v193, v195 dst_sel:BYTE_1 dst_unused:UNUSED_PAD src0_sel:DWORD src1_sel:BYTE_3
	v_sub_u16_sdwa v194, v194, v195 dst_sel:DWORD dst_unused:UNUSED_PAD src0_sel:WORD_1 src1_sel:WORD_1
	v_or_b32_sdwa v196, v196, v197 dst_sel:DWORD dst_unused:UNUSED_PAD src0_sel:BYTE_0 src1_sel:DWORD
	v_or_b32_sdwa v193, v194, v193 dst_sel:WORD_1 dst_unused:UNUSED_PAD src0_sel:BYTE_0 src1_sel:DWORD
	v_add_u32_e32 v195, 0x4218, v198
	v_or_b32_sdwa v194, v196, v193 dst_sel:DWORD dst_unused:UNUSED_PAD src0_sel:WORD_0 src1_sel:DWORD
	ds_read2_b32 v[196:197], v119 offset0:6 offset1:7
	ds_read2_b32 v[198:199], v195 offset1:1
	s_waitcnt lgkmcnt(1)
	v_ashrrev_i32_e32 v119, s21, v196
	s_waitcnt lgkmcnt(0)
	v_ashrrev_i32_e32 v195, s18, v198
	v_lshlrev_b32_e32 v195, 2, v195
	v_and_b32_e32 v193, 0x3030303, v119
	v_bfe_u32 v119, v119, 24, 2
	v_and_b32_e32 v195, 0x4040404, v195
	v_sub_u16_e32 v196, v193, v195
	v_sub_u16_sdwa v198, v193, v195 dst_sel:BYTE_1 dst_unused:UNUSED_PAD src0_sel:BYTE_1 src1_sel:BYTE_1
	v_sub_u16_sdwa v119, v119, v195 dst_sel:BYTE_1 dst_unused:UNUSED_PAD src0_sel:DWORD src1_sel:BYTE_3
	v_sub_u16_sdwa v193, v193, v195 dst_sel:DWORD dst_unused:UNUSED_PAD src0_sel:WORD_1 src1_sel:WORD_1
	v_or_b32_sdwa v196, v196, v198 dst_sel:DWORD dst_unused:UNUSED_PAD src0_sel:BYTE_0 src1_sel:DWORD
	v_or_b32_sdwa v119, v193, v119 dst_sel:WORD_1 dst_unused:UNUSED_PAD src0_sel:BYTE_0 src1_sel:DWORD
	v_or_b32_sdwa v195, v196, v119 dst_sel:DWORD dst_unused:UNUSED_PAD src0_sel:WORD_0 src1_sel:DWORD
	v_ashrrev_i32_e32 v196, s18, v199
	v_ashrrev_i32_e32 v119, s21, v197
	v_lshlrev_b32_e32 v196, 2, v196
	v_and_b32_e32 v193, 0x3030303, v119
	v_bfe_u32 v119, v119, 24, 2
	v_and_b32_e32 v196, 0x4040404, v196
	v_sub_u16_e32 v197, v193, v196
	v_sub_u16_sdwa v198, v193, v196 dst_sel:BYTE_1 dst_unused:UNUSED_PAD src0_sel:BYTE_1 src1_sel:BYTE_1
	v_sub_u16_sdwa v119, v119, v196 dst_sel:BYTE_1 dst_unused:UNUSED_PAD src0_sel:DWORD src1_sel:BYTE_3
	v_sub_u16_sdwa v193, v193, v196 dst_sel:DWORD dst_unused:UNUSED_PAD src0_sel:WORD_1 src1_sel:WORD_1
	v_or_b32_sdwa v197, v197, v198 dst_sel:DWORD dst_unused:UNUSED_PAD src0_sel:BYTE_0 src1_sel:DWORD
	v_or_b32_sdwa v119, v193, v119 dst_sel:WORD_1 dst_unused:UNUSED_PAD src0_sel:BYTE_0 src1_sel:DWORD
	v_or_b32_sdwa v196, v197, v119 dst_sel:DWORD dst_unused:UNUSED_PAD src0_sel:WORD_0 src1_sel:DWORD
	v_add3_u32 v119, v144, s20, v118
	v_add_u32_e32 v193, s24, v133
	ds_read_b32 v193, v193
	ds_read_u16 v119, v119 offset:35570
	v_mov_b32_e32 v198, 0
	v_dot4c_i32_i8_e32 v198, v187, v4
	v_dot4c_i32_i8_e32 v198, v189, v5
	;; [unrolled: 1-line block ×3, first 2 shown]
	s_waitcnt lgkmcnt(0)
	v_lshrrev_b16_e32 v199, 8, v119
	v_bfe_i32 v197, v119, 0, 8
	v_mov_b32_e32 v119, 0
	v_dot4c_i32_i8_e32 v119, v192, v0
	v_dot4c_i32_i8_e32 v119, v194, v1
	v_dot4c_i32_i8_e32 v198, v191, v7
	v_dot4c_i32_i8_e32 v119, v195, v2
	v_dot4c_i32_i8_e32 v119, v196, v3
	v_bfe_i32 v199, v199, 0, 8
	v_mul_lo_u32 v198, v198, v197
	v_add3_u32 v118, v146, s20, v118
	v_mad_u64_u32 v[200:201], s[26:27], v119, v199, v[198:199]
	v_cvt_f32_i32_e32 v198, v200
	v_mul_f32_e32 v119, v116, v193
	v_fmac_f32_e32 v81, v119, v198
	v_add_u32_e32 v119, s23, v135
	ds_read2_b32 v[200:201], v119 offset1:1
	s_waitcnt lgkmcnt(0)
	v_ashrrev_i32_e32 v198, s21, v200
	v_and_b32_e32 v200, 0x3030303, v198
	v_bfe_u32 v198, v198, 24, 2
	v_sub_u16_e32 v204, v200, v202
	v_sub_u16_sdwa v205, v200, v202 dst_sel:BYTE_1 dst_unused:UNUSED_PAD src0_sel:BYTE_1 src1_sel:BYTE_1
	v_sub_u16_sdwa v198, v198, v202 dst_sel:BYTE_1 dst_unused:UNUSED_PAD src0_sel:DWORD src1_sel:BYTE_3
	v_sub_u16_sdwa v200, v200, v202 dst_sel:DWORD dst_unused:UNUSED_PAD src0_sel:WORD_1 src1_sel:WORD_1
	v_ashrrev_i32_e32 v202, s18, v203
	v_or_b32_sdwa v198, v200, v198 dst_sel:WORD_1 dst_unused:UNUSED_PAD src0_sel:BYTE_0 src1_sel:DWORD
	v_ashrrev_i32_e32 v200, s21, v201
	v_lshlrev_b32_e32 v202, 2, v202
	v_or_b32_sdwa v204, v204, v205 dst_sel:DWORD dst_unused:UNUSED_PAD src0_sel:BYTE_0 src1_sel:DWORD
	v_and_b32_e32 v201, 0x3030303, v200
	v_bfe_u32 v200, v200, 24, 2
	v_and_b32_e32 v202, 0x4040404, v202
	v_or_b32_sdwa v198, v204, v198 dst_sel:DWORD dst_unused:UNUSED_PAD src0_sel:WORD_0 src1_sel:DWORD
	v_sub_u16_e32 v203, v201, v202
	v_sub_u16_sdwa v204, v201, v202 dst_sel:BYTE_1 dst_unused:UNUSED_PAD src0_sel:BYTE_1 src1_sel:BYTE_1
	v_sub_u16_sdwa v200, v200, v202 dst_sel:BYTE_1 dst_unused:UNUSED_PAD src0_sel:DWORD src1_sel:BYTE_3
	v_sub_u16_sdwa v201, v201, v202 dst_sel:DWORD dst_unused:UNUSED_PAD src0_sel:WORD_1 src1_sel:WORD_1
	v_or_b32_sdwa v203, v203, v204 dst_sel:DWORD dst_unused:UNUSED_PAD src0_sel:BYTE_0 src1_sel:DWORD
	v_or_b32_sdwa v200, v201, v200 dst_sel:WORD_1 dst_unused:UNUSED_PAD src0_sel:BYTE_0 src1_sel:DWORD
	v_add_u32_e32 v204, 0x4208, v208
	v_or_b32_sdwa v200, v203, v200 dst_sel:DWORD dst_unused:UNUSED_PAD src0_sel:WORD_0 src1_sel:DWORD
	ds_read2_b32 v[202:203], v119 offset0:2 offset1:3
	ds_read2_b32 v[204:205], v204 offset1:1
	s_waitcnt lgkmcnt(1)
	v_ashrrev_i32_e32 v201, s21, v202
	s_waitcnt lgkmcnt(0)
	v_ashrrev_i32_e32 v204, s18, v204
	v_lshlrev_b32_e32 v204, 2, v204
	v_and_b32_e32 v202, 0x3030303, v201
	v_bfe_u32 v201, v201, 24, 2
	v_and_b32_e32 v204, 0x4040404, v204
	v_sub_u16_e32 v206, v202, v204
	v_sub_u16_sdwa v207, v202, v204 dst_sel:BYTE_1 dst_unused:UNUSED_PAD src0_sel:BYTE_1 src1_sel:BYTE_1
	v_sub_u16_sdwa v201, v201, v204 dst_sel:BYTE_1 dst_unused:UNUSED_PAD src0_sel:DWORD src1_sel:BYTE_3
	v_sub_u16_sdwa v202, v202, v204 dst_sel:DWORD dst_unused:UNUSED_PAD src0_sel:WORD_1 src1_sel:WORD_1
	v_ashrrev_i32_e32 v204, s18, v205
	v_or_b32_sdwa v201, v202, v201 dst_sel:WORD_1 dst_unused:UNUSED_PAD src0_sel:BYTE_0 src1_sel:DWORD
	v_ashrrev_i32_e32 v202, s21, v203
	v_lshlrev_b32_e32 v204, 2, v204
	v_or_b32_sdwa v206, v206, v207 dst_sel:DWORD dst_unused:UNUSED_PAD src0_sel:BYTE_0 src1_sel:DWORD
	v_and_b32_e32 v203, 0x3030303, v202
	v_bfe_u32 v202, v202, 24, 2
	v_and_b32_e32 v204, 0x4040404, v204
	v_or_b32_sdwa v201, v206, v201 dst_sel:DWORD dst_unused:UNUSED_PAD src0_sel:WORD_0 src1_sel:DWORD
	v_sub_u16_e32 v205, v203, v204
	v_sub_u16_sdwa v206, v203, v204 dst_sel:BYTE_1 dst_unused:UNUSED_PAD src0_sel:BYTE_1 src1_sel:BYTE_1
	v_sub_u16_sdwa v202, v202, v204 dst_sel:BYTE_1 dst_unused:UNUSED_PAD src0_sel:DWORD src1_sel:BYTE_3
	v_sub_u16_sdwa v203, v203, v204 dst_sel:DWORD dst_unused:UNUSED_PAD src0_sel:WORD_1 src1_sel:WORD_1
	v_or_b32_sdwa v205, v205, v206 dst_sel:DWORD dst_unused:UNUSED_PAD src0_sel:BYTE_0 src1_sel:DWORD
	v_or_b32_sdwa v202, v203, v202 dst_sel:WORD_1 dst_unused:UNUSED_PAD src0_sel:BYTE_0 src1_sel:DWORD
	v_add_u32_e32 v206, 0x4210, v208
	v_or_b32_sdwa v202, v205, v202 dst_sel:DWORD dst_unused:UNUSED_PAD src0_sel:WORD_0 src1_sel:DWORD
	ds_read2_b32 v[204:205], v119 offset0:4 offset1:5
	ds_read2_b32 v[206:207], v206 offset1:1
	s_waitcnt lgkmcnt(1)
	v_ashrrev_i32_e32 v203, s21, v204
	s_waitcnt lgkmcnt(0)
	v_ashrrev_i32_e32 v206, s18, v206
	v_lshlrev_b32_e32 v206, 2, v206
	v_and_b32_e32 v204, 0x3030303, v203
	v_bfe_u32 v203, v203, 24, 2
	v_and_b32_e32 v206, 0x4040404, v206
	v_sub_u16_e32 v209, v204, v206
	v_sub_u16_sdwa v210, v204, v206 dst_sel:BYTE_1 dst_unused:UNUSED_PAD src0_sel:BYTE_1 src1_sel:BYTE_1
	v_sub_u16_sdwa v203, v203, v206 dst_sel:BYTE_1 dst_unused:UNUSED_PAD src0_sel:DWORD src1_sel:BYTE_3
	v_sub_u16_sdwa v204, v204, v206 dst_sel:DWORD dst_unused:UNUSED_PAD src0_sel:WORD_1 src1_sel:WORD_1
	v_ashrrev_i32_e32 v206, s18, v207
	v_or_b32_sdwa v203, v204, v203 dst_sel:WORD_1 dst_unused:UNUSED_PAD src0_sel:BYTE_0 src1_sel:DWORD
	v_ashrrev_i32_e32 v204, s21, v205
	v_lshlrev_b32_e32 v206, 2, v206
	v_or_b32_sdwa v209, v209, v210 dst_sel:DWORD dst_unused:UNUSED_PAD src0_sel:BYTE_0 src1_sel:DWORD
	v_and_b32_e32 v205, 0x3030303, v204
	v_bfe_u32 v204, v204, 24, 2
	v_and_b32_e32 v206, 0x4040404, v206
	v_or_b32_sdwa v203, v209, v203 dst_sel:DWORD dst_unused:UNUSED_PAD src0_sel:WORD_0 src1_sel:DWORD
	v_sub_u16_e32 v207, v205, v206
	v_sub_u16_sdwa v209, v205, v206 dst_sel:BYTE_1 dst_unused:UNUSED_PAD src0_sel:BYTE_1 src1_sel:BYTE_1
	v_sub_u16_sdwa v204, v204, v206 dst_sel:BYTE_1 dst_unused:UNUSED_PAD src0_sel:DWORD src1_sel:BYTE_3
	v_sub_u16_sdwa v205, v205, v206 dst_sel:DWORD dst_unused:UNUSED_PAD src0_sel:WORD_1 src1_sel:WORD_1
	v_or_b32_sdwa v207, v207, v209 dst_sel:DWORD dst_unused:UNUSED_PAD src0_sel:BYTE_0 src1_sel:DWORD
	v_or_b32_sdwa v204, v205, v204 dst_sel:WORD_1 dst_unused:UNUSED_PAD src0_sel:BYTE_0 src1_sel:DWORD
	v_or_b32_sdwa v205, v207, v204 dst_sel:DWORD dst_unused:UNUSED_PAD src0_sel:WORD_0 src1_sel:DWORD
	ds_read2_b32 v[206:207], v119 offset0:6 offset1:7
	s_waitcnt lgkmcnt(0)
	v_ashrrev_i32_e32 v119, s21, v206
	v_add_u32_e32 v206, 0x4218, v208
	ds_read2_b32 v[208:209], v206 offset1:1
	v_and_b32_e32 v204, 0x3030303, v119
	v_bfe_u32 v119, v119, 24, 2
	s_waitcnt lgkmcnt(0)
	v_ashrrev_i32_e32 v206, s18, v208
	v_lshlrev_b32_e32 v206, 2, v206
	v_and_b32_e32 v206, 0x4040404, v206
	v_sub_u16_e32 v208, v204, v206
	v_sub_u16_sdwa v210, v204, v206 dst_sel:BYTE_1 dst_unused:UNUSED_PAD src0_sel:BYTE_1 src1_sel:BYTE_1
	v_sub_u16_sdwa v119, v119, v206 dst_sel:BYTE_1 dst_unused:UNUSED_PAD src0_sel:DWORD src1_sel:BYTE_3
	v_sub_u16_sdwa v204, v204, v206 dst_sel:DWORD dst_unused:UNUSED_PAD src0_sel:WORD_1 src1_sel:WORD_1
	v_or_b32_sdwa v208, v208, v210 dst_sel:DWORD dst_unused:UNUSED_PAD src0_sel:BYTE_0 src1_sel:DWORD
	v_or_b32_sdwa v119, v204, v119 dst_sel:WORD_1 dst_unused:UNUSED_PAD src0_sel:BYTE_0 src1_sel:DWORD
	v_or_b32_sdwa v206, v208, v119 dst_sel:DWORD dst_unused:UNUSED_PAD src0_sel:WORD_0 src1_sel:DWORD
	v_ashrrev_i32_e32 v119, s21, v207
	v_ashrrev_i32_e32 v207, s18, v209
	v_lshlrev_b32_e32 v207, 2, v207
	v_and_b32_e32 v204, 0x3030303, v119
	v_bfe_u32 v119, v119, 24, 2
	v_and_b32_e32 v207, 0x4040404, v207
	v_sub_u16_e32 v208, v204, v207
	v_sub_u16_sdwa v209, v204, v207 dst_sel:BYTE_1 dst_unused:UNUSED_PAD src0_sel:BYTE_1 src1_sel:BYTE_1
	v_sub_u16_sdwa v119, v119, v207 dst_sel:BYTE_1 dst_unused:UNUSED_PAD src0_sel:DWORD src1_sel:BYTE_3
	v_sub_u16_sdwa v204, v204, v207 dst_sel:DWORD dst_unused:UNUSED_PAD src0_sel:WORD_1 src1_sel:WORD_1
	v_or_b32_sdwa v208, v208, v209 dst_sel:DWORD dst_unused:UNUSED_PAD src0_sel:BYTE_0 src1_sel:DWORD
	v_or_b32_sdwa v119, v204, v119 dst_sel:WORD_1 dst_unused:UNUSED_PAD src0_sel:BYTE_0 src1_sel:DWORD
	v_or_b32_sdwa v207, v208, v119 dst_sel:DWORD dst_unused:UNUSED_PAD src0_sel:WORD_0 src1_sel:DWORD
	v_add_u32_e32 v119, s24, v136
	ds_read_b32 v204, v119
	v_mov_b32_e32 v119, 0
	v_dot4c_i32_i8_e32 v119, v198, v4
	ds_read_u16 v4, v118 offset:36594
	v_dot4c_i32_i8_e32 v119, v200, v5
	v_dot4c_i32_i8_e32 v119, v201, v6
	v_mov_b32_e32 v6, 0
	v_dot4c_i32_i8_e32 v6, v203, v0
	v_dot4c_i32_i8_e32 v6, v205, v1
	;; [unrolled: 1-line block ×3, first 2 shown]
	s_waitcnt lgkmcnt(0)
	v_lshrrev_b16_e32 v5, 8, v4
	v_bfe_i32 v208, v4, 0, 8
	v_dot4c_i32_i8_e32 v6, v206, v2
	v_mul_lo_u32 v4, v119, v208
	v_dot4c_i32_i8_e32 v6, v207, v3
	v_bfe_i32 v209, v5, 0, 8
	v_mov_b32_e32 v118, 0
	s_add_i32 s18, s18, 1
	v_mad_u64_u32 v[0:1], s[20:21], v6, v209, v[4:5]
	v_cvt_f32_i32_e32 v0, v0
	v_mul_f32_e32 v1, v116, v204
	v_mov_b32_e32 v116, 0
	s_cmp_lt_u32 s19, 30
	v_fmac_f32_e32 v79, v1, v0
	ds_read_b128 v[0:3], v164 offset:1024
	ds_read_b128 v[4:7], v164 offset:1040
	s_waitcnt lgkmcnt(1)
	v_dot4c_i32_i8_e32 v116, v166, v0
	v_dot4c_i32_i8_e32 v116, v167, v1
	s_waitcnt lgkmcnt(0)
	v_dot4c_i32_i8_e32 v118, v171, v4
	v_dot4c_i32_i8_e32 v116, v168, v2
	;; [unrolled: 1-line block ×6, first 2 shown]
	s_nop 0
	v_mul_lo_u32 v116, v116, v175
	s_nop 0
	v_mad_u64_u32 v[118:119], s[20:21], v118, v177, v[116:117]
	v_cvt_f32_i32_e32 v118, v118
	v_mul_f32_e32 v116, v170, v117
	v_fmac_f32_e32 v71, v116, v118
	v_mov_b32_e32 v116, 0
	v_dot4c_i32_i8_e32 v116, v176, v0
	v_mov_b32_e32 v118, 0
	v_dot4c_i32_i8_e32 v116, v178, v1
	v_dot4c_i32_i8_e32 v118, v181, v4
	v_dot4c_i32_i8_e32 v116, v179, v2
	v_dot4c_i32_i8_e32 v118, v183, v5
	v_dot4c_i32_i8_e32 v116, v180, v3
	v_dot4c_i32_i8_e32 v118, v184, v6
	v_dot4c_i32_i8_e32 v118, v185, v7
	s_nop 0
	v_mul_lo_u32 v116, v116, v186
	s_nop 0
	v_mad_u64_u32 v[118:119], s[20:21], v118, v188, v[116:117]
	v_cvt_f32_i32_e32 v118, v118
	v_mul_f32_e32 v116, v182, v117
	v_fmac_f32_e32 v69, v116, v118
	v_mov_b32_e32 v116, 0
	v_dot4c_i32_i8_e32 v116, v187, v0
	v_mov_b32_e32 v118, 0
	v_dot4c_i32_i8_e32 v116, v189, v1
	v_dot4c_i32_i8_e32 v118, v192, v4
	;; [unrolled: 1-line block ×7, first 2 shown]
	s_nop 0
	v_mul_lo_u32 v116, v116, v197
	s_nop 0
	v_mad_u64_u32 v[118:119], s[20:21], v118, v199, v[116:117]
	v_cvt_f32_i32_e32 v118, v118
	v_mul_f32_e32 v116, v193, v117
	v_mov_b32_e32 v119, 0
	v_fmac_f32_e32 v67, v116, v118
	v_mov_b32_e32 v116, 0
	v_dot4c_i32_i8_e32 v116, v198, v0
	v_dot4c_i32_i8_e32 v116, v200, v1
	v_mov_b32_e32 v1, 0
	v_dot4c_i32_i8_e32 v1, v203, v4
	v_dot4c_i32_i8_e32 v116, v201, v2
	;; [unrolled: 1-line block ×6, first 2 shown]
	v_mov_b32_e32 v118, 0
	v_mul_lo_u32 v0, v116, v208
	s_nop 0
	v_mad_u64_u32 v[0:1], s[20:21], v1, v209, v[0:1]
	v_cvt_f32_i32_e32 v0, v0
	v_mul_f32_e32 v1, v204, v117
	v_fmac_f32_e32 v65, v1, v0
	ds_read2_b32 v[116:117], v165 offset0:64 offset1:96
	ds_read_b128 v[0:3], v164 offset:2048
	ds_read_b128 v[4:7], v164 offset:2064
	s_waitcnt lgkmcnt(1)
	v_dot4c_i32_i8_e32 v118, v166, v0
	v_dot4c_i32_i8_e32 v118, v167, v1
	s_waitcnt lgkmcnt(0)
	v_dot4c_i32_i8_e32 v119, v171, v4
	v_dot4c_i32_i8_e32 v118, v168, v2
	;; [unrolled: 1-line block ×6, first 2 shown]
	s_nop 0
	v_mul_lo_u32 v118, v118, v175
	s_nop 0
	v_mad_u64_u32 v[118:119], s[20:21], v119, v177, v[118:119]
	v_cvt_f32_i32_e32 v118, v118
	v_mul_f32_e32 v119, v170, v116
	v_fmac_f32_e32 v59, v119, v118
	v_mov_b32_e32 v118, 0
	v_dot4c_i32_i8_e32 v118, v176, v0
	v_mov_b32_e32 v119, 0
	v_dot4c_i32_i8_e32 v118, v178, v1
	v_dot4c_i32_i8_e32 v119, v181, v4
	v_dot4c_i32_i8_e32 v118, v179, v2
	v_dot4c_i32_i8_e32 v119, v183, v5
	v_dot4c_i32_i8_e32 v118, v180, v3
	v_dot4c_i32_i8_e32 v119, v184, v6
	v_dot4c_i32_i8_e32 v119, v185, v7
	s_nop 0
	v_mul_lo_u32 v118, v118, v186
	s_nop 0
	v_mad_u64_u32 v[118:119], s[20:21], v119, v188, v[118:119]
	v_cvt_f32_i32_e32 v118, v118
	v_mul_f32_e32 v119, v182, v116
	v_fmac_f32_e32 v57, v119, v118
	v_mov_b32_e32 v118, 0
	v_dot4c_i32_i8_e32 v118, v187, v0
	v_mov_b32_e32 v119, 0
	v_dot4c_i32_i8_e32 v118, v189, v1
	v_dot4c_i32_i8_e32 v119, v192, v4
	;; [unrolled: 1-line block ×7, first 2 shown]
	s_nop 0
	v_mul_lo_u32 v118, v118, v197
	s_nop 0
	v_mad_u64_u32 v[118:119], s[20:21], v119, v199, v[118:119]
	v_cvt_f32_i32_e32 v118, v118
	v_mul_f32_e32 v119, v193, v116
	v_fmac_f32_e32 v55, v119, v118
	v_mov_b32_e32 v118, 0
	v_dot4c_i32_i8_e32 v118, v198, v0
	v_dot4c_i32_i8_e32 v118, v200, v1
	v_mov_b32_e32 v1, 0
	v_dot4c_i32_i8_e32 v1, v203, v4
	v_dot4c_i32_i8_e32 v118, v201, v2
	;; [unrolled: 1-line block ×6, first 2 shown]
	s_nop 0
	v_mul_lo_u32 v0, v118, v208
	v_mov_b32_e32 v118, 0
	v_mad_u64_u32 v[0:1], s[20:21], v1, v209, v[0:1]
	v_cvt_f32_i32_e32 v0, v0
	v_mul_f32_e32 v1, v204, v116
	v_mov_b32_e32 v116, 0
	v_fmac_f32_e32 v53, v1, v0
	ds_read_b128 v[0:3], v164 offset:3072
	ds_read_b128 v[4:7], v164 offset:3088
	s_waitcnt lgkmcnt(1)
	v_dot4c_i32_i8_e32 v116, v166, v0
	v_dot4c_i32_i8_e32 v116, v167, v1
	s_waitcnt lgkmcnt(0)
	v_dot4c_i32_i8_e32 v118, v171, v4
	v_dot4c_i32_i8_e32 v116, v168, v2
	;; [unrolled: 1-line block ×6, first 2 shown]
	s_nop 0
	v_mul_lo_u32 v116, v116, v175
	s_nop 0
	v_mad_u64_u32 v[118:119], s[20:21], v118, v177, v[116:117]
	v_cvt_f32_i32_e32 v118, v118
	v_mul_f32_e32 v116, v170, v117
	v_fmac_f32_e32 v51, v116, v118
	v_mov_b32_e32 v116, 0
	v_dot4c_i32_i8_e32 v116, v176, v0
	v_mov_b32_e32 v118, 0
	v_dot4c_i32_i8_e32 v116, v178, v1
	v_dot4c_i32_i8_e32 v118, v181, v4
	;; [unrolled: 1-line block ×7, first 2 shown]
	s_nop 0
	v_mul_lo_u32 v116, v116, v186
	s_nop 0
	v_mad_u64_u32 v[118:119], s[20:21], v118, v188, v[116:117]
	v_cvt_f32_i32_e32 v118, v118
	v_mul_f32_e32 v116, v182, v117
	v_fmac_f32_e32 v49, v116, v118
	v_mov_b32_e32 v116, 0
	v_dot4c_i32_i8_e32 v116, v187, v0
	v_mov_b32_e32 v118, 0
	v_dot4c_i32_i8_e32 v116, v189, v1
	v_dot4c_i32_i8_e32 v118, v192, v4
	;; [unrolled: 1-line block ×7, first 2 shown]
	s_nop 0
	v_mul_lo_u32 v116, v116, v197
	s_nop 0
	v_mad_u64_u32 v[118:119], s[20:21], v118, v199, v[116:117]
	v_cvt_f32_i32_e32 v118, v118
	v_mul_f32_e32 v116, v193, v117
	v_mov_b32_e32 v119, 0
	v_fmac_f32_e32 v47, v116, v118
	v_mov_b32_e32 v116, 0
	v_dot4c_i32_i8_e32 v116, v198, v0
	v_dot4c_i32_i8_e32 v116, v200, v1
	v_mov_b32_e32 v1, 0
	v_dot4c_i32_i8_e32 v1, v203, v4
	v_dot4c_i32_i8_e32 v116, v201, v2
	;; [unrolled: 1-line block ×6, first 2 shown]
	v_mov_b32_e32 v118, 0
	v_mul_lo_u32 v0, v116, v208
	s_nop 0
	v_mad_u64_u32 v[0:1], s[20:21], v1, v209, v[0:1]
	v_cvt_f32_i32_e32 v0, v0
	v_mul_f32_e32 v1, v204, v117
	v_fmac_f32_e32 v45, v1, v0
	ds_read2_b32 v[116:117], v165 offset0:128 offset1:160
	ds_read_b128 v[0:3], v164 offset:4096
	ds_read_b128 v[4:7], v164 offset:4112
	s_waitcnt lgkmcnt(1)
	v_dot4c_i32_i8_e32 v118, v166, v0
	v_dot4c_i32_i8_e32 v118, v167, v1
	s_waitcnt lgkmcnt(0)
	v_dot4c_i32_i8_e32 v119, v171, v4
	v_dot4c_i32_i8_e32 v118, v168, v2
	;; [unrolled: 1-line block ×6, first 2 shown]
	s_nop 0
	v_mul_lo_u32 v118, v118, v175
	s_nop 0
	v_mad_u64_u32 v[118:119], s[20:21], v119, v177, v[118:119]
	v_cvt_f32_i32_e32 v118, v118
	v_mul_f32_e32 v119, v170, v116
	v_fmac_f32_e32 v43, v119, v118
	v_mov_b32_e32 v118, 0
	v_dot4c_i32_i8_e32 v118, v176, v0
	v_mov_b32_e32 v119, 0
	v_dot4c_i32_i8_e32 v118, v178, v1
	v_dot4c_i32_i8_e32 v119, v181, v4
	;; [unrolled: 1-line block ×7, first 2 shown]
	s_nop 0
	v_mul_lo_u32 v118, v118, v186
	s_nop 0
	v_mad_u64_u32 v[118:119], s[20:21], v119, v188, v[118:119]
	v_cvt_f32_i32_e32 v118, v118
	v_mul_f32_e32 v119, v182, v116
	v_fmac_f32_e32 v39, v119, v118
	v_mov_b32_e32 v118, 0
	v_dot4c_i32_i8_e32 v118, v187, v0
	v_mov_b32_e32 v119, 0
	v_dot4c_i32_i8_e32 v118, v189, v1
	v_dot4c_i32_i8_e32 v119, v192, v4
	;; [unrolled: 1-line block ×7, first 2 shown]
	s_nop 0
	v_mul_lo_u32 v118, v118, v197
	s_nop 0
	v_mad_u64_u32 v[118:119], s[20:21], v119, v199, v[118:119]
	v_cvt_f32_i32_e32 v118, v118
	v_mul_f32_e32 v119, v193, v116
	v_fmac_f32_e32 v35, v119, v118
	v_mov_b32_e32 v118, 0
	v_dot4c_i32_i8_e32 v118, v198, v0
	v_dot4c_i32_i8_e32 v118, v200, v1
	v_mov_b32_e32 v1, 0
	v_dot4c_i32_i8_e32 v1, v203, v4
	v_dot4c_i32_i8_e32 v118, v201, v2
	;; [unrolled: 1-line block ×6, first 2 shown]
	s_nop 0
	v_mul_lo_u32 v0, v118, v208
	v_mov_b32_e32 v118, 0
	v_mad_u64_u32 v[0:1], s[20:21], v1, v209, v[0:1]
	v_cvt_f32_i32_e32 v0, v0
	v_mul_f32_e32 v1, v204, v116
	v_mov_b32_e32 v116, 0
	v_fmac_f32_e32 v33, v1, v0
	ds_read_b128 v[0:3], v164 offset:5120
	ds_read_b128 v[4:7], v164 offset:5136
	s_waitcnt lgkmcnt(1)
	v_dot4c_i32_i8_e32 v116, v166, v0
	v_dot4c_i32_i8_e32 v116, v167, v1
	s_waitcnt lgkmcnt(0)
	v_dot4c_i32_i8_e32 v118, v171, v4
	v_dot4c_i32_i8_e32 v116, v168, v2
	;; [unrolled: 1-line block ×6, first 2 shown]
	s_nop 0
	v_mul_lo_u32 v116, v116, v175
	s_nop 0
	v_mad_u64_u32 v[118:119], s[20:21], v118, v177, v[116:117]
	v_cvt_f32_i32_e32 v118, v118
	v_mul_f32_e32 v116, v170, v117
	v_fmac_f32_e32 v31, v116, v118
	v_mov_b32_e32 v116, 0
	v_dot4c_i32_i8_e32 v116, v176, v0
	v_mov_b32_e32 v118, 0
	v_dot4c_i32_i8_e32 v116, v178, v1
	v_dot4c_i32_i8_e32 v118, v181, v4
	;; [unrolled: 1-line block ×7, first 2 shown]
	s_nop 0
	v_mul_lo_u32 v116, v116, v186
	s_nop 0
	v_mad_u64_u32 v[118:119], s[20:21], v118, v188, v[116:117]
	v_cvt_f32_i32_e32 v118, v118
	v_mul_f32_e32 v116, v182, v117
	v_fmac_f32_e32 v29, v116, v118
	v_mov_b32_e32 v116, 0
	v_dot4c_i32_i8_e32 v116, v187, v0
	v_mov_b32_e32 v118, 0
	v_dot4c_i32_i8_e32 v116, v189, v1
	v_dot4c_i32_i8_e32 v118, v192, v4
	;; [unrolled: 1-line block ×7, first 2 shown]
	s_nop 0
	v_mul_lo_u32 v116, v116, v197
	s_nop 0
	v_mad_u64_u32 v[118:119], s[20:21], v118, v199, v[116:117]
	v_cvt_f32_i32_e32 v118, v118
	v_mul_f32_e32 v116, v193, v117
	v_mov_b32_e32 v119, 0
	v_fmac_f32_e32 v27, v116, v118
	v_mov_b32_e32 v116, 0
	v_dot4c_i32_i8_e32 v116, v198, v0
	v_dot4c_i32_i8_e32 v116, v200, v1
	v_mov_b32_e32 v1, 0
	v_dot4c_i32_i8_e32 v1, v203, v4
	v_dot4c_i32_i8_e32 v116, v201, v2
	;; [unrolled: 1-line block ×6, first 2 shown]
	v_mov_b32_e32 v118, 0
	v_mul_lo_u32 v0, v116, v208
	s_nop 0
	v_mad_u64_u32 v[0:1], s[20:21], v1, v209, v[0:1]
	v_cvt_f32_i32_e32 v0, v0
	v_mul_f32_e32 v1, v204, v117
	v_fmac_f32_e32 v25, v1, v0
	ds_read2_b32 v[116:117], v165 offset0:192 offset1:224
	ds_read_b128 v[4:7], v164 offset:6144
	ds_read_b128 v[0:3], v164 offset:6160
	v_add_u32_e32 v165, 4, v165
	s_waitcnt lgkmcnt(1)
	v_dot4c_i32_i8_e32 v118, v166, v4
	v_dot4c_i32_i8_e32 v118, v167, v5
	s_waitcnt lgkmcnt(0)
	v_dot4c_i32_i8_e32 v119, v171, v0
	v_dot4c_i32_i8_e32 v118, v168, v6
	;; [unrolled: 1-line block ×6, first 2 shown]
	s_nop 0
	v_mul_lo_u32 v118, v118, v175
	s_nop 0
	v_mad_u64_u32 v[118:119], s[20:21], v119, v177, v[118:119]
	v_cvt_f32_i32_e32 v118, v118
	v_mul_f32_e32 v119, v170, v116
	v_fmac_f32_e32 v23, v119, v118
	v_mov_b32_e32 v118, 0
	v_dot4c_i32_i8_e32 v118, v176, v4
	v_mov_b32_e32 v119, 0
	v_dot4c_i32_i8_e32 v118, v178, v5
	v_dot4c_i32_i8_e32 v119, v181, v0
	;; [unrolled: 1-line block ×7, first 2 shown]
	s_nop 0
	v_mul_lo_u32 v118, v118, v186
	s_nop 0
	v_mad_u64_u32 v[118:119], s[20:21], v119, v188, v[118:119]
	v_cvt_f32_i32_e32 v118, v118
	v_mul_f32_e32 v119, v182, v116
	v_fmac_f32_e32 v21, v119, v118
	v_mov_b32_e32 v118, 0
	v_dot4c_i32_i8_e32 v118, v187, v4
	v_mov_b32_e32 v119, 0
	v_dot4c_i32_i8_e32 v118, v189, v5
	v_dot4c_i32_i8_e32 v119, v192, v0
	v_dot4c_i32_i8_e32 v118, v190, v6
	v_dot4c_i32_i8_e32 v119, v194, v1
	v_dot4c_i32_i8_e32 v118, v191, v7
	v_dot4c_i32_i8_e32 v119, v195, v2
	v_dot4c_i32_i8_e32 v119, v196, v3
	s_nop 0
	v_mul_lo_u32 v118, v118, v197
	s_nop 0
	v_mad_u64_u32 v[118:119], s[20:21], v119, v199, v[118:119]
	v_cvt_f32_i32_e32 v118, v118
	v_mul_f32_e32 v119, v193, v116
	v_fmac_f32_e32 v19, v119, v118
	v_mov_b32_e32 v118, 0
	v_dot4c_i32_i8_e32 v118, v198, v4
	v_dot4c_i32_i8_e32 v118, v200, v5
	v_mov_b32_e32 v5, 0
	v_dot4c_i32_i8_e32 v5, v203, v0
	v_dot4c_i32_i8_e32 v118, v201, v6
	;; [unrolled: 1-line block ×6, first 2 shown]
	s_nop 0
	v_mul_lo_u32 v4, v118, v208
	v_mov_b32_e32 v118, 0
	v_mad_u64_u32 v[0:1], s[20:21], v5, v209, v[4:5]
	v_cvt_f32_i32_e32 v0, v0
	v_mul_f32_e32 v1, v204, v116
	v_mov_b32_e32 v116, 0
	v_fmac_f32_e32 v17, v1, v0
	ds_read_b128 v[0:3], v164 offset:7168
	ds_read_b128 v[4:7], v164 offset:7184
	v_add_u32_e32 v164, 32, v164
	s_waitcnt lgkmcnt(1)
	v_dot4c_i32_i8_e32 v116, v166, v0
	v_dot4c_i32_i8_e32 v116, v167, v1
	s_waitcnt lgkmcnt(0)
	v_dot4c_i32_i8_e32 v118, v171, v4
	v_dot4c_i32_i8_e32 v116, v168, v2
	v_dot4c_i32_i8_e32 v118, v172, v5
	v_dot4c_i32_i8_e32 v116, v169, v3
	v_dot4c_i32_i8_e32 v118, v173, v6
	v_dot4c_i32_i8_e32 v118, v174, v7
	s_nop 0
	v_mul_lo_u32 v116, v116, v175
	s_nop 0
	v_mad_u64_u32 v[118:119], s[20:21], v118, v177, v[116:117]
	v_cvt_f32_i32_e32 v118, v118
	v_mul_f32_e32 v116, v170, v117
	v_fmac_f32_e32 v15, v116, v118
	v_mov_b32_e32 v116, 0
	v_dot4c_i32_i8_e32 v116, v176, v0
	v_mov_b32_e32 v118, 0
	v_dot4c_i32_i8_e32 v116, v178, v1
	v_dot4c_i32_i8_e32 v118, v181, v4
	;; [unrolled: 1-line block ×7, first 2 shown]
	s_nop 0
	v_mul_lo_u32 v116, v116, v186
	s_nop 0
	v_mad_u64_u32 v[118:119], s[20:21], v118, v188, v[116:117]
	v_cvt_f32_i32_e32 v118, v118
	v_mul_f32_e32 v116, v182, v117
	v_fmac_f32_e32 v13, v116, v118
	v_mov_b32_e32 v116, 0
	v_dot4c_i32_i8_e32 v116, v187, v0
	v_mov_b32_e32 v118, 0
	v_dot4c_i32_i8_e32 v116, v189, v1
	v_dot4c_i32_i8_e32 v118, v192, v4
	;; [unrolled: 1-line block ×7, first 2 shown]
	s_nop 0
	v_mul_lo_u32 v116, v116, v197
	s_nop 0
	v_mad_u64_u32 v[118:119], s[20:21], v118, v199, v[116:117]
	v_cvt_f32_i32_e32 v118, v118
	v_mul_f32_e32 v116, v193, v117
	v_fmac_f32_e32 v11, v116, v118
	v_mov_b32_e32 v116, 0
	v_dot4c_i32_i8_e32 v116, v198, v0
	v_dot4c_i32_i8_e32 v116, v200, v1
	v_mov_b32_e32 v1, 0
	v_dot4c_i32_i8_e32 v1, v203, v4
	v_dot4c_i32_i8_e32 v116, v201, v2
	;; [unrolled: 1-line block ×6, first 2 shown]
	s_nop 0
	v_mul_lo_u32 v0, v116, v208
	s_nop 0
	v_mad_u64_u32 v[0:1], s[20:21], v1, v209, v[0:1]
	v_cvt_f32_i32_e32 v0, v0
	v_mul_f32_e32 v1, v204, v117
	s_mov_b32 s20, s19
	v_fmac_f32_e32 v9, v1, v0
	s_cbranch_scc1 .LBB150_14
; %bb.15:                               ;   in Loop: Header=BB150_6 Depth=1
	s_barrier
	s_branch .LBB150_5
.LBB150_16:
	v_mov_b32_e32 v1, v41
.LBB150_17:
	v_cmp_gt_u32_e32 vcc, s10, v63
	s_and_saveexec_b64 s[0:1], vcc
	s_cbranch_execz .LBB150_68
; %bb.18:
	v_add_u32_e32 v0, s6, v37
	v_mul_lo_u32 v5, v63, s14
	v_cmp_gt_u32_e32 vcc, s14, v0
	s_and_saveexec_b64 s[2:3], vcc
	s_cbranch_execz .LBB150_20
; %bb.19:
	v_add_u32_e32 v2, v0, v5
	v_mov_b32_e32 v3, 0
	v_cvt_f16_f32_e32 v6, v95
	v_lshlrev_b64 v[2:3], 1, v[2:3]
	s_waitcnt lgkmcnt(0)
	v_mov_b32_e32 v4, s13
	v_add_co_u32_e64 v2, s[0:1], s12, v2
	v_addc_co_u32_e64 v3, s[0:1], v4, v3, s[0:1]
	global_store_short v[2:3], v6, off
.LBB150_20:
	s_or_b64 exec, exec, s[2:3]
	v_add_u32_e32 v2, 32, v0
	v_cmp_gt_u32_e64 s[0:1], s14, v2
	s_and_saveexec_b64 s[4:5], s[0:1]
	s_cbranch_execz .LBB150_22
; %bb.21:
	v_add_u32_e32 v6, v2, v5
	v_mov_b32_e32 v7, 0
	v_cvt_f16_f32_e32 v4, v83
	v_lshlrev_b64 v[6:7], 1, v[6:7]
	s_waitcnt lgkmcnt(0)
	v_mov_b32_e32 v3, s13
	v_add_co_u32_e64 v6, s[2:3], s12, v6
	v_addc_co_u32_e64 v7, s[2:3], v3, v7, s[2:3]
	global_store_short v[6:7], v4, off
.LBB150_22:
	s_or_b64 exec, exec, s[4:5]
	v_add_u32_e32 v3, 64, v0
	v_cmp_gt_u32_e64 s[2:3], s14, v3
	s_and_saveexec_b64 s[6:7], s[2:3]
	;; [unrolled: 16-line block ×3, first 2 shown]
	s_cbranch_execz .LBB150_26
; %bb.25:
	v_add_u32_e32 v6, v4, v5
	v_mov_b32_e32 v7, 0
	v_cvt_f16_f32_e32 v8, v79
	v_lshlrev_b64 v[6:7], 1, v[6:7]
	s_waitcnt lgkmcnt(0)
	v_mov_b32_e32 v5, s13
	v_add_co_u32_e64 v6, s[6:7], s12, v6
	v_addc_co_u32_e64 v7, s[6:7], v5, v7, s[6:7]
	global_store_short v[6:7], v8, off
.LBB150_26:
	s_or_b64 exec, exec, s[8:9]
	v_add3_u32 v5, v1, s15, 8
	v_cmp_gt_u32_e64 s[6:7], s10, v5
	s_and_b64 exec, exec, s[6:7]
	s_cbranch_execz .LBB150_68
; %bb.27:
	v_mul_lo_u32 v5, v5, s14
	s_and_saveexec_b64 s[8:9], vcc
	s_cbranch_execnz .LBB150_69
; %bb.28:
	s_or_b64 exec, exec, s[8:9]
	s_and_saveexec_b64 s[8:9], s[0:1]
	s_cbranch_execnz .LBB150_70
.LBB150_29:
	s_or_b64 exec, exec, s[8:9]
	s_and_saveexec_b64 s[8:9], s[2:3]
	s_cbranch_execnz .LBB150_71
.LBB150_30:
	s_or_b64 exec, exec, s[8:9]
	s_and_saveexec_b64 s[8:9], s[4:5]
	s_cbranch_execz .LBB150_32
.LBB150_31:
	v_add_u32_e32 v6, v5, v4
	v_mov_b32_e32 v7, 0
	v_cvt_f16_f32_e32 v8, v65
	v_lshlrev_b64 v[6:7], 1, v[6:7]
	s_waitcnt lgkmcnt(0)
	v_mov_b32_e32 v5, s13
	v_add_co_u32_e64 v6, s[6:7], s12, v6
	v_addc_co_u32_e64 v7, s[6:7], v5, v7, s[6:7]
	global_store_short v[6:7], v8, off
.LBB150_32:
	s_or_b64 exec, exec, s[8:9]
	v_add3_u32 v5, v1, s15, 16
	v_cmp_gt_u32_e64 s[6:7], s10, v5
	s_and_b64 exec, exec, s[6:7]
	s_cbranch_execz .LBB150_68
; %bb.33:
	v_mul_lo_u32 v5, v5, s14
	s_and_saveexec_b64 s[8:9], vcc
	s_cbranch_execnz .LBB150_72
; %bb.34:
	s_or_b64 exec, exec, s[8:9]
	s_and_saveexec_b64 s[8:9], s[0:1]
	s_cbranch_execnz .LBB150_73
.LBB150_35:
	s_or_b64 exec, exec, s[8:9]
	s_and_saveexec_b64 s[8:9], s[2:3]
	s_cbranch_execnz .LBB150_74
.LBB150_36:
	s_or_b64 exec, exec, s[8:9]
	s_and_saveexec_b64 s[8:9], s[4:5]
	s_cbranch_execz .LBB150_38
.LBB150_37:
	v_add_u32_e32 v6, v5, v4
	v_mov_b32_e32 v7, 0
	v_cvt_f16_f32_e32 v8, v53
	v_lshlrev_b64 v[6:7], 1, v[6:7]
	s_waitcnt lgkmcnt(0)
	v_mov_b32_e32 v5, s13
	v_add_co_u32_e64 v6, s[6:7], s12, v6
	v_addc_co_u32_e64 v7, s[6:7], v5, v7, s[6:7]
	global_store_short v[6:7], v8, off
.LBB150_38:
	s_or_b64 exec, exec, s[8:9]
	v_add3_u32 v5, v1, s15, 24
	v_cmp_gt_u32_e64 s[6:7], s10, v5
	s_and_b64 exec, exec, s[6:7]
	s_cbranch_execz .LBB150_68
; %bb.39:
	v_mul_lo_u32 v5, v5, s14
	s_and_saveexec_b64 s[8:9], vcc
	s_cbranch_execnz .LBB150_75
; %bb.40:
	s_or_b64 exec, exec, s[8:9]
	s_and_saveexec_b64 s[8:9], s[0:1]
	s_cbranch_execnz .LBB150_76
.LBB150_41:
	s_or_b64 exec, exec, s[8:9]
	s_and_saveexec_b64 s[8:9], s[2:3]
	s_cbranch_execnz .LBB150_77
.LBB150_42:
	s_or_b64 exec, exec, s[8:9]
	s_and_saveexec_b64 s[8:9], s[4:5]
	s_cbranch_execz .LBB150_44
.LBB150_43:
	v_add_u32_e32 v6, v5, v4
	v_mov_b32_e32 v7, 0
	v_cvt_f16_f32_e32 v8, v45
	v_lshlrev_b64 v[6:7], 1, v[6:7]
	s_waitcnt lgkmcnt(0)
	v_mov_b32_e32 v5, s13
	v_add_co_u32_e64 v6, s[6:7], s12, v6
	v_addc_co_u32_e64 v7, s[6:7], v5, v7, s[6:7]
	global_store_short v[6:7], v8, off
.LBB150_44:
	s_or_b64 exec, exec, s[8:9]
	v_add3_u32 v5, v1, s15, 32
	v_cmp_gt_u32_e64 s[6:7], s10, v5
	s_and_b64 exec, exec, s[6:7]
	s_cbranch_execz .LBB150_68
; %bb.45:
	v_mul_lo_u32 v5, v5, s14
	s_and_saveexec_b64 s[8:9], vcc
	s_cbranch_execnz .LBB150_78
; %bb.46:
	s_or_b64 exec, exec, s[8:9]
	s_and_saveexec_b64 s[8:9], s[0:1]
	s_cbranch_execnz .LBB150_79
.LBB150_47:
	s_or_b64 exec, exec, s[8:9]
	s_and_saveexec_b64 s[8:9], s[2:3]
	s_cbranch_execnz .LBB150_80
.LBB150_48:
	s_or_b64 exec, exec, s[8:9]
	s_and_saveexec_b64 s[8:9], s[4:5]
	s_cbranch_execz .LBB150_50
.LBB150_49:
	v_add_u32_e32 v6, v5, v4
	v_mov_b32_e32 v7, 0
	v_cvt_f16_f32_e32 v8, v33
	v_lshlrev_b64 v[6:7], 1, v[6:7]
	s_waitcnt lgkmcnt(0)
	v_mov_b32_e32 v5, s13
	v_add_co_u32_e64 v6, s[6:7], s12, v6
	v_addc_co_u32_e64 v7, s[6:7], v5, v7, s[6:7]
	global_store_short v[6:7], v8, off
.LBB150_50:
	s_or_b64 exec, exec, s[8:9]
	v_add3_u32 v5, v1, s15, 40
	v_cmp_gt_u32_e64 s[6:7], s10, v5
	s_and_b64 exec, exec, s[6:7]
	s_cbranch_execz .LBB150_68
; %bb.51:
	v_mul_lo_u32 v5, v5, s14
	s_and_saveexec_b64 s[8:9], vcc
	s_cbranch_execnz .LBB150_81
; %bb.52:
	s_or_b64 exec, exec, s[8:9]
	s_and_saveexec_b64 s[8:9], s[0:1]
	s_cbranch_execnz .LBB150_82
.LBB150_53:
	s_or_b64 exec, exec, s[8:9]
	s_and_saveexec_b64 s[8:9], s[2:3]
	s_cbranch_execnz .LBB150_83
.LBB150_54:
	s_or_b64 exec, exec, s[8:9]
	s_and_saveexec_b64 s[8:9], s[4:5]
	s_cbranch_execz .LBB150_56
.LBB150_55:
	v_add_u32_e32 v6, v5, v4
	v_mov_b32_e32 v7, 0
	v_cvt_f16_f32_e32 v8, v25
	v_lshlrev_b64 v[6:7], 1, v[6:7]
	s_waitcnt lgkmcnt(0)
	v_mov_b32_e32 v5, s13
	v_add_co_u32_e64 v6, s[6:7], s12, v6
	v_addc_co_u32_e64 v7, s[6:7], v5, v7, s[6:7]
	global_store_short v[6:7], v8, off
.LBB150_56:
	s_or_b64 exec, exec, s[8:9]
	v_add3_u32 v5, v1, s15, 48
	v_cmp_gt_u32_e64 s[6:7], s10, v5
	s_and_b64 exec, exec, s[6:7]
	s_cbranch_execz .LBB150_68
; %bb.57:
	v_mul_lo_u32 v5, v5, s14
	s_and_saveexec_b64 s[8:9], vcc
	s_cbranch_execnz .LBB150_84
; %bb.58:
	s_or_b64 exec, exec, s[8:9]
	s_and_saveexec_b64 s[8:9], s[0:1]
	s_cbranch_execnz .LBB150_85
.LBB150_59:
	s_or_b64 exec, exec, s[8:9]
	s_and_saveexec_b64 s[8:9], s[2:3]
	s_cbranch_execnz .LBB150_86
.LBB150_60:
	s_or_b64 exec, exec, s[8:9]
	s_and_saveexec_b64 s[8:9], s[4:5]
	s_cbranch_execz .LBB150_62
.LBB150_61:
	v_add_u32_e32 v6, v5, v4
	v_mov_b32_e32 v7, 0
	v_cvt_f16_f32_e32 v8, v17
	v_lshlrev_b64 v[6:7], 1, v[6:7]
	s_waitcnt lgkmcnt(0)
	v_mov_b32_e32 v5, s13
	v_add_co_u32_e64 v6, s[6:7], s12, v6
	v_addc_co_u32_e64 v7, s[6:7], v5, v7, s[6:7]
	global_store_short v[6:7], v8, off
.LBB150_62:
	s_or_b64 exec, exec, s[8:9]
	v_add3_u32 v1, v1, s15, 56
	v_cmp_gt_u32_e64 s[6:7], s10, v1
	s_and_b64 exec, exec, s[6:7]
	s_cbranch_execz .LBB150_68
; %bb.63:
	v_mul_lo_u32 v1, v1, s14
	s_and_saveexec_b64 s[6:7], vcc
	s_cbranch_execnz .LBB150_87
; %bb.64:
	s_or_b64 exec, exec, s[6:7]
	s_and_saveexec_b64 s[6:7], s[0:1]
	s_cbranch_execnz .LBB150_88
.LBB150_65:
	s_or_b64 exec, exec, s[6:7]
	s_and_saveexec_b64 s[0:1], s[2:3]
	s_cbranch_execnz .LBB150_89
.LBB150_66:
	s_or_b64 exec, exec, s[0:1]
	s_and_b64 exec, exec, s[4:5]
	s_cbranch_execz .LBB150_68
.LBB150_67:
	v_add_u32_e32 v0, v1, v4
	v_mov_b32_e32 v1, 0
	v_cvt_f16_f32_e32 v3, v9
	v_lshlrev_b64 v[0:1], 1, v[0:1]
	s_waitcnt lgkmcnt(0)
	v_mov_b32_e32 v2, s13
	v_add_co_u32_e32 v0, vcc, s12, v0
	v_addc_co_u32_e32 v1, vcc, v2, v1, vcc
	global_store_short v[0:1], v3, off
.LBB150_68:
	s_endpgm
.LBB150_69:
	v_add_u32_e32 v6, v5, v0
	v_mov_b32_e32 v7, 0
	v_cvt_f16_f32_e32 v10, v71
	v_lshlrev_b64 v[6:7], 1, v[6:7]
	s_waitcnt lgkmcnt(0)
	v_mov_b32_e32 v8, s13
	v_add_co_u32_e64 v6, s[6:7], s12, v6
	v_addc_co_u32_e64 v7, s[6:7], v8, v7, s[6:7]
	global_store_short v[6:7], v10, off
	s_or_b64 exec, exec, s[8:9]
	s_and_saveexec_b64 s[8:9], s[0:1]
	s_cbranch_execz .LBB150_29
.LBB150_70:
	v_add_u32_e32 v6, v5, v2
	v_mov_b32_e32 v7, 0
	v_cvt_f16_f32_e32 v10, v69
	v_lshlrev_b64 v[6:7], 1, v[6:7]
	s_waitcnt lgkmcnt(0)
	v_mov_b32_e32 v8, s13
	v_add_co_u32_e64 v6, s[6:7], s12, v6
	v_addc_co_u32_e64 v7, s[6:7], v8, v7, s[6:7]
	global_store_short v[6:7], v10, off
	s_or_b64 exec, exec, s[8:9]
	s_and_saveexec_b64 s[8:9], s[2:3]
	s_cbranch_execz .LBB150_30
.LBB150_71:
	v_add_u32_e32 v6, v5, v3
	v_mov_b32_e32 v7, 0
	v_cvt_f16_f32_e32 v10, v67
	v_lshlrev_b64 v[6:7], 1, v[6:7]
	s_waitcnt lgkmcnt(0)
	v_mov_b32_e32 v8, s13
	v_add_co_u32_e64 v6, s[6:7], s12, v6
	v_addc_co_u32_e64 v7, s[6:7], v8, v7, s[6:7]
	global_store_short v[6:7], v10, off
	s_or_b64 exec, exec, s[8:9]
	s_and_saveexec_b64 s[8:9], s[4:5]
	s_cbranch_execnz .LBB150_31
	s_branch .LBB150_32
.LBB150_72:
	v_add_u32_e32 v6, v5, v0
	v_mov_b32_e32 v7, 0
	v_cvt_f16_f32_e32 v10, v59
	v_lshlrev_b64 v[6:7], 1, v[6:7]
	s_waitcnt lgkmcnt(0)
	v_mov_b32_e32 v8, s13
	v_add_co_u32_e64 v6, s[6:7], s12, v6
	v_addc_co_u32_e64 v7, s[6:7], v8, v7, s[6:7]
	global_store_short v[6:7], v10, off
	s_or_b64 exec, exec, s[8:9]
	s_and_saveexec_b64 s[8:9], s[0:1]
	s_cbranch_execz .LBB150_35
.LBB150_73:
	v_add_u32_e32 v6, v5, v2
	v_mov_b32_e32 v7, 0
	v_cvt_f16_f32_e32 v10, v57
	v_lshlrev_b64 v[6:7], 1, v[6:7]
	s_waitcnt lgkmcnt(0)
	v_mov_b32_e32 v8, s13
	v_add_co_u32_e64 v6, s[6:7], s12, v6
	v_addc_co_u32_e64 v7, s[6:7], v8, v7, s[6:7]
	global_store_short v[6:7], v10, off
	s_or_b64 exec, exec, s[8:9]
	s_and_saveexec_b64 s[8:9], s[2:3]
	s_cbranch_execz .LBB150_36
.LBB150_74:
	v_add_u32_e32 v6, v5, v3
	v_mov_b32_e32 v7, 0
	v_cvt_f16_f32_e32 v10, v55
	v_lshlrev_b64 v[6:7], 1, v[6:7]
	s_waitcnt lgkmcnt(0)
	v_mov_b32_e32 v8, s13
	v_add_co_u32_e64 v6, s[6:7], s12, v6
	v_addc_co_u32_e64 v7, s[6:7], v8, v7, s[6:7]
	global_store_short v[6:7], v10, off
	s_or_b64 exec, exec, s[8:9]
	s_and_saveexec_b64 s[8:9], s[4:5]
	s_cbranch_execnz .LBB150_37
	s_branch .LBB150_38
.LBB150_75:
	v_add_u32_e32 v6, v5, v0
	v_mov_b32_e32 v7, 0
	v_cvt_f16_f32_e32 v10, v51
	v_lshlrev_b64 v[6:7], 1, v[6:7]
	s_waitcnt lgkmcnt(0)
	v_mov_b32_e32 v8, s13
	v_add_co_u32_e64 v6, s[6:7], s12, v6
	v_addc_co_u32_e64 v7, s[6:7], v8, v7, s[6:7]
	global_store_short v[6:7], v10, off
	s_or_b64 exec, exec, s[8:9]
	s_and_saveexec_b64 s[8:9], s[0:1]
	s_cbranch_execz .LBB150_41
.LBB150_76:
	v_add_u32_e32 v6, v5, v2
	v_mov_b32_e32 v7, 0
	v_cvt_f16_f32_e32 v10, v49
	v_lshlrev_b64 v[6:7], 1, v[6:7]
	s_waitcnt lgkmcnt(0)
	v_mov_b32_e32 v8, s13
	v_add_co_u32_e64 v6, s[6:7], s12, v6
	v_addc_co_u32_e64 v7, s[6:7], v8, v7, s[6:7]
	global_store_short v[6:7], v10, off
	s_or_b64 exec, exec, s[8:9]
	s_and_saveexec_b64 s[8:9], s[2:3]
	s_cbranch_execz .LBB150_42
.LBB150_77:
	v_add_u32_e32 v6, v5, v3
	v_mov_b32_e32 v7, 0
	v_cvt_f16_f32_e32 v10, v47
	v_lshlrev_b64 v[6:7], 1, v[6:7]
	s_waitcnt lgkmcnt(0)
	v_mov_b32_e32 v8, s13
	v_add_co_u32_e64 v6, s[6:7], s12, v6
	v_addc_co_u32_e64 v7, s[6:7], v8, v7, s[6:7]
	global_store_short v[6:7], v10, off
	s_or_b64 exec, exec, s[8:9]
	s_and_saveexec_b64 s[8:9], s[4:5]
	s_cbranch_execnz .LBB150_43
	s_branch .LBB150_44
.LBB150_78:
	v_add_u32_e32 v6, v5, v0
	v_mov_b32_e32 v7, 0
	v_cvt_f16_f32_e32 v10, v43
	v_lshlrev_b64 v[6:7], 1, v[6:7]
	s_waitcnt lgkmcnt(0)
	v_mov_b32_e32 v8, s13
	v_add_co_u32_e64 v6, s[6:7], s12, v6
	v_addc_co_u32_e64 v7, s[6:7], v8, v7, s[6:7]
	global_store_short v[6:7], v10, off
	s_or_b64 exec, exec, s[8:9]
	s_and_saveexec_b64 s[8:9], s[0:1]
	s_cbranch_execz .LBB150_47
.LBB150_79:
	v_add_u32_e32 v6, v5, v2
	v_mov_b32_e32 v7, 0
	v_cvt_f16_f32_e32 v10, v39
	v_lshlrev_b64 v[6:7], 1, v[6:7]
	s_waitcnt lgkmcnt(0)
	v_mov_b32_e32 v8, s13
	v_add_co_u32_e64 v6, s[6:7], s12, v6
	v_addc_co_u32_e64 v7, s[6:7], v8, v7, s[6:7]
	global_store_short v[6:7], v10, off
	s_or_b64 exec, exec, s[8:9]
	s_and_saveexec_b64 s[8:9], s[2:3]
	s_cbranch_execz .LBB150_48
.LBB150_80:
	v_add_u32_e32 v6, v5, v3
	v_mov_b32_e32 v7, 0
	v_cvt_f16_f32_e32 v10, v35
	v_lshlrev_b64 v[6:7], 1, v[6:7]
	s_waitcnt lgkmcnt(0)
	v_mov_b32_e32 v8, s13
	v_add_co_u32_e64 v6, s[6:7], s12, v6
	v_addc_co_u32_e64 v7, s[6:7], v8, v7, s[6:7]
	global_store_short v[6:7], v10, off
	s_or_b64 exec, exec, s[8:9]
	s_and_saveexec_b64 s[8:9], s[4:5]
	s_cbranch_execnz .LBB150_49
	s_branch .LBB150_50
.LBB150_81:
	v_add_u32_e32 v6, v5, v0
	v_mov_b32_e32 v7, 0
	v_cvt_f16_f32_e32 v10, v31
	v_lshlrev_b64 v[6:7], 1, v[6:7]
	s_waitcnt lgkmcnt(0)
	v_mov_b32_e32 v8, s13
	v_add_co_u32_e64 v6, s[6:7], s12, v6
	v_addc_co_u32_e64 v7, s[6:7], v8, v7, s[6:7]
	global_store_short v[6:7], v10, off
	s_or_b64 exec, exec, s[8:9]
	s_and_saveexec_b64 s[8:9], s[0:1]
	s_cbranch_execz .LBB150_53
.LBB150_82:
	v_add_u32_e32 v6, v5, v2
	v_mov_b32_e32 v7, 0
	v_cvt_f16_f32_e32 v10, v29
	v_lshlrev_b64 v[6:7], 1, v[6:7]
	s_waitcnt lgkmcnt(0)
	v_mov_b32_e32 v8, s13
	v_add_co_u32_e64 v6, s[6:7], s12, v6
	v_addc_co_u32_e64 v7, s[6:7], v8, v7, s[6:7]
	global_store_short v[6:7], v10, off
	s_or_b64 exec, exec, s[8:9]
	s_and_saveexec_b64 s[8:9], s[2:3]
	s_cbranch_execz .LBB150_54
.LBB150_83:
	v_add_u32_e32 v6, v5, v3
	v_mov_b32_e32 v7, 0
	v_cvt_f16_f32_e32 v10, v27
	v_lshlrev_b64 v[6:7], 1, v[6:7]
	s_waitcnt lgkmcnt(0)
	v_mov_b32_e32 v8, s13
	v_add_co_u32_e64 v6, s[6:7], s12, v6
	v_addc_co_u32_e64 v7, s[6:7], v8, v7, s[6:7]
	global_store_short v[6:7], v10, off
	s_or_b64 exec, exec, s[8:9]
	s_and_saveexec_b64 s[8:9], s[4:5]
	s_cbranch_execnz .LBB150_55
	s_branch .LBB150_56
.LBB150_84:
	v_add_u32_e32 v6, v5, v0
	v_mov_b32_e32 v7, 0
	v_cvt_f16_f32_e32 v10, v23
	v_lshlrev_b64 v[6:7], 1, v[6:7]
	s_waitcnt lgkmcnt(0)
	v_mov_b32_e32 v8, s13
	v_add_co_u32_e64 v6, s[6:7], s12, v6
	v_addc_co_u32_e64 v7, s[6:7], v8, v7, s[6:7]
	global_store_short v[6:7], v10, off
	s_or_b64 exec, exec, s[8:9]
	s_and_saveexec_b64 s[8:9], s[0:1]
	s_cbranch_execz .LBB150_59
.LBB150_85:
	v_add_u32_e32 v6, v5, v2
	v_mov_b32_e32 v7, 0
	v_cvt_f16_f32_e32 v10, v21
	v_lshlrev_b64 v[6:7], 1, v[6:7]
	s_waitcnt lgkmcnt(0)
	v_mov_b32_e32 v8, s13
	v_add_co_u32_e64 v6, s[6:7], s12, v6
	v_addc_co_u32_e64 v7, s[6:7], v8, v7, s[6:7]
	global_store_short v[6:7], v10, off
	s_or_b64 exec, exec, s[8:9]
	s_and_saveexec_b64 s[8:9], s[2:3]
	s_cbranch_execz .LBB150_60
.LBB150_86:
	v_add_u32_e32 v6, v5, v3
	v_mov_b32_e32 v7, 0
	v_cvt_f16_f32_e32 v10, v19
	v_lshlrev_b64 v[6:7], 1, v[6:7]
	s_waitcnt lgkmcnt(0)
	v_mov_b32_e32 v8, s13
	v_add_co_u32_e64 v6, s[6:7], s12, v6
	v_addc_co_u32_e64 v7, s[6:7], v8, v7, s[6:7]
	global_store_short v[6:7], v10, off
	s_or_b64 exec, exec, s[8:9]
	s_and_saveexec_b64 s[8:9], s[4:5]
	s_cbranch_execnz .LBB150_61
	s_branch .LBB150_62
.LBB150_87:
	v_add_u32_e32 v6, v1, v0
	v_mov_b32_e32 v7, 0
	v_cvt_f16_f32_e32 v5, v15
	v_lshlrev_b64 v[6:7], 1, v[6:7]
	s_waitcnt lgkmcnt(0)
	v_mov_b32_e32 v0, s13
	v_add_co_u32_e32 v6, vcc, s12, v6
	v_addc_co_u32_e32 v7, vcc, v0, v7, vcc
	global_store_short v[6:7], v5, off
	s_or_b64 exec, exec, s[6:7]
	s_and_saveexec_b64 s[6:7], s[0:1]
	s_cbranch_execz .LBB150_65
.LBB150_88:
	v_add_u32_e32 v6, v1, v2
	v_mov_b32_e32 v7, 0
	v_cvt_f16_f32_e32 v2, v13
	v_lshlrev_b64 v[6:7], 1, v[6:7]
	s_waitcnt lgkmcnt(0)
	v_mov_b32_e32 v0, s13
	v_add_co_u32_e32 v6, vcc, s12, v6
	v_addc_co_u32_e32 v7, vcc, v0, v7, vcc
	global_store_short v[6:7], v2, off
	s_or_b64 exec, exec, s[6:7]
	s_and_saveexec_b64 s[0:1], s[2:3]
	s_cbranch_execz .LBB150_66
.LBB150_89:
	v_add_u32_e32 v2, v1, v3
	v_mov_b32_e32 v3, 0
	v_cvt_f16_f32_e32 v5, v11
	v_lshlrev_b64 v[2:3], 1, v[2:3]
	s_waitcnt lgkmcnt(0)
	v_mov_b32_e32 v0, s13
	v_add_co_u32_e32 v2, vcc, s12, v2
	v_addc_co_u32_e32 v3, vcc, v0, v3, vcc
	global_store_short v[2:3], v5, off
	s_or_b64 exec, exec, s[0:1]
	s_and_b64 exec, exec, s[4:5]
	s_cbranch_execnz .LBB150_67
	s_branch .LBB150_68
	.section	.rodata,"a",@progbits
	.p2align	6, 0x0
	.amdhsa_kernel _ZL12mul_mat_q3_KIN3c104HalfELb1EEvPKvS3_PT_iiiii
		.amdhsa_group_segment_fixed_size 39840
		.amdhsa_private_segment_fixed_size 0
		.amdhsa_kernarg_size 44
		.amdhsa_user_sgpr_count 6
		.amdhsa_user_sgpr_private_segment_buffer 1
		.amdhsa_user_sgpr_dispatch_ptr 0
		.amdhsa_user_sgpr_queue_ptr 0
		.amdhsa_user_sgpr_kernarg_segment_ptr 1
		.amdhsa_user_sgpr_dispatch_id 0
		.amdhsa_user_sgpr_flat_scratch_init 0
		.amdhsa_user_sgpr_kernarg_preload_length 0
		.amdhsa_user_sgpr_kernarg_preload_offset 0
		.amdhsa_user_sgpr_private_segment_size 0
		.amdhsa_uses_dynamic_stack 0
		.amdhsa_system_sgpr_private_segment_wavefront_offset 0
		.amdhsa_system_sgpr_workgroup_id_x 1
		.amdhsa_system_sgpr_workgroup_id_y 1
		.amdhsa_system_sgpr_workgroup_id_z 0
		.amdhsa_system_sgpr_workgroup_info 0
		.amdhsa_system_vgpr_workitem_id 1
		.amdhsa_next_free_vgpr 214
		.amdhsa_next_free_sgpr 28
		.amdhsa_accum_offset 216
		.amdhsa_reserve_vcc 1
		.amdhsa_reserve_flat_scratch 0
		.amdhsa_float_round_mode_32 0
		.amdhsa_float_round_mode_16_64 0
		.amdhsa_float_denorm_mode_32 3
		.amdhsa_float_denorm_mode_16_64 3
		.amdhsa_dx10_clamp 1
		.amdhsa_ieee_mode 1
		.amdhsa_fp16_overflow 0
		.amdhsa_tg_split 0
		.amdhsa_exception_fp_ieee_invalid_op 0
		.amdhsa_exception_fp_denorm_src 0
		.amdhsa_exception_fp_ieee_div_zero 0
		.amdhsa_exception_fp_ieee_overflow 0
		.amdhsa_exception_fp_ieee_underflow 0
		.amdhsa_exception_fp_ieee_inexact 0
		.amdhsa_exception_int_div_zero 0
	.end_amdhsa_kernel
	.section	.text._ZL12mul_mat_q3_KIN3c104HalfELb1EEvPKvS3_PT_iiiii,"axG",@progbits,_ZL12mul_mat_q3_KIN3c104HalfELb1EEvPKvS3_PT_iiiii,comdat
.Lfunc_end150:
	.size	_ZL12mul_mat_q3_KIN3c104HalfELb1EEvPKvS3_PT_iiiii, .Lfunc_end150-_ZL12mul_mat_q3_KIN3c104HalfELb1EEvPKvS3_PT_iiiii
                                        ; -- End function
	.section	.AMDGPU.csdata,"",@progbits
; Kernel info:
; codeLenInByte = 32920
; NumSgprs: 32
; NumVgprs: 214
; NumAgprs: 0
; TotalNumVgprs: 214
; ScratchSize: 0
; MemoryBound: 0
; FloatMode: 240
; IeeeMode: 1
; LDSByteSize: 39840 bytes/workgroup (compile time only)
; SGPRBlocks: 3
; VGPRBlocks: 26
; NumSGPRsForWavesPerEU: 32
; NumVGPRsForWavesPerEU: 214
; AccumOffset: 216
; Occupancy: 1
; WaveLimiterHint : 0
; COMPUTE_PGM_RSRC2:SCRATCH_EN: 0
; COMPUTE_PGM_RSRC2:USER_SGPR: 6
; COMPUTE_PGM_RSRC2:TRAP_HANDLER: 0
; COMPUTE_PGM_RSRC2:TGID_X_EN: 1
; COMPUTE_PGM_RSRC2:TGID_Y_EN: 1
; COMPUTE_PGM_RSRC2:TGID_Z_EN: 0
; COMPUTE_PGM_RSRC2:TIDIG_COMP_CNT: 1
; COMPUTE_PGM_RSRC3_GFX90A:ACCUM_OFFSET: 53
; COMPUTE_PGM_RSRC3_GFX90A:TG_SPLIT: 0
	.section	.text._ZL12mul_mat_q4_KIN3c104HalfELb0EEvPKvS3_PT_iiiii,"axG",@progbits,_ZL12mul_mat_q4_KIN3c104HalfELb0EEvPKvS3_PT_iiiii,comdat
	.globl	_ZL12mul_mat_q4_KIN3c104HalfELb0EEvPKvS3_PT_iiiii ; -- Begin function _ZL12mul_mat_q4_KIN3c104HalfELb0EEvPKvS3_PT_iiiii
	.p2align	8
	.type	_ZL12mul_mat_q4_KIN3c104HalfELb0EEvPKvS3_PT_iiiii,@function
_ZL12mul_mat_q4_KIN3c104HalfELb0EEvPKvS3_PT_iiiii: ; @_ZL12mul_mat_q4_KIN3c104HalfELb0EEvPKvS3_PT_iiiii
; %bb.0:
	s_mov_b64 s[22:23], s[2:3]
	s_mov_b64 s[20:21], s[0:1]
	s_add_u32 s20, s20, s8
	s_load_dword s14, s[4:5], 0x18
	s_load_dwordx4 s[8:11], s[4:5], 0x20
	s_addc_u32 s21, s21, 0
	s_waitcnt lgkmcnt(0)
	s_lshl_b32 s11, s7, 6
	v_bfe_u32 v11, v0, 10, 10
	s_cmpk_gt_i32 s14, 0xff
	s_cbranch_scc1 .LBB151_2
; %bb.1:
	v_bfe_u32 v1, v0, 10, 10
	v_and_b32_e32 v53, 0x3ff, v0
	v_add_u32_e32 v2, s11, v1
	s_mov_b64 s[0:1], 0
	s_mov_b32 s2, 0
	s_branch .LBB151_3
.LBB151_2:
	s_mov_b64 s[0:1], -1
                                        ; implicit-def: $sgpr2
                                        ; implicit-def: $vgpr1
                                        ; implicit-def: $vgpr53
                                        ; implicit-def: $vgpr2
.LBB151_3:
	s_load_dwordx2 s[12:13], s[4:5], 0x10
	s_lshl_b32 s6, s6, 7
	s_andn2_b64 vcc, exec, s[0:1]
	v_mov_b32_e32 v21, s2
	v_mov_b32_e32 v20, s2
	;; [unrolled: 1-line block ×32, first 2 shown]
	s_cbranch_vccnz .LBB151_11
; %bb.4:
	v_and_b32_e32 v53, 0x3ff, v0
	v_lshlrev_b32_e32 v3, 2, v53
	v_and_b32_e32 v0, 0x7c, v3
	buffer_store_dword v0, off, s[20:23], 0 ; 4-byte Folded Spill
	s_nop 0
	buffer_store_dword v1, off, s[20:23], 0 offset:4 ; 4-byte Folded Spill
	s_load_dwordx4 s[0:3], s[4:5], 0x0
	s_ashr_i32 s4, s14, 31
	s_lshr_b32 s4, s4, 24
	s_add_i32 s14, s14, s4
	s_ashr_i32 s7, s14, 8
	v_mul_i32_i24_e32 v0, s7, v11
	s_ashr_i32 s4, s9, 31
	s_lshr_b32 s4, s4, 27
	s_add_i32 s4, s9, s4
	s_ashr_i32 s16, s4, 5
	s_mul_i32 s4, s7, s6
	s_mul_hi_i32 s5, s4, 0x90
	s_mulk_i32 s4, 0x90
	s_waitcnt lgkmcnt(0)
	s_add_u32 s14, s0, s4
	s_addc_u32 s15, s1, s5
	s_lshl_b32 s4, s7, 3
	v_lshlrev_b32_e32 v91, 5, v11
	s_movk_i32 s1, 0x84
	v_mad_u32_u24 v59, v11, s1, v3
	s_movk_i32 s17, 0x6e40
	v_lshrrev_b32_e32 v5, 2, v53
	v_add_u32_e32 v12, s11, v11
	v_add_u32_e32 v138, 0x100, v91
	v_add_u32_e32 v141, 0x200, v91
	v_add_u32_e32 v144, 0x300, v91
	v_add_u32_e32 v147, 0x400, v91
	v_add_u32_e32 v150, 0x500, v91
	v_add_u32_e32 v153, 0x600, v91
	v_add_u32_e32 v156, 0x700, v91
	v_lshrrev_b32_e32 v52, 5, v53
	s_mov_b32 s0, 0
	v_mad_u32_u24 v167, v53, s1, 64
	v_mov_b32_e32 v10, s3
	v_lshrrev_b32_e32 v123, 3, v53
	s_movk_i32 s9, 0x90
	v_add_u32_e32 v69, 0x14a0, v59
	v_add_u32_e32 v71, 0x18c0, v59
	;; [unrolled: 1-line block ×11, first 2 shown]
	v_mul_u32_u24_e32 v163, 0x84, v53
	v_lshlrev_b32_e32 v170, 4, v53
	v_lshlrev_b32_e32 v174, 2, v123
	buffer_store_dword v0, off, s[20:23], 0 offset:8 ; 4-byte Folded Spill
	s_nop 0
	buffer_store_dword v1, off, s[20:23], 0 offset:12 ; 4-byte Folded Spill
	v_mov_b32_e32 v0, s4
	v_mad_i32_i24 v58, s7, v11, v0
	v_add_u32_e32 v60, s4, v58
	v_add_u32_e32 v62, s4, v60
	;; [unrolled: 1-line block ×14, first 2 shown]
	s_movk_i32 s4, 0x6200
	buffer_store_dword v0, off, s[20:23], 0 offset:16 ; 4-byte Folded Spill
	s_nop 0
	buffer_store_dword v1, off, s[20:23], 0 offset:20 ; 4-byte Folded Spill
	v_add_u32_e32 v0, v91, v53
	v_and_b32_e32 v1, 0x7f, v0
	v_mul_i32_i24_e32 v2, s7, v1
	buffer_store_dword v2, off, s[20:23], 0 offset:24 ; 4-byte Folded Spill
	s_nop 0
	buffer_store_dword v3, off, s[20:23], 0 offset:28 ; 4-byte Folded Spill
	v_lshrrev_b32_e32 v0, 3, v0
	v_and_b32_e32 v0, 12, v0
	v_lshlrev_b32_e32 v1, 2, v1
	v_add3_u32 v93, v1, v0, s17
	v_and_b32_e32 v0, 3, v53
	v_add_u32_e32 v2, 0xfe, v0
	v_cmp_gt_u32_e32 vcc, 2, v0
	v_lshlrev_b32_e32 v1, 3, v11
	v_cndmask_b32_e32 v2, v2, v0, vcc
	v_add_u32_e32 v8, v5, v1
	v_and_b32_e32 v6, 0xff, v2
	v_cmp_ne_u32_e32 vcc, 0, v0
	v_add_u16_e32 v1, v5, v1
	v_addc_co_u32_e32 v2, vcc, 0, v6, vcc
	v_lshlrev_b32_e32 v117, 1, v6
	v_and_b32_e32 v6, 0x7f, v8
	v_lshlrev_b32_e32 v9, 2, v0
	v_lshrrev_b16_e32 v1, 1, v1
	v_lshl_or_b32 v7, v6, 4, v9
	v_and_b32_e32 v1, 60, v1
	v_add3_u32 v119, v7, v1, s4
	v_xor_b32_e32 v1, 64, v6
	v_mul_i32_i24_e32 v92, s7, v1
	v_lshl_or_b32 v5, v1, 4, v9
	v_lshrrev_b32_e32 v1, 1, v1
	v_and_b32_e32 v1, 60, v1
	v_cmp_lt_u32_e32 vcc, 1, v0
	v_add3_u32 v121, v5, v1, s4
	s_add_i32 s4, s8, -1
	v_mul_i32_i24_e32 v90, s7, v6
	v_cvt_f64_i32_e32 v[6:7], s4
	v_and_b32_e32 v5, 31, v53
	v_lshlrev_b32_e32 v175, 2, v2
	buffer_store_dword v12, off, s[20:23], 0 offset:36 ; 4-byte Folded Spill
	buffer_store_dword v11, off, s[20:23], 0 offset:32 ; 4-byte Folded Spill
	v_and_b32_e32 v4, 4, v3
	v_and_b32_e32 v1, 28, v3
	v_cndmask_b32_e32 v115, 0, v4, vcc
	v_cndmask_b32_e64 v4, 0, 1, vcc
	v_add_co_u32_e32 v94, vcc, s2, v1
	v_and_b32_e32 v1, 63, v8
	v_or_b32_e32 v8, s11, v1
	v_min_i32_e32 v8, s4, v8
	v_mad_u64_u32 v[96:97], s[4:5], v8, s16, v[0:1]
	v_lshl_or_b32 v0, v1, 4, v9
	v_add_u32_e32 v97, 0x6a40, v0
	v_cvt_f64_u32_e32 v[0:1], v12
	v_min_f64 v[0:1], v[0:1], v[6:7]
	v_cvt_i32_f64_e32 v0, v[0:1]
	v_mul_lo_u32 v125, s16, v0
	v_or_b32_e32 v0, v91, v5
	v_mov_b32_e32 v8, 0x4200
	v_lshl_add_u32 v136, v0, 2, v8
	v_add_u32_e32 v0, 8, v12
	v_cvt_f64_u32_e32 v[0:1], v0
	v_min_f64 v[0:1], v[0:1], v[6:7]
	v_cvt_i32_f64_e32 v0, v[0:1]
	v_mul_lo_u32 v137, s16, v0
	v_or_b32_e32 v0, v138, v5
	v_lshl_add_u32 v139, v0, 2, v8
	v_add_u32_e32 v0, 16, v12
	v_cvt_f64_u32_e32 v[0:1], v0
	v_min_f64 v[0:1], v[0:1], v[6:7]
	v_cvt_i32_f64_e32 v0, v[0:1]
	v_mul_lo_u32 v140, s16, v0
	v_or_b32_e32 v0, v141, v5
	;; [unrolled: 7-line block ×7, first 2 shown]
	v_lshl_add_u32 v157, v0, 2, v8
	v_lshlrev_b32_e32 v0, 2, v52
	v_add3_u32 v158, v0, v3, s17
	v_add_u32_e32 v0, 32, v53
	v_lshrrev_b32_e32 v159, 3, v0
	v_lshlrev_b32_e32 v1, 2, v0
	v_and_b32_e32 v0, 60, v159
	v_add3_u32 v160, v3, v0, s17
	v_add_u32_e32 v0, 64, v53
	v_lshlrev_b32_e32 v5, 2, v0
	v_lshrrev_b32_e32 v0, 3, v0
	v_and_b32_e32 v6, 60, v0
	v_add3_u32 v161, v3, v6, s17
	v_add_u32_e32 v6, 0x60, v53
	v_lshlrev_b32_e32 v7, 2, v6
	v_lshrrev_b32_e32 v6, 3, v6
	v_and_b32_e32 v9, 60, v6
	v_add3_u32 v162, v3, v9, s17
	v_mov_b32_e32 v9, 0x1080
	v_mad_u32_u24 v164, v53, s1, v9
	v_mov_b32_e32 v9, 0x2100
	v_mad_u32_u24 v165, v53, s1, v9
	;; [unrolled: 2-line block ×3, first 2 shown]
	s_mov_b32 s1, s0
	v_mov_b32_e32 v9, 0x6a40
	v_pk_mov_b32 v[50:51], s[0:1], s[0:1] op_sel:[0,1]
	v_addc_co_u32_e32 v95, vcc, 0, v10, vcc
	v_lshl_add_u32 v168, v11, 4, v9
	v_lshl_add_u32 v169, v11, 7, v8
	v_lshlrev_b32_e32 v171, 2, v6
	v_lshlrev_b32_e32 v172, 2, v0
	;; [unrolled: 1-line block ×4, first 2 shown]
	s_mov_b32 s1, 0x30303030
	v_lshlrev_b32_e32 v177, 2, v1
	v_lshlrev_b32_e32 v178, 2, v5
	;; [unrolled: 1-line block ×4, first 2 shown]
	v_pk_mov_b32 v[42:43], v[50:51], v[50:51] op_sel:[0,1]
	v_pk_mov_b32 v[34:35], v[50:51], v[50:51] op_sel:[0,1]
	;; [unrolled: 1-line block ×15, first 2 shown]
.LBB151_5:                              ; =>This Loop Header: Depth=1
                                        ;     Child Loop BB151_6 Depth 2
                                        ;     Child Loop BB151_8 Depth 2
	buffer_load_dword v4, off, s[20:23], 0  ; 4-byte Folded Reload
	buffer_load_dword v5, off, s[20:23], 0 offset:4 ; 4-byte Folded Reload
	s_mul_i32 s4, s0, 0x90
	s_mul_hi_u32 s5, s0, 0x90
	s_add_u32 s4, s14, s4
	s_addc_u32 s5, s15, s5
	v_pk_mov_b32 v[0:1], s[4:5], s[4:5] op_sel:[0,1]
	v_mad_u64_u32 v[2:3], s[4:5], v52, s9, v[0:1]
	s_lshl_b32 s16, s0, 3
	v_add_u32_e32 v111, s16, v96
	s_mov_b32 s18, 0
	s_waitcnt vmcnt(1)
	v_add_co_u32_e32 v2, vcc, v2, v4
	buffer_load_dword v4, off, s[20:23], 0 offset:8 ; 4-byte Folded Reload
	buffer_load_dword v5, off, s[20:23], 0 offset:12 ; 4-byte Folded Reload
	v_addc_co_u32_e32 v3, vcc, 0, v3, vcc
	v_add_co_u32_e32 v2, vcc, 16, v2
	v_addc_co_u32_e32 v3, vcc, 0, v3, vcc
	v_mad_u64_u32 v[18:19], s[4:5], v70, s9, v[2:3]
	v_mad_u64_u32 v[6:7], s[4:5], v58, s9, v[2:3]
	;; [unrolled: 1-line block ×7, first 2 shown]
	s_waitcnt vmcnt(0)
	v_mad_u64_u32 v[4:5], s[4:5], v4, s9, v[2:3]
	global_load_dword v54, v[4:5], off
	global_load_dword v55, v[6:7], off
	;; [unrolled: 1-line block ×7, first 2 shown]
	s_nop 0
	global_load_dword v18, v[18:19], off
	s_nop 0
	buffer_load_dword v88, off, s[20:23], 0 offset:16 ; 4-byte Folded Reload
	buffer_load_dword v89, off, s[20:23], 0 offset:20 ; 4-byte Folded Reload
	v_mad_u64_u32 v[4:5], s[4:5], v72, s9, v[2:3]
	v_mad_u64_u32 v[6:7], s[4:5], v74, s9, v[2:3]
	;; [unrolled: 1-line block ×7, first 2 shown]
	s_waitcnt vmcnt(1)
	v_mad_u64_u32 v[2:3], s[4:5], v88, s9, v[2:3]
	global_load_dword v19, v[4:5], off
	global_load_dword v87, v[6:7], off
	;; [unrolled: 1-line block ×6, first 2 shown]
	s_nop 0
	global_load_dword v16, v[16:17], off
	s_nop 0
	global_load_dword v17, v[2:3], off
	s_nop 0
	buffer_load_dword v2, off, s[20:23], 0 offset:24 ; 4-byte Folded Reload
	buffer_load_dword v3, off, s[20:23], 0 offset:28 ; 4-byte Folded Reload
	v_mad_u64_u32 v[4:5], s[4:5], v90, s9, v[0:1]
	v_add_co_u32_e32 v6, vcc, 4, v4
	v_addc_co_u32_e32 v7, vcc, 0, v5, vcc
	v_add_co_u32_e32 v4, vcc, v6, v175
	v_addc_co_u32_e32 v5, vcc, 0, v7, vcc
	;; [unrolled: 2-line block ×3, first 2 shown]
	v_add_u32_e32 v14, s16, v123
	v_add_u32_e32 v10, v14, v149
	;; [unrolled: 1-line block ×3, first 2 shown]
	v_mad_i64_i32 v[10:11], s[4:5], v10, 36, v[94:95]
	v_mad_i64_i32 v[12:13], s[4:5], v12, 36, v[94:95]
	s_waitcnt vmcnt(0)
	v_mad_u64_u32 v[2:3], s[4:5], v2, s9, v[0:1]
	v_mad_u64_u32 v[0:1], s[4:5], v92, s9, v[0:1]
	v_add_co_u32_e32 v8, vcc, 4, v0
	v_addc_co_u32_e32 v9, vcc, 0, v1, vcc
	v_add_co_u32_e32 v0, vcc, v8, v175
	v_addc_co_u32_e32 v1, vcc, 0, v9, vcc
	;; [unrolled: 2-line block ×3, first 2 shown]
	global_load_dword v100, v[2:3], off
	global_load_dword v101, v[4:5], off
	global_load_dword v102, v[6:7], off
	global_load_dword v103, v[0:1], off
	global_load_dword v104, v[8:9], off
	v_add_u32_e32 v0, v14, v125
	v_add_u32_e32 v2, v14, v137
	;; [unrolled: 1-line block ×5, first 2 shown]
	v_mad_i64_i32 v[0:1], s[4:5], v0, 36, v[94:95]
	v_mad_i64_i32 v[2:3], s[4:5], v2, 36, v[94:95]
	;; [unrolled: 1-line block ×5, first 2 shown]
	v_add_u32_e32 v14, v14, v155
	v_mad_i64_i32 v[14:15], s[4:5], v14, 36, v[94:95]
	global_load_dword v105, v[0:1], off offset:4
	s_nop 0
	global_load_dword v2, v[2:3], off offset:4
	s_nop 0
	;; [unrolled: 2-line block ×3, first 2 shown]
	global_load_dword v4, v[6:7], off offset:4
	global_load_dword v5, v[8:9], off offset:4
	s_nop 0
	global_load_dword v6, v[10:11], off offset:4
	global_load_dword v7, v[12:13], off offset:4
	;; [unrolled: 1-line block ×3, first 2 shown]
	v_mad_u64_u32 v[0:1], s[4:5], v111, 36, s[2:3]
	global_load_dword v0, v[0:1], off
	v_add_u32_e32 v1, 0x420, v59
	ds_write_b32 v1, v55
	v_add_u32_e32 v1, 0x840, v59
	ds_write_b32 v1, v56
	v_add_u32_e32 v1, 0xc60, v59
	ds_write_b32 v1, v57
	v_add_u32_e32 v1, 0x1080, v59
	ds_write_b32 v59, v54
	s_mov_b64 s[4:5], -1
	ds_write_b32 v1, v61
	ds_write_b32 v69, v63
	ds_write_b32 v71, v86
	ds_write_b32 v73, v18
	ds_write_b32 v75, v19
	ds_write_b32 v77, v87
	ds_write_b32 v79, v88
	ds_write_b32 v81, v89
	ds_write_b32 v83, v98
	ds_write_b32 v85, v99
	ds_write_b32 v65, v16
	ds_write_b32 v67, v17
	s_waitcnt vmcnt(13)
	ds_write_b32 v93, v100
	s_waitcnt vmcnt(12)
	v_ashrrev_i32_e32 v1, v115, v101
	v_and_b32_e32 v1, 0xf0f0f0f, v1
	s_waitcnt vmcnt(11)
	v_ashrrev_i32_e32 v9, v117, v102
	v_and_or_b32 v1, v9, s1, v1
	ds_write_b32 v119, v1
	s_waitcnt vmcnt(10)
	v_ashrrev_i32_e32 v1, v115, v103
	v_and_b32_e32 v1, 0xf0f0f0f, v1
	s_waitcnt vmcnt(9)
	v_ashrrev_i32_e32 v9, v117, v104
	v_and_or_b32 v1, v9, s1, v1
	ds_write_b32 v121, v1
	s_waitcnt vmcnt(8)
	ds_write_b32 v136, v105
	s_waitcnt vmcnt(7)
	;; [unrolled: 2-line block ×9, first 2 shown]
	ds_write_b32 v97, v0
	s_waitcnt lgkmcnt(0)
	s_barrier
	ds_read_b32 v0, v158
	ds_read_b32 v1, v160 offset:128
	ds_read_b32 v2, v161 offset:256
	ds_read_b32 v3, v162 offset:384
	s_waitcnt lgkmcnt(3)
	v_cvt_f32_f16_e32 v16, v0
	v_cvt_f32_f16_sdwa v18, v0 dst_sel:DWORD dst_unused:UNUSED_PAD src0_sel:WORD_1
	s_waitcnt lgkmcnt(2)
	v_cvt_f32_f16_e32 v98, v1
	v_cvt_f32_f16_sdwa v100, v1 dst_sel:DWORD dst_unused:UNUSED_PAD src0_sel:WORD_1
	s_waitcnt lgkmcnt(1)
	v_cvt_f32_f16_e32 v102, v2
	v_cvt_f32_f16_sdwa v104, v2 dst_sel:DWORD dst_unused:UNUSED_PAD src0_sel:WORD_1
	s_waitcnt lgkmcnt(0)
	v_cvt_f32_f16_e32 v106, v3
	v_cvt_f32_f16_sdwa v108, v3 dst_sel:DWORD dst_unused:UNUSED_PAD src0_sel:WORD_1
	v_mov_b32_e32 v17, v16
	v_mov_b32_e32 v19, v18
	v_mov_b32_e32 v99, v98
	v_mov_b32_e32 v101, v100
	v_mov_b32_e32 v103, v102
	v_mov_b32_e32 v105, v104
	v_mov_b32_e32 v107, v106
	v_mov_b32_e32 v109, v108
.LBB151_6:                              ;   Parent Loop BB151_5 Depth=1
                                        ; =>  This Inner Loop Header: Depth=2
	s_lshl_b32 s17, s18, 1
	s_lshr_b32 s19, s18, 2
	v_or_b32_e32 v0, s17, v91
	s_lshl_b32 s18, s18, 2
	v_lshlrev_b32_e32 v1, 2, v0
	v_lshrrev_b32_e32 v54, 1, v0
	v_add_u32_e32 v63, s18, v163
	ds_read_b128 v[12:15], v1 offset:16896
	ds_read_b128 v[8:11], v1 offset:16912
	;; [unrolled: 1-line block ×4, first 2 shown]
	ds_read_b64 v[126:127], v54 offset:27200
	ds_read2_b32 v[54:55], v63 offset1:1
	ds_read2_b32 v[56:57], v63 offset0:2 offset1:3
	ds_read2_b32 v[112:113], v63 offset0:4 offset1:5
	;; [unrolled: 1-line block ×3, first 2 shown]
	s_addk_i32 s19, 0x6200
	s_waitcnt lgkmcnt(3)
	v_and_b32_e32 v193, 0xf0f0f0f, v54
	v_lshrrev_b32_e32 v54, 4, v54
	v_and_b32_e32 v192, 0xf0f0f0f, v54
	v_lshrrev_b32_e32 v54, 4, v55
	v_and_b32_e32 v212, 0xf0f0f0f, v54
	s_waitcnt lgkmcnt(2)
	v_lshrrev_b32_e32 v54, 4, v56
	v_add3_u32 v61, s19, v174, v180
	v_and_b32_e32 v213, 0xf0f0f0f, v54
	v_lshrrev_b32_e32 v54, 4, v57
	ds_read_u16 v63, v61
	ds_read_u8 v86, v61 offset:8
	ds_read_u8 v61, v61 offset:9
	v_and_b32_e32 v214, 0xf0f0f0f, v54
	s_waitcnt lgkmcnt(4)
	v_lshrrev_b32_e32 v54, 4, v112
	v_and_b32_e32 v215, 0xf0f0f0f, v54
	v_lshrrev_b32_e32 v54, 4, v113
	v_and_b32_e32 v216, 0xf0f0f0f, v54
	s_waitcnt lgkmcnt(3)
	v_lshrrev_b32_e32 v54, 4, v128
	v_and_b32_e32 v194, 0xf0f0f0f, v55
	v_and_b32_e32 v217, 0xf0f0f0f, v54
	v_lshrrev_b32_e32 v54, 4, v129
	v_add_u32_e32 v55, s18, v164
	v_and_b32_e32 v195, 0xf0f0f0f, v56
	v_and_b32_e32 v196, 0xf0f0f0f, v57
	;; [unrolled: 1-line block ×3, first 2 shown]
	v_add3_u32 v54, s19, v173, v177
	ds_read2_b32 v[56:57], v55 offset1:1
	v_and_b32_e32 v197, 0xf0f0f0f, v112
	v_and_b32_e32 v198, 0xf0f0f0f, v113
	ds_read2_b32 v[112:113], v55 offset0:2 offset1:3
	v_and_b32_e32 v199, 0xf0f0f0f, v128
	v_and_b32_e32 v200, 0xf0f0f0f, v129
	ds_read2_b32 v[128:129], v55 offset0:4 offset1:5
	ds_read2_b32 v[130:131], v55 offset0:6 offset1:7
	s_waitcnt lgkmcnt(4)
	v_cvt_f32_ubyte0_e32 v118, v61
	ds_read_u16 v61, v54
	ds_read_u8 v55, v54 offset:8
	ds_read_u8 v54, v54 offset:9
	s_waitcnt lgkmcnt(6)
	v_and_b32_e32 v190, 0xf0f0f0f, v56
	s_waitcnt lgkmcnt(5)
	v_and_b32_e32 v205, 0xf0f0f0f, v112
	v_and_b32_e32 v206, 0xf0f0f0f, v113
	s_waitcnt lgkmcnt(1)
	v_cvt_f32_ubyte0_e32 v116, v55
	v_lshrrev_b32_e32 v55, 4, v56
	v_lshrrev_b32_e32 v56, 4, v57
	v_and_b32_e32 v221, 0xf0f0f0f, v56
	v_lshrrev_b32_e32 v56, 4, v112
	v_and_b32_e32 v222, 0xf0f0f0f, v56
	;; [unrolled: 2-line block ×7, first 2 shown]
	v_add_u32_e32 v56, s18, v165
	ds_read2_b32 v[112:113], v56 offset1:1
	v_and_b32_e32 v207, 0xf0f0f0f, v128
	v_and_b32_e32 v208, 0xf0f0f0f, v129
	ds_read2_b32 v[128:129], v56 offset0:2 offset1:3
	v_and_b32_e32 v209, 0xf0f0f0f, v130
	v_and_b32_e32 v210, 0xf0f0f0f, v131
	ds_read2_b32 v[130:131], v56 offset0:4 offset1:5
	ds_read2_b32 v[132:133], v56 offset0:6 offset1:7
	v_and_b32_e32 v201, 0xff, v61
	v_lshrrev_b16_e32 v225, 8, v61
	s_waitcnt lgkmcnt(3)
	v_lshrrev_b32_e32 v61, 4, v113
	v_and_b32_e32 v237, 0xf0f0f0f, v61
	s_waitcnt lgkmcnt(2)
	v_lshrrev_b32_e32 v61, 4, v128
	v_and_b32_e32 v238, 0xf0f0f0f, v61
	v_lshrrev_b32_e32 v61, 4, v129
	v_and_b32_e32 v239, 0xf0f0f0f, v61
	s_waitcnt lgkmcnt(1)
	v_lshrrev_b32_e32 v61, 4, v130
	v_and_b32_e32 v240, 0xf0f0f0f, v61
	;; [unrolled: 5-line block ×3, first 2 shown]
	v_lshrrev_b32_e32 v61, 4, v133
	v_cvt_f32_ubyte0_e32 v122, v54
	v_add3_u32 v54, s19, v172, v178
	v_and_b32_e32 v244, 0xf0f0f0f, v61
	v_add_u32_e32 v61, s18, v166
	v_and_b32_e32 v204, 0xf0f0f0f, v57
	v_and_b32_e32 v231, 0xf0f0f0f, v128
	;; [unrolled: 1-line block ×3, first 2 shown]
	ds_read_u16 v56, v54
	ds_read_u8 v57, v54 offset:8
	ds_read_u8 v54, v54 offset:9
	ds_read2_b32 v[128:129], v61 offset1:1
	v_mov_b32_e32 v252, 0
	v_mov_b32_e32 v253, 0
	v_and_b32_e32 v203, 0xf0f0f0f, v112
	v_mov_b32_e32 v255, 0
	s_waitcnt lgkmcnt(1)
	v_cvt_f32_ubyte0_e32 v124, v54
	s_waitcnt lgkmcnt(0)
	v_and_b32_e32 v226, 0xf0f0f0f, v128
	v_mov_b32_e32 v54, 0
	v_dot4c_i32_i8_e32 v252, v193, v12
	v_dot4c_i32_i8_e32 v253, v190, v12
	;; [unrolled: 1-line block ×3, first 2 shown]
	v_and_b32_e32 v230, 0xf0f0f0f, v113
	v_dot4c_i32_i8_e32 v54, v226, v12
	v_and_b32_e32 v245, 0xf0f0f0f, v129
	v_dot4c_i32_i8_e32 v252, v194, v13
	v_dot4c_i32_i8_e32 v253, v204, v13
	;; [unrolled: 1-line block ×4, first 2 shown]
	ds_read2_b32 v[12:13], v61 offset0:2 offset1:3
	v_dot4c_i32_i8_e32 v252, v195, v14
	v_dot4c_i32_i8_e32 v253, v205, v14
	;; [unrolled: 1-line block ×4, first 2 shown]
	s_waitcnt lgkmcnt(0)
	v_and_b32_e32 v246, 0xf0f0f0f, v12
	v_dot4c_i32_i8_e32 v54, v246, v14
	v_and_b32_e32 v247, 0xf0f0f0f, v13
	v_dot4c_i32_i8_e32 v253, v206, v15
	v_dot4c_i32_i8_e32 v255, v232, v15
	;; [unrolled: 1-line block ×3, first 2 shown]
	ds_read2_b32 v[14:15], v61 offset0:4 offset1:5
	v_and_b32_e32 v233, 0xf0f0f0f, v130
	v_dot4c_i32_i8_e32 v252, v197, v8
	v_dot4c_i32_i8_e32 v253, v207, v8
	v_dot4c_i32_i8_e32 v255, v233, v8
	s_waitcnt lgkmcnt(0)
	v_and_b32_e32 v248, 0xf0f0f0f, v14
	v_and_b32_e32 v234, 0xf0f0f0f, v131
	v_dot4c_i32_i8_e32 v54, v248, v8
	v_and_b32_e32 v249, 0xf0f0f0f, v15
	v_dot4c_i32_i8_e32 v252, v198, v9
	v_dot4c_i32_i8_e32 v253, v208, v9
	;; [unrolled: 1-line block ×4, first 2 shown]
	ds_read2_b32 v[8:9], v61 offset0:6 offset1:7
	v_and_b32_e32 v235, 0xf0f0f0f, v132
	v_dot4c_i32_i8_e32 v252, v199, v10
	v_dot4c_i32_i8_e32 v253, v209, v10
	;; [unrolled: 1-line block ×3, first 2 shown]
	s_waitcnt lgkmcnt(0)
	v_and_b32_e32 v250, 0xf0f0f0f, v8
	v_and_b32_e32 v236, 0xf0f0f0f, v133
	;; [unrolled: 1-line block ×3, first 2 shown]
	v_lshrrev_b16_e32 v241, 8, v56
	v_add3_u32 v56, s19, v171, v179
	v_dot4c_i32_i8_e32 v54, v250, v10
	v_and_b32_e32 v251, 0xf0f0f0f, v9
	v_dot4c_i32_i8_e32 v252, v200, v11
	v_dot4c_i32_i8_e32 v253, v210, v11
	;; [unrolled: 1-line block ×4, first 2 shown]
	ds_read_u16 v10, v56
	ds_read_u8 v11, v56 offset:8
	ds_read_u8 v61, v56 offset:9
	v_cvt_f32_ubyte0_e32 v120, v57
	v_lshrrev_b32_e32 v57, 4, v112
	v_mov_b32_e32 v254, 0
	s_waitcnt lgkmcnt(1)
	v_cvt_f32_ubyte0_e32 v112, v11
	v_lshrrev_b32_e32 v11, 4, v128
	v_and_b32_e32 v202, 0xf0f0f0f, v55
	v_mov_b32_e32 v55, 0
	v_and_b32_e32 v220, 0xf0f0f0f, v57
	v_mov_b32_e32 v57, 0
	;; [unrolled: 2-line block ×3, first 2 shown]
	v_dot4c_i32_i8_e32 v254, v192, v4
	v_dot4c_i32_i8_e32 v55, v202, v4
	;; [unrolled: 1-line block ×4, first 2 shown]
	v_lshrrev_b32_e32 v4, 4, v129
	v_and_b32_e32 v189, 0xf0f0f0f, v4
	v_lshrrev_b32_e32 v4, 4, v12
	v_dot4c_i32_i8_e32 v254, v212, v5
	v_dot4c_i32_i8_e32 v55, v221, v5
	v_dot4c_i32_i8_e32 v57, v237, v5
	v_dot4c_i32_i8_e32 v56, v189, v5
	v_and_b32_e32 v187, 0xf0f0f0f, v4
	v_lshrrev_b32_e32 v4, 4, v13
	v_dot4c_i32_i8_e32 v254, v213, v6
	v_dot4c_i32_i8_e32 v55, v222, v6
	v_dot4c_i32_i8_e32 v57, v238, v6
	v_dot4c_i32_i8_e32 v56, v187, v6
	;; [unrolled: 6-line block ×3, first 2 shown]
	v_and_b32_e32 v183, 0xf0f0f0f, v4
	v_dot4c_i32_i8_e32 v254, v215, v0
	v_dot4c_i32_i8_e32 v55, v224, v0
	v_dot4c_i32_i8_e32 v57, v240, v0
	v_dot4c_i32_i8_e32 v56, v183, v0
	v_lshrrev_b32_e32 v0, 4, v15
	v_and_b32_e32 v184, 0xf0f0f0f, v0
	v_lshrrev_b32_e32 v0, 4, v8
	v_and_b32_e32 v185, 0xf0f0f0f, v0
	v_lshrrev_b32_e32 v0, 4, v9
	v_dot4c_i32_i8_e32 v254, v216, v1
	v_dot4c_i32_i8_e32 v55, v227, v1
	;; [unrolled: 1-line block ×4, first 2 shown]
	v_and_b32_e32 v186, 0xf0f0f0f, v0
	v_or_b32_e32 v0, s17, v138
	v_dot4c_i32_i8_e32 v254, v217, v2
	v_dot4c_i32_i8_e32 v55, v228, v2
	;; [unrolled: 1-line block ×4, first 2 shown]
	s_waitcnt lgkmcnt(0)
	v_cvt_f32_ubyte0_e32 v110, v61
	v_lshlrev_b32_e32 v1, 2, v0
	v_lshrrev_b32_e32 v61, 1, v0
	v_dot4c_i32_i8_e32 v254, v218, v3
	v_dot4c_i32_i8_e32 v55, v229, v3
	;; [unrolled: 1-line block ×3, first 2 shown]
	v_and_b32_e32 v113, 0xff, v10
	v_dot4c_i32_i8_e32 v56, v186, v3
	v_lshrrev_b16_e32 v181, 8, v10
	ds_read_b128 v[12:15], v1 offset:16896
	ds_read_b128 v[8:11], v1 offset:16912
	;; [unrolled: 1-line block ×4, first 2 shown]
	ds_read_b64 v[130:131], v61 offset:27200
	v_mov_b32_e32 v61, 0
	s_waitcnt lgkmcnt(4)
	v_dot4c_i32_i8_e32 v61, v193, v12
	v_and_b32_e32 v191, 0xff, v63
	v_lshrrev_b16_e32 v211, 8, v63
	v_dot4c_i32_i8_e32 v61, v194, v13
	v_mov_b32_e32 v63, 0
	v_dot4c_i32_i8_e32 v61, v195, v14
	s_waitcnt lgkmcnt(2)
	v_dot4c_i32_i8_e32 v63, v192, v4
	v_dot4c_i32_i8_e32 v61, v196, v15
	;; [unrolled: 1-line block ×8, first 2 shown]
	s_waitcnt lgkmcnt(1)
	v_dot4c_i32_i8_e32 v63, v215, v0
	v_dot4c_i32_i8_e32 v61, v200, v11
	v_dot4c_i32_i8_e32 v63, v216, v1
	v_dot4c_i32_i8_e32 v63, v217, v2
	v_dot4c_i32_i8_e32 v63, v218, v3
	v_mul_lo_u32 v61, v61, v191
	s_waitcnt lgkmcnt(0)
	v_cvt_f32_f16_e32 v133, v130
	v_cvt_f32_f16_sdwa v135, v130 dst_sel:DWORD dst_unused:UNUSED_PAD src0_sel:WORD_1
	v_cvt_f32_f16_e32 v128, v127
	v_cvt_f32_f16_sdwa v130, v127 dst_sel:DWORD dst_unused:UNUSED_PAD src0_sel:WORD_1
	v_cvt_f32_i32_e32 v127, v61
	v_mul_lo_u32 v61, v254, v211
	v_mul_lo_u32 v63, v63, v211
	v_cvt_f32_i32_e32 v88, v61
	v_mov_b32_e32 v61, 0
	v_cvt_f32_ubyte0_e32 v114, v86
	v_cvt_f32_f16_sdwa v134, v126 dst_sel:DWORD dst_unused:UNUSED_PAD src0_sel:WORD_1
	v_mul_lo_u32 v86, v252, v191
	v_cvt_f32_i32_e32 v89, v63
	v_dot4c_i32_i8_e32 v61, v190, v12
	v_mov_b32_e32 v63, 0
	v_cvt_f32_f16_e32 v132, v126
	v_cvt_f32_f16_e32 v129, v131
	v_cvt_f32_f16_sdwa v131, v131 dst_sel:DWORD dst_unused:UNUSED_PAD src0_sel:WORD_1
	v_cvt_f32_i32_e32 v126, v86
	v_dot4c_i32_i8_e32 v61, v204, v13
	v_dot4c_i32_i8_e32 v63, v202, v4
	;; [unrolled: 1-line block ×6, first 2 shown]
	v_pk_fma_f32 v[86:87], v[114:115], v[134:135], 0 op_sel_hi:[0,1,0]
	v_dot4c_i32_i8_e32 v61, v207, v8
	v_dot4c_i32_i8_e32 v63, v223, v7
	v_pk_fma_f32 v[126:127], v[132:133], v[126:127], 0 op_sel_hi:[1,1,0]
	v_pk_fma_f32 v[86:87], v[118:119], v[130:131], v[86:87] op_sel_hi:[0,1,1]
	v_dot4c_i32_i8_e32 v61, v208, v9
	v_dot4c_i32_i8_e32 v63, v224, v0
	v_mul_lo_u32 v55, v55, v225
	v_pk_fma_f32 v[88:89], v[128:129], v[88:89], v[126:127]
	v_pk_mul_f32 v[86:87], v[86:87], v[18:19]
	v_dot4c_i32_i8_e32 v61, v209, v10
	v_dot4c_i32_i8_e32 v63, v227, v1
	v_cvt_f32_i32_e32 v126, v55
	v_mov_b32_e32 v55, 0
	v_pk_fma_f32 v[86:87], v[88:89], v[16:17], v[86:87] neg_lo:[0,0,1] neg_hi:[0,0,1]
	v_dot4c_i32_i8_e32 v61, v210, v11
	v_dot4c_i32_i8_e32 v63, v228, v2
	;; [unrolled: 1-line block ×3, first 2 shown]
	v_pk_add_f32 v[50:51], v[50:51], v[86:87]
	v_dot4c_i32_i8_e32 v63, v229, v3
	v_mul_lo_u32 v86, v253, v201
	v_mul_lo_u32 v61, v61, v201
	v_dot4c_i32_i8_e32 v55, v230, v13
	v_cvt_f32_i32_e32 v87, v61
	v_cvt_f32_i32_e32 v86, v86
	v_mul_lo_u32 v61, v63, v225
	v_dot4c_i32_i8_e32 v55, v231, v14
	v_cvt_f32_i32_e32 v127, v61
	v_dot4c_i32_i8_e32 v55, v232, v15
	v_dot4c_i32_i8_e32 v55, v233, v8
	v_pk_fma_f32 v[88:89], v[116:117], v[134:135], 0 op_sel_hi:[0,1,0]
	v_dot4c_i32_i8_e32 v55, v234, v9
	v_pk_fma_f32 v[86:87], v[132:133], v[86:87], 0 op_sel_hi:[1,1,0]
	v_pk_fma_f32 v[88:89], v[122:123], v[130:131], v[88:89] op_sel_hi:[0,1,1]
	v_dot4c_i32_i8_e32 v55, v235, v10
	v_pk_fma_f32 v[86:87], v[128:129], v[126:127], v[86:87]
	v_pk_mul_f32 v[88:89], v[88:89], v[100:101]
	v_dot4c_i32_i8_e32 v55, v236, v11
	v_pk_fma_f32 v[86:87], v[86:87], v[98:99], v[88:89] neg_lo:[0,0,1] neg_hi:[0,0,1]
	v_pk_add_f32 v[48:49], v[48:49], v[86:87]
	v_mov_b32_e32 v61, 0
	v_mul_lo_u32 v55, v55, v219
	v_cvt_f32_i32_e32 v87, v55
	v_mul_lo_u32 v55, v57, v241
	v_cvt_f32_i32_e32 v126, v55
	v_mov_b32_e32 v55, 0
	v_dot4c_i32_i8_e32 v55, v226, v12
	v_dot4c_i32_i8_e32 v55, v245, v13
	;; [unrolled: 1-line block ×5, first 2 shown]
	v_mov_b32_e32 v8, 0
	v_dot4c_i32_i8_e32 v8, v188, v4
	v_dot4c_i32_i8_e32 v8, v189, v5
	v_dot4c_i32_i8_e32 v61, v220, v4
	v_dot4c_i32_i8_e32 v8, v187, v6
	v_dot4c_i32_i8_e32 v61, v237, v5
	v_dot4c_i32_i8_e32 v8, v182, v7
	v_dot4c_i32_i8_e32 v61, v238, v6
	v_dot4c_i32_i8_e32 v55, v249, v9
	v_dot4c_i32_i8_e32 v8, v183, v0
	v_dot4c_i32_i8_e32 v61, v239, v7
	v_dot4c_i32_i8_e32 v55, v250, v10
	v_dot4c_i32_i8_e32 v8, v184, v1
	v_dot4c_i32_i8_e32 v61, v240, v0
	v_dot4c_i32_i8_e32 v55, v251, v11
	v_dot4c_i32_i8_e32 v8, v185, v2
	v_dot4c_i32_i8_e32 v61, v242, v1
	v_dot4c_i32_i8_e32 v8, v186, v3
	v_mul_lo_u32 v0, v54, v113
	v_mul_lo_u32 v1, v55, v113
	v_cvt_f32_i32_e32 v1, v1
	v_cvt_f32_i32_e32 v0, v0
	v_mul_lo_u32 v4, v56, v181
	v_mul_lo_u32 v5, v8, v181
	v_cvt_f32_i32_e32 v5, v5
	v_cvt_f32_i32_e32 v4, v4
	v_dot4c_i32_i8_e32 v61, v243, v2
	v_dot4c_i32_i8_e32 v61, v244, v3
	v_mul_lo_u32 v63, v255, v219
	v_pk_fma_f32 v[2:3], v[112:113], v[134:135], 0 op_sel_hi:[0,1,0]
	v_cvt_f32_i32_e32 v86, v63
	v_mul_lo_u32 v57, v61, v241
	v_pk_fma_f32 v[0:1], v[132:133], v[0:1], 0 op_sel_hi:[1,1,0]
	v_pk_fma_f32 v[2:3], v[110:111], v[130:131], v[2:3] op_sel_hi:[0,1,1]
	v_cvt_f32_i32_e32 v127, v57
	v_pk_fma_f32 v[0:1], v[128:129], v[4:5], v[0:1]
	v_pk_mul_f32 v[2:3], v[2:3], v[108:109]
	v_pk_fma_f32 v[0:1], v[0:1], v[106:107], v[2:3] neg_lo:[0,0,1] neg_hi:[0,0,1]
	v_pk_add_f32 v[44:45], v[44:45], v[0:1]
	v_or_b32_e32 v0, s17, v141
	v_pk_fma_f32 v[86:87], v[132:133], v[86:87], 0 op_sel_hi:[1,1,0]
	v_lshlrev_b32_e32 v1, 2, v0
	v_pk_fma_f32 v[86:87], v[128:129], v[126:127], v[86:87]
	v_lshrrev_b32_e32 v54, 1, v0
	ds_read_b128 v[12:15], v1 offset:16896
	ds_read_b128 v[8:11], v1 offset:16912
	;; [unrolled: 1-line block ×4, first 2 shown]
	ds_read_b64 v[126:127], v54 offset:27200
	v_mov_b32_e32 v61, 0
	v_mov_b32_e32 v63, 0
	;; [unrolled: 1-line block ×8, first 2 shown]
	s_waitcnt lgkmcnt(4)
	v_dot4c_i32_i8_e32 v61, v193, v12
	s_waitcnt lgkmcnt(2)
	v_dot4c_i32_i8_e32 v63, v192, v4
	v_dot4c_i32_i8_e32 v252, v190, v12
	;; [unrolled: 1-line block ×15, first 2 shown]
	v_pk_fma_f32 v[88:89], v[120:121], v[134:135], 0 op_sel_hi:[0,1,0]
	v_dot4c_i32_i8_e32 v61, v195, v14
	v_dot4c_i32_i8_e32 v63, v213, v6
	v_dot4c_i32_i8_e32 v252, v205, v14
	v_dot4c_i32_i8_e32 v253, v222, v6
	v_dot4c_i32_i8_e32 v56, v231, v14
	v_dot4c_i32_i8_e32 v57, v238, v6
	v_dot4c_i32_i8_e32 v54, v246, v14
	v_dot4c_i32_i8_e32 v55, v187, v6
	v_pk_fma_f32 v[88:89], v[124:125], v[130:131], v[88:89] op_sel_hi:[0,1,1]
	v_dot4c_i32_i8_e32 v61, v196, v15
	v_dot4c_i32_i8_e32 v63, v214, v7
	;; [unrolled: 1-line block ×8, first 2 shown]
	v_pk_mul_f32 v[88:89], v[88:89], v[104:105]
	v_dot4c_i32_i8_e32 v61, v197, v8
	s_waitcnt lgkmcnt(1)
	v_dot4c_i32_i8_e32 v63, v215, v0
	v_dot4c_i32_i8_e32 v252, v207, v8
	;; [unrolled: 1-line block ×7, first 2 shown]
	v_pk_fma_f32 v[86:87], v[86:87], v[102:103], v[88:89] neg_lo:[0,0,1] neg_hi:[0,0,1]
	v_dot4c_i32_i8_e32 v61, v198, v9
	v_dot4c_i32_i8_e32 v63, v216, v1
	;; [unrolled: 1-line block ×8, first 2 shown]
	v_or_b32_e32 v0, s17, v144
	v_pk_add_f32 v[46:47], v[46:47], v[86:87]
	v_dot4c_i32_i8_e32 v61, v199, v10
	v_dot4c_i32_i8_e32 v63, v217, v2
	v_dot4c_i32_i8_e32 v252, v209, v10
	v_dot4c_i32_i8_e32 v253, v228, v2
	v_dot4c_i32_i8_e32 v56, v235, v10
	v_dot4c_i32_i8_e32 v57, v243, v2
	v_dot4c_i32_i8_e32 v54, v250, v10
	v_dot4c_i32_i8_e32 v55, v185, v2
	v_lshlrev_b32_e32 v1, 2, v0
	v_lshrrev_b32_e32 v86, 1, v0
	v_dot4c_i32_i8_e32 v61, v200, v11
	v_dot4c_i32_i8_e32 v63, v218, v3
	;; [unrolled: 1-line block ×8, first 2 shown]
	ds_read_b128 v[12:15], v1 offset:16896
	ds_read_b128 v[8:11], v1 offset:16912
	;; [unrolled: 1-line block ×4, first 2 shown]
	ds_read_b64 v[86:87], v86 offset:27200
	v_mov_b32_e32 v88, 0
	s_waitcnt lgkmcnt(4)
	v_dot4c_i32_i8_e32 v88, v193, v12
	v_dot4c_i32_i8_e32 v88, v194, v13
	;; [unrolled: 1-line block ×3, first 2 shown]
	v_mov_b32_e32 v254, 0
	v_dot4c_i32_i8_e32 v88, v196, v15
	s_waitcnt lgkmcnt(2)
	v_dot4c_i32_i8_e32 v254, v192, v4
	v_dot4c_i32_i8_e32 v88, v197, v8
	;; [unrolled: 1-line block ×8, first 2 shown]
	s_waitcnt lgkmcnt(1)
	v_dot4c_i32_i8_e32 v254, v215, v0
	v_dot4c_i32_i8_e32 v254, v216, v1
	s_waitcnt lgkmcnt(0)
	v_cvt_f32_f16_e32 v133, v86
	v_cvt_f32_f16_sdwa v135, v86 dst_sel:DWORD dst_unused:UNUSED_PAD src0_sel:WORD_1
	v_mul_lo_u32 v61, v61, v191
	v_mul_lo_u32 v86, v88, v191
	v_dot4c_i32_i8_e32 v254, v217, v2
	v_cvt_f32_f16_e32 v129, v87
	v_cvt_f32_f16_sdwa v131, v87 dst_sel:DWORD dst_unused:UNUSED_PAD src0_sel:WORD_1
	v_cvt_f32_i32_e32 v87, v86
	v_cvt_f32_i32_e32 v86, v61
	v_mul_lo_u32 v61, v63, v211
	v_dot4c_i32_i8_e32 v254, v218, v3
	v_cvt_f32_f16_e32 v132, v126
	v_cvt_f32_f16_sdwa v134, v126 dst_sel:DWORD dst_unused:UNUSED_PAD src0_sel:WORD_1
	v_cvt_f32_i32_e32 v126, v61
	v_mov_b32_e32 v61, 0
	v_mul_lo_u32 v63, v254, v211
	v_dot4c_i32_i8_e32 v61, v190, v12
	v_cvt_f32_f16_e32 v128, v127
	v_cvt_f32_f16_sdwa v130, v127 dst_sel:DWORD dst_unused:UNUSED_PAD src0_sel:WORD_1
	v_cvt_f32_i32_e32 v127, v63
	v_dot4c_i32_i8_e32 v61, v204, v13
	v_mov_b32_e32 v63, 0
	v_dot4c_i32_i8_e32 v61, v205, v14
	v_dot4c_i32_i8_e32 v63, v202, v4
	;; [unrolled: 1-line block ×6, first 2 shown]
	v_pk_fma_f32 v[88:89], v[114:115], v[134:135], 0 op_sel_hi:[0,1,0]
	v_dot4c_i32_i8_e32 v61, v208, v9
	v_dot4c_i32_i8_e32 v63, v223, v7
	v_pk_fma_f32 v[86:87], v[86:87], v[132:133], 0 op_sel_hi:[1,1,0]
	v_pk_fma_f32 v[88:89], v[118:119], v[130:131], v[88:89] op_sel_hi:[0,1,1]
	v_dot4c_i32_i8_e32 v61, v209, v10
	v_dot4c_i32_i8_e32 v63, v224, v0
	v_pk_fma_f32 v[86:87], v[126:127], v[128:129], v[86:87]
	v_pk_mul_f32 v[88:89], v[88:89], v[18:19]
	v_dot4c_i32_i8_e32 v61, v210, v11
	v_dot4c_i32_i8_e32 v63, v227, v1
	v_pk_fma_f32 v[86:87], v[86:87], v[16:17], v[88:89] neg_lo:[0,0,1] neg_hi:[0,0,1]
	v_dot4c_i32_i8_e32 v63, v228, v2
	v_mul_lo_u32 v61, v61, v201
	v_pk_add_f32 v[42:43], v[42:43], v[86:87]
	v_dot4c_i32_i8_e32 v63, v229, v3
	v_cvt_f32_i32_e32 v87, v61
	v_mul_lo_u32 v61, v253, v225
	v_cvt_f32_i32_e32 v126, v61
	v_mul_lo_u32 v63, v63, v225
	v_mov_b32_e32 v61, 0
	v_cvt_f32_i32_e32 v127, v63
	v_dot4c_i32_i8_e32 v61, v203, v12
	v_mov_b32_e32 v63, 0
	v_mul_lo_u32 v86, v252, v201
	v_dot4c_i32_i8_e32 v61, v230, v13
	v_dot4c_i32_i8_e32 v63, v220, v4
	v_cvt_f32_i32_e32 v86, v86
	v_dot4c_i32_i8_e32 v61, v231, v14
	v_dot4c_i32_i8_e32 v63, v237, v5
	;; [unrolled: 1-line block ×6, first 2 shown]
	v_pk_fma_f32 v[88:89], v[116:117], v[134:135], 0 op_sel_hi:[0,1,0]
	v_dot4c_i32_i8_e32 v61, v234, v9
	v_dot4c_i32_i8_e32 v63, v240, v0
	v_pk_fma_f32 v[86:87], v[86:87], v[132:133], 0 op_sel_hi:[1,1,0]
	v_pk_fma_f32 v[88:89], v[122:123], v[130:131], v[88:89] op_sel_hi:[0,1,1]
	v_dot4c_i32_i8_e32 v61, v235, v10
	v_dot4c_i32_i8_e32 v63, v242, v1
	v_pk_fma_f32 v[86:87], v[126:127], v[128:129], v[86:87]
	v_pk_mul_f32 v[88:89], v[88:89], v[100:101]
	v_dot4c_i32_i8_e32 v61, v236, v11
	v_dot4c_i32_i8_e32 v63, v243, v2
	v_pk_fma_f32 v[86:87], v[86:87], v[98:99], v[88:89] neg_lo:[0,0,1] neg_hi:[0,0,1]
	v_dot4c_i32_i8_e32 v63, v244, v3
	v_mul_lo_u32 v56, v56, v219
	v_mul_lo_u32 v61, v61, v219
	v_pk_add_f32 v[40:41], v[40:41], v[86:87]
	v_cvt_f32_i32_e32 v87, v61
	v_cvt_f32_i32_e32 v86, v56
	v_mul_lo_u32 v56, v57, v241
	v_mul_lo_u32 v57, v63, v241
	v_cvt_f32_i32_e32 v57, v57
	v_cvt_f32_i32_e32 v56, v56
	v_pk_fma_f32 v[86:87], v[86:87], v[132:133], 0 op_sel_hi:[1,1,0]
	v_pk_fma_f32 v[88:89], v[120:121], v[134:135], 0 op_sel_hi:[0,1,0]
	v_mov_b32_e32 v61, 0
	v_pk_fma_f32 v[56:57], v[56:57], v[128:129], v[86:87]
	v_pk_fma_f32 v[86:87], v[124:125], v[130:131], v[88:89] op_sel_hi:[0,1,1]
	v_pk_mul_f32 v[86:87], v[86:87], v[104:105]
	v_pk_fma_f32 v[56:57], v[56:57], v[102:103], v[86:87] neg_lo:[0,0,1] neg_hi:[0,0,1]
	v_pk_add_f32 v[38:39], v[38:39], v[56:57]
	v_mov_b32_e32 v56, 0
	v_dot4c_i32_i8_e32 v56, v226, v12
	v_dot4c_i32_i8_e32 v56, v245, v13
	;; [unrolled: 1-line block ×5, first 2 shown]
	v_mov_b32_e32 v8, 0
	v_dot4c_i32_i8_e32 v8, v188, v4
	v_dot4c_i32_i8_e32 v8, v189, v5
	;; [unrolled: 1-line block ×11, first 2 shown]
	v_mul_lo_u32 v0, v54, v113
	v_mul_lo_u32 v1, v56, v113
	v_cvt_f32_i32_e32 v1, v1
	v_cvt_f32_i32_e32 v0, v0
	v_mul_lo_u32 v4, v55, v181
	v_mul_lo_u32 v5, v8, v181
	v_cvt_f32_i32_e32 v5, v5
	v_cvt_f32_i32_e32 v4, v4
	v_pk_fma_f32 v[2:3], v[112:113], v[134:135], 0 op_sel_hi:[0,1,0]
	v_pk_fma_f32 v[0:1], v[0:1], v[132:133], 0 op_sel_hi:[1,1,0]
	;; [unrolled: 1-line block ×3, first 2 shown]
	v_pk_fma_f32 v[0:1], v[4:5], v[128:129], v[0:1]
	v_pk_mul_f32 v[2:3], v[2:3], v[108:109]
	v_pk_fma_f32 v[0:1], v[0:1], v[106:107], v[2:3] neg_lo:[0,0,1] neg_hi:[0,0,1]
	v_pk_add_f32 v[36:37], v[36:37], v[0:1]
	v_or_b32_e32 v0, s17, v147
	v_lshlrev_b32_e32 v1, 2, v0
	v_lshrrev_b32_e32 v54, 1, v0
	ds_read_b128 v[12:15], v1 offset:16896
	ds_read_b128 v[8:11], v1 offset:16912
	;; [unrolled: 1-line block ×4, first 2 shown]
	ds_read_b64 v[126:127], v54 offset:27200
	v_mov_b32_e32 v63, 0
	v_mov_b32_e32 v252, 0
	;; [unrolled: 1-line block ×7, first 2 shown]
	s_waitcnt lgkmcnt(4)
	v_dot4c_i32_i8_e32 v61, v193, v12
	s_waitcnt lgkmcnt(2)
	v_dot4c_i32_i8_e32 v63, v192, v4
	v_dot4c_i32_i8_e32 v252, v190, v12
	v_dot4c_i32_i8_e32 v253, v202, v4
	v_dot4c_i32_i8_e32 v56, v203, v12
	v_dot4c_i32_i8_e32 v57, v220, v4
	v_dot4c_i32_i8_e32 v54, v226, v12
	v_dot4c_i32_i8_e32 v55, v188, v4
	v_dot4c_i32_i8_e32 v61, v194, v13
	v_dot4c_i32_i8_e32 v63, v212, v5
	v_dot4c_i32_i8_e32 v252, v204, v13
	v_dot4c_i32_i8_e32 v253, v221, v5
	v_dot4c_i32_i8_e32 v56, v230, v13
	v_dot4c_i32_i8_e32 v57, v237, v5
	v_dot4c_i32_i8_e32 v54, v245, v13
	v_dot4c_i32_i8_e32 v55, v189, v5
	v_dot4c_i32_i8_e32 v61, v195, v14
	v_dot4c_i32_i8_e32 v63, v213, v6
	v_dot4c_i32_i8_e32 v252, v205, v14
	v_dot4c_i32_i8_e32 v253, v222, v6
	v_dot4c_i32_i8_e32 v56, v231, v14
	v_dot4c_i32_i8_e32 v57, v238, v6
	v_dot4c_i32_i8_e32 v54, v246, v14
	v_dot4c_i32_i8_e32 v55, v187, v6
	v_dot4c_i32_i8_e32 v61, v196, v15
	v_dot4c_i32_i8_e32 v63, v214, v7
	v_dot4c_i32_i8_e32 v252, v206, v15
	v_dot4c_i32_i8_e32 v253, v223, v7
	v_dot4c_i32_i8_e32 v56, v232, v15
	v_dot4c_i32_i8_e32 v57, v239, v7
	v_dot4c_i32_i8_e32 v54, v247, v15
	v_dot4c_i32_i8_e32 v55, v182, v7
	v_dot4c_i32_i8_e32 v61, v197, v8
	s_waitcnt lgkmcnt(1)
	v_dot4c_i32_i8_e32 v63, v215, v0
	v_dot4c_i32_i8_e32 v252, v207, v8
	;; [unrolled: 1-line block ×15, first 2 shown]
	v_or_b32_e32 v0, s17, v150
	v_dot4c_i32_i8_e32 v61, v199, v10
	v_dot4c_i32_i8_e32 v63, v217, v2
	;; [unrolled: 1-line block ×8, first 2 shown]
	v_lshlrev_b32_e32 v1, 2, v0
	v_lshrrev_b32_e32 v86, 1, v0
	v_dot4c_i32_i8_e32 v61, v200, v11
	v_dot4c_i32_i8_e32 v63, v218, v3
	;; [unrolled: 1-line block ×8, first 2 shown]
	ds_read_b128 v[12:15], v1 offset:16896
	ds_read_b128 v[8:11], v1 offset:16912
	;; [unrolled: 1-line block ×4, first 2 shown]
	ds_read_b64 v[86:87], v86 offset:27200
	v_mov_b32_e32 v88, 0
	s_waitcnt lgkmcnt(4)
	v_dot4c_i32_i8_e32 v88, v193, v12
	v_dot4c_i32_i8_e32 v88, v194, v13
	v_dot4c_i32_i8_e32 v88, v195, v14
	v_mov_b32_e32 v254, 0
	v_dot4c_i32_i8_e32 v88, v196, v15
	s_waitcnt lgkmcnt(2)
	v_dot4c_i32_i8_e32 v254, v192, v4
	v_dot4c_i32_i8_e32 v88, v197, v8
	;; [unrolled: 1-line block ×8, first 2 shown]
	s_waitcnt lgkmcnt(1)
	v_dot4c_i32_i8_e32 v254, v215, v0
	v_dot4c_i32_i8_e32 v254, v216, v1
	s_waitcnt lgkmcnt(0)
	v_cvt_f32_f16_e32 v133, v86
	v_cvt_f32_f16_sdwa v135, v86 dst_sel:DWORD dst_unused:UNUSED_PAD src0_sel:WORD_1
	v_mul_lo_u32 v61, v61, v191
	v_mul_lo_u32 v86, v88, v191
	v_dot4c_i32_i8_e32 v254, v217, v2
	v_cvt_f32_f16_e32 v129, v87
	v_cvt_f32_f16_sdwa v131, v87 dst_sel:DWORD dst_unused:UNUSED_PAD src0_sel:WORD_1
	v_cvt_f32_i32_e32 v87, v86
	v_cvt_f32_i32_e32 v86, v61
	v_mul_lo_u32 v61, v63, v211
	v_dot4c_i32_i8_e32 v254, v218, v3
	v_cvt_f32_f16_e32 v132, v126
	v_cvt_f32_f16_sdwa v134, v126 dst_sel:DWORD dst_unused:UNUSED_PAD src0_sel:WORD_1
	v_cvt_f32_i32_e32 v126, v61
	v_mov_b32_e32 v61, 0
	v_mul_lo_u32 v63, v254, v211
	v_dot4c_i32_i8_e32 v61, v190, v12
	v_cvt_f32_f16_e32 v128, v127
	v_cvt_f32_f16_sdwa v130, v127 dst_sel:DWORD dst_unused:UNUSED_PAD src0_sel:WORD_1
	v_cvt_f32_i32_e32 v127, v63
	v_dot4c_i32_i8_e32 v61, v204, v13
	v_mov_b32_e32 v63, 0
	v_dot4c_i32_i8_e32 v61, v205, v14
	v_dot4c_i32_i8_e32 v63, v202, v4
	;; [unrolled: 1-line block ×6, first 2 shown]
	v_pk_fma_f32 v[88:89], v[114:115], v[134:135], 0 op_sel_hi:[0,1,0]
	v_dot4c_i32_i8_e32 v61, v208, v9
	v_dot4c_i32_i8_e32 v63, v223, v7
	v_pk_fma_f32 v[86:87], v[86:87], v[132:133], 0 op_sel_hi:[1,1,0]
	v_pk_fma_f32 v[88:89], v[118:119], v[130:131], v[88:89] op_sel_hi:[0,1,1]
	v_dot4c_i32_i8_e32 v61, v209, v10
	v_dot4c_i32_i8_e32 v63, v224, v0
	v_pk_fma_f32 v[86:87], v[126:127], v[128:129], v[86:87]
	v_pk_mul_f32 v[88:89], v[88:89], v[18:19]
	v_dot4c_i32_i8_e32 v61, v210, v11
	v_dot4c_i32_i8_e32 v63, v227, v1
	v_pk_fma_f32 v[86:87], v[86:87], v[16:17], v[88:89] neg_lo:[0,0,1] neg_hi:[0,0,1]
	v_dot4c_i32_i8_e32 v63, v228, v2
	v_mul_lo_u32 v61, v61, v201
	v_pk_add_f32 v[34:35], v[34:35], v[86:87]
	v_dot4c_i32_i8_e32 v63, v229, v3
	v_cvt_f32_i32_e32 v87, v61
	v_mul_lo_u32 v61, v253, v225
	v_cvt_f32_i32_e32 v126, v61
	v_mul_lo_u32 v63, v63, v225
	v_mov_b32_e32 v61, 0
	v_cvt_f32_i32_e32 v127, v63
	v_dot4c_i32_i8_e32 v61, v203, v12
	v_mov_b32_e32 v63, 0
	v_mul_lo_u32 v86, v252, v201
	v_dot4c_i32_i8_e32 v61, v230, v13
	v_dot4c_i32_i8_e32 v63, v220, v4
	v_cvt_f32_i32_e32 v86, v86
	v_dot4c_i32_i8_e32 v61, v231, v14
	v_dot4c_i32_i8_e32 v63, v237, v5
	;; [unrolled: 1-line block ×6, first 2 shown]
	v_pk_fma_f32 v[88:89], v[116:117], v[134:135], 0 op_sel_hi:[0,1,0]
	v_dot4c_i32_i8_e32 v61, v234, v9
	v_dot4c_i32_i8_e32 v63, v240, v0
	v_pk_fma_f32 v[86:87], v[86:87], v[132:133], 0 op_sel_hi:[1,1,0]
	v_pk_fma_f32 v[88:89], v[122:123], v[130:131], v[88:89] op_sel_hi:[0,1,1]
	v_dot4c_i32_i8_e32 v61, v235, v10
	v_dot4c_i32_i8_e32 v63, v242, v1
	v_pk_fma_f32 v[86:87], v[126:127], v[128:129], v[86:87]
	v_pk_mul_f32 v[88:89], v[88:89], v[100:101]
	v_dot4c_i32_i8_e32 v61, v236, v11
	v_dot4c_i32_i8_e32 v63, v243, v2
	v_pk_fma_f32 v[86:87], v[86:87], v[98:99], v[88:89] neg_lo:[0,0,1] neg_hi:[0,0,1]
	v_dot4c_i32_i8_e32 v63, v244, v3
	v_mul_lo_u32 v56, v56, v219
	v_mul_lo_u32 v61, v61, v219
	v_pk_add_f32 v[32:33], v[32:33], v[86:87]
	v_cvt_f32_i32_e32 v87, v61
	v_cvt_f32_i32_e32 v86, v56
	v_mul_lo_u32 v56, v57, v241
	v_mul_lo_u32 v57, v63, v241
	v_cvt_f32_i32_e32 v57, v57
	v_cvt_f32_i32_e32 v56, v56
	v_pk_fma_f32 v[86:87], v[86:87], v[132:133], 0 op_sel_hi:[1,1,0]
	v_pk_fma_f32 v[88:89], v[120:121], v[134:135], 0 op_sel_hi:[0,1,0]
	v_mov_b32_e32 v61, 0
	v_pk_fma_f32 v[56:57], v[56:57], v[128:129], v[86:87]
	v_pk_fma_f32 v[86:87], v[124:125], v[130:131], v[88:89] op_sel_hi:[0,1,1]
	v_pk_mul_f32 v[86:87], v[86:87], v[104:105]
	v_pk_fma_f32 v[56:57], v[56:57], v[102:103], v[86:87] neg_lo:[0,0,1] neg_hi:[0,0,1]
	v_pk_add_f32 v[30:31], v[30:31], v[56:57]
	v_mov_b32_e32 v56, 0
	v_dot4c_i32_i8_e32 v56, v226, v12
	v_dot4c_i32_i8_e32 v56, v245, v13
	;; [unrolled: 1-line block ×5, first 2 shown]
	v_mov_b32_e32 v8, 0
	v_dot4c_i32_i8_e32 v8, v188, v4
	v_dot4c_i32_i8_e32 v8, v189, v5
	;; [unrolled: 1-line block ×11, first 2 shown]
	v_mul_lo_u32 v0, v54, v113
	v_mul_lo_u32 v1, v56, v113
	v_cvt_f32_i32_e32 v1, v1
	v_cvt_f32_i32_e32 v0, v0
	v_mul_lo_u32 v4, v55, v181
	v_mul_lo_u32 v5, v8, v181
	v_cvt_f32_i32_e32 v5, v5
	v_cvt_f32_i32_e32 v4, v4
	v_pk_fma_f32 v[2:3], v[112:113], v[134:135], 0 op_sel_hi:[0,1,0]
	v_pk_fma_f32 v[0:1], v[0:1], v[132:133], 0 op_sel_hi:[1,1,0]
	;; [unrolled: 1-line block ×3, first 2 shown]
	v_pk_fma_f32 v[0:1], v[4:5], v[128:129], v[0:1]
	v_pk_mul_f32 v[2:3], v[2:3], v[108:109]
	v_pk_fma_f32 v[0:1], v[0:1], v[106:107], v[2:3] neg_lo:[0,0,1] neg_hi:[0,0,1]
	v_pk_add_f32 v[28:29], v[28:29], v[0:1]
	v_or_b32_e32 v0, s17, v153
	v_lshlrev_b32_e32 v1, 2, v0
	v_lshrrev_b32_e32 v54, 1, v0
	ds_read_b128 v[12:15], v1 offset:16896
	ds_read_b128 v[8:11], v1 offset:16912
	;; [unrolled: 1-line block ×4, first 2 shown]
	ds_read_b64 v[134:135], v54 offset:27200
	v_mov_b32_e32 v63, 0
	v_mov_b32_e32 v254, 0
	;; [unrolled: 1-line block ×7, first 2 shown]
	s_waitcnt lgkmcnt(4)
	v_dot4c_i32_i8_e32 v61, v193, v12
	s_waitcnt lgkmcnt(2)
	v_dot4c_i32_i8_e32 v63, v192, v4
	v_dot4c_i32_i8_e32 v254, v190, v12
	v_dot4c_i32_i8_e32 v255, v202, v4
	v_dot4c_i32_i8_e32 v54, v203, v12
	v_dot4c_i32_i8_e32 v55, v220, v4
	v_dot4c_i32_i8_e32 v253, v226, v12
	v_dot4c_i32_i8_e32 v252, v188, v4
	v_dot4c_i32_i8_e32 v61, v194, v13
	v_dot4c_i32_i8_e32 v63, v212, v5
	v_dot4c_i32_i8_e32 v254, v204, v13
	v_dot4c_i32_i8_e32 v255, v221, v5
	v_dot4c_i32_i8_e32 v54, v230, v13
	v_dot4c_i32_i8_e32 v55, v237, v5
	v_dot4c_i32_i8_e32 v253, v245, v13
	v_dot4c_i32_i8_e32 v252, v189, v5
	v_dot4c_i32_i8_e32 v61, v195, v14
	v_dot4c_i32_i8_e32 v63, v213, v6
	v_dot4c_i32_i8_e32 v254, v205, v14
	v_dot4c_i32_i8_e32 v255, v222, v6
	v_dot4c_i32_i8_e32 v54, v231, v14
	v_dot4c_i32_i8_e32 v55, v238, v6
	v_dot4c_i32_i8_e32 v253, v246, v14
	v_dot4c_i32_i8_e32 v252, v187, v6
	v_dot4c_i32_i8_e32 v61, v196, v15
	v_dot4c_i32_i8_e32 v63, v214, v7
	v_dot4c_i32_i8_e32 v254, v206, v15
	v_dot4c_i32_i8_e32 v255, v223, v7
	v_dot4c_i32_i8_e32 v54, v232, v15
	v_dot4c_i32_i8_e32 v55, v239, v7
	v_dot4c_i32_i8_e32 v253, v247, v15
	v_dot4c_i32_i8_e32 v252, v182, v7
	v_dot4c_i32_i8_e32 v61, v197, v8
	s_waitcnt lgkmcnt(1)
	v_dot4c_i32_i8_e32 v63, v215, v0
	v_dot4c_i32_i8_e32 v254, v207, v8
	;; [unrolled: 1-line block ×15, first 2 shown]
	v_or_b32_e32 v0, s17, v156
	v_dot4c_i32_i8_e32 v61, v199, v10
	v_dot4c_i32_i8_e32 v63, v217, v2
	;; [unrolled: 1-line block ×8, first 2 shown]
	v_lshlrev_b32_e32 v1, 2, v0
	v_lshrrev_b32_e32 v56, 1, v0
	v_dot4c_i32_i8_e32 v61, v200, v11
	v_dot4c_i32_i8_e32 v63, v218, v3
	;; [unrolled: 1-line block ×8, first 2 shown]
	ds_read_b128 v[12:15], v1 offset:16896
	ds_read_b128 v[8:11], v1 offset:16912
	;; [unrolled: 1-line block ×4, first 2 shown]
	ds_read_b64 v[56:57], v56 offset:27200
	v_mov_b32_e32 v86, 0
	s_waitcnt lgkmcnt(4)
	v_dot4c_i32_i8_e32 v86, v193, v12
	v_mov_b32_e32 v88, 0
	v_dot4c_i32_i8_e32 v86, v194, v13
	s_waitcnt lgkmcnt(2)
	v_dot4c_i32_i8_e32 v88, v192, v4
	v_dot4c_i32_i8_e32 v86, v195, v14
	;; [unrolled: 1-line block ×8, first 2 shown]
	s_waitcnt lgkmcnt(1)
	v_dot4c_i32_i8_e32 v88, v215, v0
	v_dot4c_i32_i8_e32 v86, v199, v10
	v_dot4c_i32_i8_e32 v88, v216, v1
	v_dot4c_i32_i8_e32 v86, v200, v11
	v_dot4c_i32_i8_e32 v88, v217, v2
	v_dot4c_i32_i8_e32 v88, v218, v3
	s_waitcnt lgkmcnt(0)
	v_cvt_f32_f16_e32 v133, v56
	v_cvt_f32_f16_sdwa v131, v56 dst_sel:DWORD dst_unused:UNUSED_PAD src0_sel:WORD_1
	v_cvt_f32_f16_sdwa v130, v134 dst_sel:DWORD dst_unused:UNUSED_PAD src0_sel:WORD_1
	v_cvt_f32_f16_e32 v129, v57
	v_cvt_f32_f16_sdwa v127, v57 dst_sel:DWORD dst_unused:UNUSED_PAD src0_sel:WORD_1
	v_mul_lo_u32 v56, v61, v191
	v_mul_lo_u32 v57, v86, v191
	v_cvt_f32_f16_e32 v132, v134
	v_cvt_f32_f16_sdwa v126, v135 dst_sel:DWORD dst_unused:UNUSED_PAD src0_sel:WORD_1
	v_cvt_f32_i32_e32 v57, v57
	v_cvt_f32_i32_e32 v56, v56
	v_mul_lo_u32 v61, v63, v211
	v_mul_lo_u32 v63, v88, v211
	v_cvt_f32_f16_e32 v128, v135
	v_cvt_f32_i32_e32 v89, v63
	v_cvt_f32_i32_e32 v88, v61
	v_pk_fma_f32 v[86:87], v[114:115], v[130:131], 0 op_sel_hi:[0,1,0]
	v_pk_fma_f32 v[56:57], v[56:57], v[132:133], 0 op_sel_hi:[1,1,0]
	;; [unrolled: 1-line block ×3, first 2 shown]
	v_pk_fma_f32 v[56:57], v[88:89], v[128:129], v[56:57]
	v_pk_mul_f32 v[86:87], v[86:87], v[18:19]
	v_pk_fma_f32 v[56:57], v[56:57], v[16:17], v[86:87] neg_lo:[0,0,1] neg_hi:[0,0,1]
	v_pk_add_f32 v[26:27], v[26:27], v[56:57]
	v_mov_b32_e32 v56, 0
	v_dot4c_i32_i8_e32 v56, v190, v12
	v_mov_b32_e32 v61, 0
	v_dot4c_i32_i8_e32 v56, v204, v13
	v_dot4c_i32_i8_e32 v61, v202, v4
	;; [unrolled: 1-line block ×15, first 2 shown]
	v_mul_lo_u32 v63, v254, v201
	v_mul_lo_u32 v56, v56, v201
	v_cvt_f32_i32_e32 v57, v56
	v_cvt_f32_i32_e32 v56, v63
	v_mul_lo_u32 v63, v255, v225
	v_mul_lo_u32 v61, v61, v225
	v_cvt_f32_i32_e32 v89, v61
	v_cvt_f32_i32_e32 v88, v63
	v_pk_fma_f32 v[86:87], v[116:117], v[130:131], 0 op_sel_hi:[0,1,0]
	v_pk_fma_f32 v[56:57], v[56:57], v[132:133], 0 op_sel_hi:[1,1,0]
	;; [unrolled: 1-line block ×3, first 2 shown]
	v_pk_fma_f32 v[56:57], v[88:89], v[128:129], v[56:57]
	v_pk_mul_f32 v[86:87], v[86:87], v[100:101]
	v_pk_fma_f32 v[56:57], v[56:57], v[98:99], v[86:87] neg_lo:[0,0,1] neg_hi:[0,0,1]
	v_pk_add_f32 v[24:25], v[24:25], v[56:57]
	v_mov_b32_e32 v56, 0
	v_mov_b32_e32 v114, 0
	v_dot4c_i32_i8_e32 v56, v203, v12
	v_dot4c_i32_i8_e32 v114, v226, v12
	;; [unrolled: 1-line block ×7, first 2 shown]
	v_mov_b32_e32 v61, 0
	v_dot4c_i32_i8_e32 v114, v247, v15
	v_dot4c_i32_i8_e32 v56, v233, v8
	;; [unrolled: 1-line block ×4, first 2 shown]
	v_mov_b32_e32 v8, 0
	v_dot4c_i32_i8_e32 v61, v237, v5
	v_dot4c_i32_i8_e32 v8, v188, v4
	;; [unrolled: 1-line block ×18, first 2 shown]
	v_mul_lo_u32 v54, v54, v219
	v_mul_lo_u32 v56, v56, v219
	v_dot4c_i32_i8_e32 v114, v251, v11
	v_dot4c_i32_i8_e32 v8, v185, v2
	v_cvt_f32_i32_e32 v57, v56
	v_cvt_f32_i32_e32 v56, v54
	v_mul_lo_u32 v54, v55, v241
	v_mul_lo_u32 v55, v61, v241
	v_dot4c_i32_i8_e32 v8, v186, v3
	v_mul_lo_u32 v0, v253, v113
	v_mul_lo_u32 v1, v114, v113
	v_cvt_f32_i32_e32 v55, v55
	v_cvt_f32_i32_e32 v54, v54
	;; [unrolled: 1-line block ×4, first 2 shown]
	v_mul_lo_u32 v4, v252, v181
	v_mul_lo_u32 v5, v8, v181
	v_cvt_f32_i32_e32 v5, v5
	v_cvt_f32_i32_e32 v4, v4
	v_pk_fma_f32 v[56:57], v[56:57], v[132:133], 0 op_sel_hi:[1,1,0]
	v_pk_fma_f32 v[86:87], v[120:121], v[130:131], 0 op_sel_hi:[0,1,0]
	;; [unrolled: 1-line block ×3, first 2 shown]
	v_pk_fma_f32 v[54:55], v[54:55], v[128:129], v[56:57]
	v_pk_fma_f32 v[56:57], v[124:125], v[126:127], v[86:87] op_sel_hi:[0,1,1]
	v_pk_fma_f32 v[0:1], v[0:1], v[132:133], 0 op_sel_hi:[1,1,0]
	;; [unrolled: 1-line block ×3, first 2 shown]
	v_pk_mul_f32 v[56:57], v[56:57], v[104:105]
	v_pk_fma_f32 v[0:1], v[4:5], v[128:129], v[0:1]
	v_pk_mul_f32 v[2:3], v[2:3], v[108:109]
	v_pk_fma_f32 v[54:55], v[54:55], v[102:103], v[56:57] neg_lo:[0,0,1] neg_hi:[0,0,1]
	v_pk_fma_f32 v[0:1], v[0:1], v[106:107], v[2:3] neg_lo:[0,0,1] neg_hi:[0,0,1]
	v_pk_add_f32 v[22:23], v[22:23], v[54:55]
	v_pk_add_f32 v[20:21], v[20:21], v[0:1]
	s_mov_b32 s18, 8
	s_and_b64 vcc, exec, s[4:5]
	s_mov_b64 s[4:5], 0
	s_cbranch_vccnz .LBB151_6
; %bb.7:                                ;   in Loop: Header=BB151_5 Depth=1
	v_add_u32_e32 v14, s16, v159
	v_add_u32_e32 v0, v14, v125
	;; [unrolled: 1-line block ×6, first 2 shown]
	v_mad_i64_i32 v[0:1], s[4:5], v0, 36, v[94:95]
	v_mad_i64_i32 v[2:3], s[4:5], v2, 36, v[94:95]
	;; [unrolled: 1-line block ×5, first 2 shown]
	v_add_u32_e32 v10, v14, v149
	v_add_u32_e32 v12, v14, v152
	;; [unrolled: 1-line block ×3, first 2 shown]
	s_barrier
	v_mad_i64_i32 v[10:11], s[4:5], v10, 36, v[94:95]
	v_mad_i64_i32 v[12:13], s[4:5], v12, 36, v[94:95]
	;; [unrolled: 1-line block ×3, first 2 shown]
	global_load_dword v16, v[0:1], off offset:4
	s_nop 0
	global_load_dword v2, v[2:3], off offset:4
	s_nop 0
	;; [unrolled: 2-line block ×3, first 2 shown]
	global_load_dword v4, v[6:7], off offset:4
	global_load_dword v5, v[8:9], off offset:4
	s_nop 0
	global_load_dword v6, v[10:11], off offset:4
	global_load_dword v7, v[12:13], off offset:4
	;; [unrolled: 1-line block ×3, first 2 shown]
	v_add_u32_e32 v0, 4, v111
	v_mad_u64_u32 v[0:1], s[4:5], v0, 36, s[2:3]
	global_load_dword v0, v[0:1], off
	s_mov_b32 s4, 16
	s_mov_b32 s5, 0
	v_mov_b32_e32 v127, v169
	v_mov_b32_e32 v129, v168
	s_mov_b32 s16, 0
	v_mov_b32_e32 v181, v167
	s_waitcnt vmcnt(8)
	ds_write_b32 v136, v16
	s_waitcnt vmcnt(7)
	ds_write_b32 v139, v2
	;; [unrolled: 2-line block ×9, first 2 shown]
	s_waitcnt lgkmcnt(0)
	s_barrier
	ds_read_b32 v0, v158
	ds_read_b32 v1, v160 offset:128
	ds_read_b32 v2, v161 offset:256
	;; [unrolled: 1-line block ×3, first 2 shown]
	s_waitcnt lgkmcnt(2)
	v_cvt_f32_f16_e32 v102, v1
	v_cvt_f32_f16_e32 v98, v0
	v_cvt_f32_f16_sdwa v100, v0 dst_sel:DWORD dst_unused:UNUSED_PAD src0_sel:WORD_1
	v_cvt_f32_f16_sdwa v104, v1 dst_sel:DWORD dst_unused:UNUSED_PAD src0_sel:WORD_1
	s_waitcnt lgkmcnt(1)
	v_cvt_f32_f16_e32 v106, v2
	v_cvt_f32_f16_sdwa v108, v2 dst_sel:DWORD dst_unused:UNUSED_PAD src0_sel:WORD_1
	s_waitcnt lgkmcnt(0)
	v_cvt_f32_f16_e32 v110, v3
	v_cvt_f32_f16_sdwa v112, v3 dst_sel:DWORD dst_unused:UNUSED_PAD src0_sel:WORD_1
	v_mov_b32_e32 v99, v98
	v_mov_b32_e32 v101, v100
	;; [unrolled: 1-line block ×8, first 2 shown]
.LBB151_8:                              ;   Parent Loop BB151_5 Depth=1
                                        ; =>  This Inner Loop Header: Depth=2
	s_lshr_b32 s17, s4, 2
	s_and_b32 s17, s17, 0x3ffffffc
	v_add_u32_e32 v56, s5, v170
	ds_read_b128 v[16:19], v127
	ds_read_b128 v[12:15], v127 offset:16
	ds_read_b128 v[8:11], v127 offset:32
	;; [unrolled: 1-line block ×3, first 2 shown]
	ds_read2_b64 v[0:3], v129 offset1:16
	v_add3_u32 v54, v174, s17, v56
	ds_read2_b32 v[86:87], v181 offset1:1
	ds_read2_b32 v[88:89], v181 offset0:2 offset1:3
	ds_read2_b32 v[130:131], v181 offset0:4 offset1:5
	;; [unrolled: 1-line block ×3, first 2 shown]
	ds_read_u16 v57, v54 offset:25088
	ds_read_u16 v54, v54 offset:25096
	s_waitcnt lgkmcnt(5)
	v_lshrrev_b32_e32 v61, 4, v87
	v_and_b32_e32 v199, 0xf0f0f0f, v86
	v_and_b32_e32 v198, 0xf0f0f0f, v87
	s_waitcnt lgkmcnt(1)
	v_and_b32_e32 v208, 0xff, v57
	v_lshrrev_b16_e32 v221, 8, v57
	v_add_u32_e32 v57, 0x1080, v181
	v_lshrrev_b32_e32 v55, 4, v86
	v_and_b32_e32 v222, 0xf0f0f0f, v61
	v_lshrrev_b32_e32 v61, 4, v88
	ds_read2_b32 v[86:87], v57 offset1:1
	v_add_u32_e32 v57, 0x1088, v181
	v_and_b32_e32 v201, 0xf0f0f0f, v88
	v_and_b32_e32 v202, 0xf0f0f0f, v89
	;; [unrolled: 1-line block ×3, first 2 shown]
	v_lshrrev_b32_e32 v61, 4, v89
	ds_read2_b32 v[88:89], v57 offset1:1
	v_and_b32_e32 v224, 0xf0f0f0f, v61
	v_lshrrev_b32_e32 v61, 4, v130
	v_add_u32_e32 v57, 0x1090, v181
	v_and_b32_e32 v205, 0xf0f0f0f, v130
	v_and_b32_e32 v206, 0xf0f0f0f, v131
	;; [unrolled: 1-line block ×3, first 2 shown]
	v_lshrrev_b32_e32 v61, 4, v131
	ds_read2_b32 v[130:131], v57 offset1:1
	v_and_b32_e32 v226, 0xf0f0f0f, v61
	v_lshrrev_b32_e32 v61, 4, v132
	v_add_u32_e32 v57, 0x1098, v181
	v_and_b32_e32 v210, 0xf0f0f0f, v132
	v_and_b32_e32 v211, 0xf0f0f0f, v133
	;; [unrolled: 1-line block ×3, first 2 shown]
	v_lshrrev_b32_e32 v61, 4, v133
	ds_read2_b32 v[132:133], v57 offset1:1
	s_waitcnt lgkmcnt(3)
	v_lshrrev_b32_e32 v63, 4, v87
	v_cvt_f32_ubyte0_e32 v118, v54
	v_cvt_f32_ubyte1_e32 v122, v54
	v_add3_u32 v54, v173, s17, v56
	v_and_b32_e32 v232, 0xf0f0f0f, v63
	s_waitcnt lgkmcnt(2)
	v_lshrrev_b32_e32 v63, 4, v88
	v_and_b32_e32 v230, 0xf0f0f0f, v61
	ds_read_u16 v57, v54 offset:25600
	ds_read_u16 v61, v54 offset:25608
	v_and_b32_e32 v234, 0xf0f0f0f, v63
	v_lshrrev_b32_e32 v63, 4, v89
	v_and_b32_e32 v236, 0xf0f0f0f, v63
	s_waitcnt lgkmcnt(3)
	v_lshrrev_b32_e32 v63, 4, v130
	v_and_b32_e32 v238, 0xf0f0f0f, v63
	v_lshrrev_b32_e32 v63, 4, v131
	v_and_b32_e32 v241, 0xf0f0f0f, v63
	s_waitcnt lgkmcnt(2)
	v_lshrrev_b32_e32 v63, 4, v132
	s_waitcnt lgkmcnt(1)
	v_and_b32_e32 v215, 0xff, v57
	v_and_b32_e32 v242, 0xf0f0f0f, v63
	v_lshrrev_b32_e32 v63, 4, v133
	v_lshrrev_b16_e32 v239, 8, v57
	v_add_u32_e32 v57, 0x2100, v181
	v_and_b32_e32 v200, 0xf0f0f0f, v86
	v_and_b32_e32 v203, 0xf0f0f0f, v87
	v_lshrrev_b32_e32 v54, 4, v86
	v_and_b32_e32 v244, 0xf0f0f0f, v63
	ds_read2_b32 v[86:87], v57 offset1:1
	v_add_u32_e32 v63, 0x2108, v181
	v_and_b32_e32 v207, 0xf0f0f0f, v88
	v_and_b32_e32 v209, 0xf0f0f0f, v89
	ds_read2_b32 v[88:89], v63 offset1:1
	v_add_u32_e32 v63, 0x2110, v181
	v_and_b32_e32 v213, 0xf0f0f0f, v130
	v_and_b32_e32 v214, 0xf0f0f0f, v131
	ds_read2_b32 v[130:131], v63 offset1:1
	s_waitcnt lgkmcnt(3)
	v_cvt_f32_ubyte0_e32 v120, v61
	v_cvt_f32_ubyte1_e32 v126, v61
	v_add3_u32 v61, v172, s17, v56
	v_add_u32_e32 v63, 0x2118, v181
	v_and_b32_e32 v216, 0xf0f0f0f, v132
	v_and_b32_e32 v217, 0xf0f0f0f, v133
	s_waitcnt lgkmcnt(2)
	v_and_b32_e32 v218, 0xf0f0f0f, v86
	ds_read2_b32 v[132:133], v63 offset1:1
	ds_read_u16 v63, v61 offset:26112
	ds_read_u16 v114, v61 offset:26120
	v_lshrrev_b32_e32 v61, 4, v86
	v_lshrrev_b32_e32 v86, 4, v87
	v_and_b32_e32 v246, 0xf0f0f0f, v86
	s_waitcnt lgkmcnt(4)
	v_lshrrev_b32_e32 v86, 4, v88
	v_and_b32_e32 v247, 0xf0f0f0f, v86
	v_lshrrev_b32_e32 v86, 4, v89
	v_and_b32_e32 v248, 0xf0f0f0f, v86
	s_waitcnt lgkmcnt(3)
	v_lshrrev_b32_e32 v86, 4, v130
	v_and_b32_e32 v249, 0xf0f0f0f, v86
	v_lshrrev_b32_e32 v86, 4, v131
	v_and_b32_e32 v251, 0xf0f0f0f, v86
	s_waitcnt lgkmcnt(2)
	v_lshrrev_b32_e32 v86, 4, v132
	s_waitcnt lgkmcnt(1)
	v_and_b32_e32 v231, 0xff, v63
	v_and_b32_e32 v252, 0xf0f0f0f, v86
	v_lshrrev_b32_e32 v86, 4, v133
	v_lshrrev_b16_e32 v250, 8, v63
	v_add3_u32 v63, v171, s17, v56
	v_add_u32_e32 v56, 0x3180, v181
	v_and_b32_e32 v220, 0xf0f0f0f, v87
	v_and_b32_e32 v253, 0xf0f0f0f, v86
	ds_read2_b32 v[86:87], v56 offset1:1
	v_mov_b32_e32 v254, 0
	v_mov_b32_e32 v255, 0
	;; [unrolled: 1-line block ×4, first 2 shown]
	s_waitcnt lgkmcnt(0)
	v_and_b32_e32 v245, 0xf0f0f0f, v86
	v_dot4c_i32_i8_e32 v254, v199, v16
	v_dot4c_i32_i8_e32 v255, v200, v16
	;; [unrolled: 1-line block ×4, first 2 shown]
	v_and_b32_e32 v204, 0xf0f0f0f, v87
	v_add_u32_e32 v16, 0x3188, v181
	v_dot4c_i32_i8_e32 v254, v198, v17
	v_dot4c_i32_i8_e32 v255, v203, v17
	v_dot4c_i32_i8_e32 v57, v220, v17
	v_dot4c_i32_i8_e32 v56, v204, v17
	ds_read2_b32 v[16:17], v16 offset1:1
	v_and_b32_e32 v228, 0xf0f0f0f, v88
	v_dot4c_i32_i8_e32 v254, v201, v18
	v_dot4c_i32_i8_e32 v255, v207, v18
	v_dot4c_i32_i8_e32 v57, v228, v18
	s_waitcnt lgkmcnt(0)
	v_and_b32_e32 v193, 0xf0f0f0f, v16
	v_and_b32_e32 v229, 0xf0f0f0f, v89
	v_dot4c_i32_i8_e32 v56, v193, v18
	v_and_b32_e32 v192, 0xf0f0f0f, v17
	v_add_u32_e32 v18, 0x3190, v181
	v_dot4c_i32_i8_e32 v254, v202, v19
	v_dot4c_i32_i8_e32 v255, v209, v19
	v_dot4c_i32_i8_e32 v57, v229, v19
	v_dot4c_i32_i8_e32 v56, v192, v19
	ds_read2_b32 v[18:19], v18 offset1:1
	v_and_b32_e32 v233, 0xf0f0f0f, v130
	v_dot4c_i32_i8_e32 v254, v205, v12
	v_dot4c_i32_i8_e32 v255, v213, v12
	v_dot4c_i32_i8_e32 v57, v233, v12
	s_waitcnt lgkmcnt(0)
	v_and_b32_e32 v194, 0xf0f0f0f, v18
	v_and_b32_e32 v235, 0xf0f0f0f, v131
	v_dot4c_i32_i8_e32 v56, v194, v12
	;; [unrolled: 15-line block ×3, first 2 shown]
	v_and_b32_e32 v197, 0xf0f0f0f, v13
	v_dot4c_i32_i8_e32 v254, v211, v15
	v_dot4c_i32_i8_e32 v255, v217, v15
	;; [unrolled: 1-line block ×4, first 2 shown]
	ds_read_u16 v14, v63 offset:26624
	ds_read_u16 v15, v63 offset:26632
	v_lshrrev_b32_e32 v63, 4, v86
	v_and_b32_e32 v212, 0xf0f0f0f, v55
	v_mov_b32_e32 v55, 0
	v_and_b32_e32 v219, 0xf0f0f0f, v54
	v_mov_b32_e32 v54, 0
	v_and_b32_e32 v243, 0xf0f0f0f, v61
	v_mov_b32_e32 v61, 0
	v_and_b32_e32 v188, 0xf0f0f0f, v63
	v_mov_b32_e32 v63, 0
	v_dot4c_i32_i8_e32 v55, v212, v8
	v_dot4c_i32_i8_e32 v54, v219, v8
	;; [unrolled: 1-line block ×4, first 2 shown]
	v_lshrrev_b32_e32 v8, 4, v87
	v_and_b32_e32 v191, 0xf0f0f0f, v8
	v_lshrrev_b32_e32 v8, 4, v16
	v_dot4c_i32_i8_e32 v55, v222, v9
	v_dot4c_i32_i8_e32 v54, v232, v9
	v_dot4c_i32_i8_e32 v61, v246, v9
	v_dot4c_i32_i8_e32 v63, v191, v9
	v_and_b32_e32 v190, 0xf0f0f0f, v8
	v_lshrrev_b32_e32 v8, 4, v17
	v_dot4c_i32_i8_e32 v55, v223, v10
	v_dot4c_i32_i8_e32 v54, v234, v10
	v_dot4c_i32_i8_e32 v61, v247, v10
	v_dot4c_i32_i8_e32 v63, v190, v10
	;; [unrolled: 6-line block ×3, first 2 shown]
	v_and_b32_e32 v185, 0xf0f0f0f, v8
	v_dot4c_i32_i8_e32 v55, v225, v4
	v_dot4c_i32_i8_e32 v54, v238, v4
	;; [unrolled: 1-line block ×4, first 2 shown]
	v_lshrrev_b32_e32 v4, 4, v19
	v_and_b32_e32 v186, 0xf0f0f0f, v4
	v_lshrrev_b32_e32 v4, 4, v12
	v_dot4c_i32_i8_e32 v55, v226, v5
	v_dot4c_i32_i8_e32 v54, v241, v5
	;; [unrolled: 1-line block ×4, first 2 shown]
	v_and_b32_e32 v187, 0xf0f0f0f, v4
	v_lshrrev_b32_e32 v4, 4, v13
	v_dot4c_i32_i8_e32 v55, v227, v6
	v_dot4c_i32_i8_e32 v54, v242, v6
	;; [unrolled: 1-line block ×4, first 2 shown]
	v_and_b32_e32 v189, 0xf0f0f0f, v4
	v_dot4c_i32_i8_e32 v55, v230, v7
	v_dot4c_i32_i8_e32 v54, v244, v7
	v_cvt_f32_ubyte0_e32 v124, v114
	v_dot4c_i32_i8_e32 v61, v253, v7
	v_cvt_f32_ubyte1_e32 v128, v114
	s_waitcnt lgkmcnt(1)
	v_and_b32_e32 v183, 0xff, v14
	s_waitcnt lgkmcnt(0)
	v_cvt_f32_ubyte0_e32 v116, v15
	v_dot4c_i32_i8_e32 v63, v189, v7
	v_lshrrev_b16_e32 v182, 8, v14
	v_cvt_f32_ubyte1_e32 v114, v15
	ds_read_b128 v[16:19], v127 offset:1024
	ds_read_b128 v[12:15], v127 offset:1040
	;; [unrolled: 1-line block ×4, first 2 shown]
	v_mov_b32_e32 v86, 0
	s_waitcnt lgkmcnt(3)
	v_dot4c_i32_i8_e32 v86, v199, v16
	v_mov_b32_e32 v88, 0
	v_dot4c_i32_i8_e32 v86, v198, v17
	s_waitcnt lgkmcnt(1)
	v_dot4c_i32_i8_e32 v88, v212, v8
	v_dot4c_i32_i8_e32 v86, v201, v18
	;; [unrolled: 1-line block ×8, first 2 shown]
	s_waitcnt lgkmcnt(0)
	v_dot4c_i32_i8_e32 v88, v225, v4
	v_dot4c_i32_i8_e32 v86, v210, v14
	;; [unrolled: 1-line block ×6, first 2 shown]
	v_cvt_f32_f16_e32 v133, v2
	v_cvt_f32_f16_e32 v132, v0
	v_cvt_f32_f16_sdwa v135, v2 dst_sel:DWORD dst_unused:UNUSED_PAD src0_sel:WORD_1
	v_cvt_f32_f16_sdwa v134, v0 dst_sel:DWORD dst_unused:UNUSED_PAD src0_sel:WORD_1
	v_cvt_f32_f16_e32 v130, v1
	v_cvt_f32_f16_sdwa v2, v1 dst_sel:DWORD dst_unused:UNUSED_PAD src0_sel:WORD_1
	v_mul_lo_u32 v0, v254, v208
	v_mul_lo_u32 v1, v86, v208
	v_cvt_f32_f16_e32 v131, v3
	v_cvt_f32_f16_sdwa v3, v3 dst_sel:DWORD dst_unused:UNUSED_PAD src0_sel:WORD_1
	v_cvt_f32_i32_e32 v1, v1
	v_cvt_f32_i32_e32 v0, v0
	v_mul_lo_u32 v55, v55, v221
	v_mul_lo_u32 v88, v88, v221
	v_cvt_f32_i32_e32 v89, v88
	v_cvt_f32_i32_e32 v88, v55
	v_pk_fma_f32 v[86:87], v[118:119], v[134:135], 0 op_sel_hi:[0,1,0]
	v_pk_fma_f32 v[0:1], v[132:133], v[0:1], 0 op_sel_hi:[1,1,0]
	;; [unrolled: 1-line block ×3, first 2 shown]
	v_pk_fma_f32 v[0:1], v[130:131], v[88:89], v[0:1]
	v_pk_mul_f32 v[86:87], v[86:87], v[100:101]
	v_pk_fma_f32 v[0:1], v[0:1], v[98:99], v[86:87] neg_lo:[0,0,1] neg_hi:[0,0,1]
	v_pk_add_f32 v[50:51], v[50:51], v[0:1]
	v_mov_b32_e32 v0, 0
	v_dot4c_i32_i8_e32 v0, v200, v16
	v_mov_b32_e32 v55, 0
	v_dot4c_i32_i8_e32 v0, v203, v17
	v_dot4c_i32_i8_e32 v55, v219, v8
	;; [unrolled: 1-line block ×15, first 2 shown]
	v_mul_lo_u32 v86, v255, v215
	v_mul_lo_u32 v0, v0, v215
	v_cvt_f32_i32_e32 v1, v0
	v_cvt_f32_i32_e32 v0, v86
	v_mul_lo_u32 v54, v54, v239
	v_mul_lo_u32 v55, v55, v239
	v_cvt_f32_i32_e32 v55, v55
	v_cvt_f32_i32_e32 v54, v54
	v_pk_fma_f32 v[0:1], v[132:133], v[0:1], 0 op_sel_hi:[1,1,0]
	v_pk_fma_f32 v[86:87], v[120:121], v[134:135], 0 op_sel_hi:[0,1,0]
	v_mov_b32_e32 v254, 0
	v_pk_fma_f32 v[0:1], v[130:131], v[54:55], v[0:1]
	v_pk_fma_f32 v[54:55], v[126:127], v[2:3], v[86:87] op_sel_hi:[0,1,1]
	v_pk_mul_f32 v[54:55], v[54:55], v[104:105]
	v_pk_fma_f32 v[0:1], v[0:1], v[102:103], v[54:55] neg_lo:[0,0,1] neg_hi:[0,0,1]
	v_pk_add_f32 v[48:49], v[48:49], v[0:1]
	v_mov_b32_e32 v0, 0
	v_dot4c_i32_i8_e32 v0, v218, v16
	v_mov_b32_e32 v86, 0
	v_dot4c_i32_i8_e32 v0, v220, v17
	v_dot4c_i32_i8_e32 v86, v243, v8
	;; [unrolled: 1-line block ×15, first 2 shown]
	v_mul_lo_u32 v54, v57, v231
	v_mul_lo_u32 v0, v0, v231
	v_cvt_f32_i32_e32 v1, v0
	v_cvt_f32_i32_e32 v0, v54
	v_mul_lo_u32 v57, v61, v250
	v_mul_lo_u32 v61, v86, v250
	v_cvt_f32_i32_e32 v87, v61
	v_cvt_f32_i32_e32 v86, v57
	v_pk_fma_f32 v[54:55], v[124:125], v[134:135], 0 op_sel_hi:[0,1,0]
	v_pk_fma_f32 v[0:1], v[132:133], v[0:1], 0 op_sel_hi:[1,1,0]
	;; [unrolled: 1-line block ×3, first 2 shown]
	v_pk_fma_f32 v[0:1], v[130:131], v[86:87], v[0:1]
	v_pk_mul_f32 v[54:55], v[54:55], v[108:109]
	v_pk_fma_f32 v[0:1], v[0:1], v[106:107], v[54:55] neg_lo:[0,0,1] neg_hi:[0,0,1]
	v_pk_add_f32 v[46:47], v[46:47], v[0:1]
	v_mov_b32_e32 v0, 0
	v_dot4c_i32_i8_e32 v0, v245, v16
	v_dot4c_i32_i8_e32 v0, v204, v17
	v_dot4c_i32_i8_e32 v0, v193, v18
	v_dot4c_i32_i8_e32 v0, v192, v19
	v_dot4c_i32_i8_e32 v0, v194, v12
	v_mov_b32_e32 v12, 0
	v_dot4c_i32_i8_e32 v12, v188, v8
	v_dot4c_i32_i8_e32 v12, v191, v9
	;; [unrolled: 1-line block ×11, first 2 shown]
	v_mul_lo_u32 v4, v56, v183
	v_mul_lo_u32 v0, v0, v183
	v_cvt_f32_i32_e32 v1, v0
	v_cvt_f32_i32_e32 v0, v4
	v_mul_lo_u32 v6, v63, v182
	v_mul_lo_u32 v7, v12, v182
	v_cvt_f32_i32_e32 v7, v7
	v_cvt_f32_i32_e32 v6, v6
	v_pk_fma_f32 v[4:5], v[116:117], v[134:135], 0 op_sel_hi:[0,1,0]
	v_pk_fma_f32 v[0:1], v[132:133], v[0:1], 0 op_sel_hi:[1,1,0]
	;; [unrolled: 1-line block ×3, first 2 shown]
	v_pk_fma_f32 v[0:1], v[130:131], v[6:7], v[0:1]
	v_pk_mul_f32 v[2:3], v[2:3], v[112:113]
	v_pk_fma_f32 v[0:1], v[0:1], v[110:111], v[2:3] neg_lo:[0,0,1] neg_hi:[0,0,1]
	v_pk_add_f32 v[44:45], v[44:45], v[0:1]
	ds_read_b128 v[8:11], v127 offset:2048
	ds_read_b128 v[12:15], v127 offset:2064
	ds_read2_b64 v[16:19], v129 offset0:32 offset1:48
	ds_read_b128 v[4:7], v127 offset:2080
	ds_read_b128 v[0:3], v127 offset:2096
	v_mov_b32_e32 v57, 0
	v_mov_b32_e32 v61, 0
	;; [unrolled: 1-line block ×7, first 2 shown]
	s_waitcnt lgkmcnt(4)
	v_dot4c_i32_i8_e32 v57, v199, v8
	s_waitcnt lgkmcnt(1)
	v_dot4c_i32_i8_e32 v61, v212, v4
	v_dot4c_i32_i8_e32 v63, v200, v8
	;; [unrolled: 1-line block ×32, first 2 shown]
	s_waitcnt lgkmcnt(0)
	v_dot4c_i32_i8_e32 v61, v225, v0
	v_dot4c_i32_i8_e32 v63, v213, v12
	;; [unrolled: 1-line block ×31, first 2 shown]
	ds_read_b128 v[12:15], v127 offset:3072
	ds_read_b128 v[8:11], v127 offset:3088
	;; [unrolled: 1-line block ×4, first 2 shown]
	v_mov_b32_e32 v86, 0
	s_waitcnt lgkmcnt(3)
	v_dot4c_i32_i8_e32 v86, v199, v12
	v_mov_b32_e32 v88, 0
	v_dot4c_i32_i8_e32 v86, v198, v13
	s_waitcnt lgkmcnt(1)
	v_dot4c_i32_i8_e32 v88, v212, v4
	v_dot4c_i32_i8_e32 v86, v201, v14
	;; [unrolled: 1-line block ×8, first 2 shown]
	s_waitcnt lgkmcnt(0)
	v_dot4c_i32_i8_e32 v88, v225, v0
	v_dot4c_i32_i8_e32 v86, v210, v10
	;; [unrolled: 1-line block ×6, first 2 shown]
	v_cvt_f32_f16_e32 v133, v18
	v_cvt_f32_f16_e32 v132, v16
	v_cvt_f32_f16_sdwa v135, v18 dst_sel:DWORD dst_unused:UNUSED_PAD src0_sel:WORD_1
	v_cvt_f32_f16_sdwa v134, v16 dst_sel:DWORD dst_unused:UNUSED_PAD src0_sel:WORD_1
	v_cvt_f32_f16_e32 v130, v17
	v_cvt_f32_f16_sdwa v18, v17 dst_sel:DWORD dst_unused:UNUSED_PAD src0_sel:WORD_1
	v_mul_lo_u32 v16, v57, v208
	v_mul_lo_u32 v17, v86, v208
	v_cvt_f32_f16_e32 v131, v19
	v_cvt_f32_f16_sdwa v19, v19 dst_sel:DWORD dst_unused:UNUSED_PAD src0_sel:WORD_1
	v_cvt_f32_i32_e32 v17, v17
	v_cvt_f32_i32_e32 v16, v16
	v_mul_lo_u32 v57, v61, v221
	v_mul_lo_u32 v61, v88, v221
	v_cvt_f32_i32_e32 v89, v61
	v_cvt_f32_i32_e32 v88, v57
	v_pk_fma_f32 v[86:87], v[118:119], v[134:135], 0 op_sel_hi:[0,1,0]
	v_pk_fma_f32 v[16:17], v[16:17], v[132:133], 0 op_sel_hi:[1,1,0]
	;; [unrolled: 1-line block ×3, first 2 shown]
	v_pk_fma_f32 v[16:17], v[88:89], v[130:131], v[16:17]
	v_pk_mul_f32 v[86:87], v[86:87], v[100:101]
	v_pk_fma_f32 v[16:17], v[16:17], v[98:99], v[86:87] neg_lo:[0,0,1] neg_hi:[0,0,1]
	v_pk_add_f32 v[42:43], v[42:43], v[16:17]
	v_mov_b32_e32 v16, 0
	v_dot4c_i32_i8_e32 v16, v200, v12
	v_mov_b32_e32 v57, 0
	v_dot4c_i32_i8_e32 v16, v203, v13
	v_dot4c_i32_i8_e32 v57, v219, v4
	;; [unrolled: 1-line block ×15, first 2 shown]
	v_mul_lo_u32 v61, v63, v215
	v_mul_lo_u32 v16, v16, v215
	v_cvt_f32_i32_e32 v17, v16
	v_cvt_f32_i32_e32 v16, v61
	v_mul_lo_u32 v61, v254, v239
	v_mul_lo_u32 v57, v57, v239
	v_cvt_f32_i32_e32 v89, v57
	v_cvt_f32_i32_e32 v88, v61
	v_pk_fma_f32 v[86:87], v[120:121], v[134:135], 0 op_sel_hi:[0,1,0]
	v_pk_fma_f32 v[16:17], v[16:17], v[132:133], 0 op_sel_hi:[1,1,0]
	;; [unrolled: 1-line block ×3, first 2 shown]
	v_pk_fma_f32 v[16:17], v[88:89], v[130:131], v[16:17]
	v_pk_mul_f32 v[86:87], v[86:87], v[104:105]
	v_pk_fma_f32 v[16:17], v[16:17], v[102:103], v[86:87] neg_lo:[0,0,1] neg_hi:[0,0,1]
	v_pk_add_f32 v[40:41], v[40:41], v[16:17]
	v_mov_b32_e32 v16, 0
	v_dot4c_i32_i8_e32 v16, v218, v12
	v_mov_b32_e32 v61, 0
	v_dot4c_i32_i8_e32 v16, v220, v13
	v_dot4c_i32_i8_e32 v61, v243, v4
	;; [unrolled: 1-line block ×15, first 2 shown]
	v_mul_lo_u32 v56, v56, v231
	v_mul_lo_u32 v16, v16, v231
	v_cvt_f32_i32_e32 v17, v16
	v_cvt_f32_i32_e32 v16, v56
	v_mul_lo_u32 v63, v255, v250
	v_mul_lo_u32 v61, v61, v250
	v_cvt_f32_i32_e32 v87, v61
	v_cvt_f32_i32_e32 v86, v63
	v_pk_fma_f32 v[56:57], v[124:125], v[134:135], 0 op_sel_hi:[0,1,0]
	v_pk_fma_f32 v[16:17], v[16:17], v[132:133], 0 op_sel_hi:[1,1,0]
	v_pk_fma_f32 v[56:57], v[128:129], v[18:19], v[56:57] op_sel_hi:[0,1,1]
	v_pk_fma_f32 v[16:17], v[86:87], v[130:131], v[16:17]
	v_pk_mul_f32 v[56:57], v[56:57], v[108:109]
	v_pk_fma_f32 v[16:17], v[16:17], v[106:107], v[56:57] neg_lo:[0,0,1] neg_hi:[0,0,1]
	v_pk_add_f32 v[38:39], v[38:39], v[16:17]
	v_mov_b32_e32 v16, 0
	v_dot4c_i32_i8_e32 v16, v245, v12
	v_dot4c_i32_i8_e32 v16, v204, v13
	;; [unrolled: 1-line block ×5, first 2 shown]
	v_mov_b32_e32 v8, 0
	v_dot4c_i32_i8_e32 v8, v188, v4
	v_dot4c_i32_i8_e32 v8, v191, v5
	v_dot4c_i32_i8_e32 v8, v190, v6
	v_dot4c_i32_i8_e32 v8, v184, v7
	v_dot4c_i32_i8_e32 v16, v195, v9
	v_dot4c_i32_i8_e32 v8, v185, v0
	v_dot4c_i32_i8_e32 v16, v196, v10
	v_dot4c_i32_i8_e32 v8, v186, v1
	v_dot4c_i32_i8_e32 v16, v197, v11
	v_dot4c_i32_i8_e32 v8, v187, v2
	v_dot4c_i32_i8_e32 v8, v189, v3
	v_mul_lo_u32 v0, v54, v183
	v_mul_lo_u32 v1, v16, v183
	v_cvt_f32_i32_e32 v1, v1
	v_cvt_f32_i32_e32 v0, v0
	v_mul_lo_u32 v4, v55, v182
	v_mul_lo_u32 v5, v8, v182
	v_cvt_f32_i32_e32 v5, v5
	v_cvt_f32_i32_e32 v4, v4
	v_pk_fma_f32 v[2:3], v[116:117], v[134:135], 0 op_sel_hi:[0,1,0]
	v_pk_fma_f32 v[0:1], v[0:1], v[132:133], 0 op_sel_hi:[1,1,0]
	;; [unrolled: 1-line block ×3, first 2 shown]
	v_pk_fma_f32 v[0:1], v[4:5], v[130:131], v[0:1]
	v_pk_mul_f32 v[2:3], v[2:3], v[112:113]
	v_pk_fma_f32 v[0:1], v[0:1], v[110:111], v[2:3] neg_lo:[0,0,1] neg_hi:[0,0,1]
	v_pk_add_f32 v[36:37], v[36:37], v[0:1]
	ds_read_b128 v[12:15], v127 offset:4096
	ds_read_b128 v[8:11], v127 offset:4112
	ds_read2_b64 v[16:19], v129 offset0:64 offset1:80
	ds_read_b128 v[4:7], v127 offset:4128
	ds_read_b128 v[0:3], v127 offset:4144
	v_mov_b32_e32 v61, 0
	v_mov_b32_e32 v63, 0
	;; [unrolled: 1-line block ×8, first 2 shown]
	s_waitcnt lgkmcnt(4)
	v_dot4c_i32_i8_e32 v61, v199, v12
	s_waitcnt lgkmcnt(1)
	v_dot4c_i32_i8_e32 v63, v212, v4
	v_dot4c_i32_i8_e32 v254, v200, v12
	;; [unrolled: 1-line block ×32, first 2 shown]
	s_waitcnt lgkmcnt(0)
	v_dot4c_i32_i8_e32 v63, v225, v0
	v_dot4c_i32_i8_e32 v254, v213, v8
	;; [unrolled: 1-line block ×31, first 2 shown]
	ds_read_b128 v[12:15], v127 offset:5120
	ds_read_b128 v[8:11], v127 offset:5136
	;; [unrolled: 1-line block ×4, first 2 shown]
	v_mov_b32_e32 v86, 0
	s_waitcnt lgkmcnt(3)
	v_dot4c_i32_i8_e32 v86, v199, v12
	v_mov_b32_e32 v88, 0
	v_dot4c_i32_i8_e32 v86, v198, v13
	s_waitcnt lgkmcnt(1)
	v_dot4c_i32_i8_e32 v88, v212, v4
	v_dot4c_i32_i8_e32 v86, v201, v14
	;; [unrolled: 1-line block ×8, first 2 shown]
	s_waitcnt lgkmcnt(0)
	v_dot4c_i32_i8_e32 v88, v225, v0
	v_dot4c_i32_i8_e32 v86, v210, v10
	;; [unrolled: 1-line block ×6, first 2 shown]
	v_cvt_f32_f16_e32 v133, v18
	v_cvt_f32_f16_e32 v132, v16
	v_cvt_f32_f16_sdwa v135, v18 dst_sel:DWORD dst_unused:UNUSED_PAD src0_sel:WORD_1
	v_cvt_f32_f16_sdwa v134, v16 dst_sel:DWORD dst_unused:UNUSED_PAD src0_sel:WORD_1
	v_cvt_f32_f16_e32 v130, v17
	v_cvt_f32_f16_sdwa v18, v17 dst_sel:DWORD dst_unused:UNUSED_PAD src0_sel:WORD_1
	v_mul_lo_u32 v16, v61, v208
	v_mul_lo_u32 v17, v86, v208
	v_cvt_f32_f16_e32 v131, v19
	v_cvt_f32_f16_sdwa v19, v19 dst_sel:DWORD dst_unused:UNUSED_PAD src0_sel:WORD_1
	v_cvt_f32_i32_e32 v17, v17
	v_cvt_f32_i32_e32 v16, v16
	v_mul_lo_u32 v61, v63, v221
	v_mul_lo_u32 v63, v88, v221
	v_cvt_f32_i32_e32 v89, v63
	v_cvt_f32_i32_e32 v88, v61
	v_pk_fma_f32 v[86:87], v[118:119], v[134:135], 0 op_sel_hi:[0,1,0]
	v_pk_fma_f32 v[16:17], v[16:17], v[132:133], 0 op_sel_hi:[1,1,0]
	;; [unrolled: 1-line block ×3, first 2 shown]
	v_pk_fma_f32 v[16:17], v[88:89], v[130:131], v[16:17]
	v_pk_mul_f32 v[86:87], v[86:87], v[100:101]
	v_pk_fma_f32 v[16:17], v[16:17], v[98:99], v[86:87] neg_lo:[0,0,1] neg_hi:[0,0,1]
	v_pk_add_f32 v[34:35], v[34:35], v[16:17]
	v_mov_b32_e32 v16, 0
	v_dot4c_i32_i8_e32 v16, v200, v12
	v_mov_b32_e32 v61, 0
	v_dot4c_i32_i8_e32 v16, v203, v13
	v_dot4c_i32_i8_e32 v61, v219, v4
	;; [unrolled: 1-line block ×15, first 2 shown]
	v_mul_lo_u32 v63, v254, v215
	v_mul_lo_u32 v16, v16, v215
	v_cvt_f32_i32_e32 v17, v16
	v_cvt_f32_i32_e32 v16, v63
	v_mul_lo_u32 v63, v255, v239
	v_mul_lo_u32 v61, v61, v239
	v_cvt_f32_i32_e32 v89, v61
	v_cvt_f32_i32_e32 v88, v63
	v_pk_fma_f32 v[86:87], v[120:121], v[134:135], 0 op_sel_hi:[0,1,0]
	v_pk_fma_f32 v[16:17], v[16:17], v[132:133], 0 op_sel_hi:[1,1,0]
	;; [unrolled: 1-line block ×3, first 2 shown]
	v_pk_fma_f32 v[16:17], v[88:89], v[130:131], v[16:17]
	v_pk_mul_f32 v[86:87], v[86:87], v[104:105]
	v_pk_fma_f32 v[16:17], v[16:17], v[102:103], v[86:87] neg_lo:[0,0,1] neg_hi:[0,0,1]
	v_pk_add_f32 v[32:33], v[32:33], v[16:17]
	v_mov_b32_e32 v16, 0
	v_dot4c_i32_i8_e32 v16, v218, v12
	v_mov_b32_e32 v61, 0
	v_dot4c_i32_i8_e32 v16, v220, v13
	v_dot4c_i32_i8_e32 v61, v243, v4
	;; [unrolled: 1-line block ×15, first 2 shown]
	v_mul_lo_u32 v56, v56, v231
	v_mul_lo_u32 v16, v16, v231
	v_cvt_f32_i32_e32 v17, v16
	v_cvt_f32_i32_e32 v16, v56
	v_mul_lo_u32 v56, v57, v250
	v_mul_lo_u32 v57, v61, v250
	v_cvt_f32_i32_e32 v57, v57
	v_cvt_f32_i32_e32 v56, v56
	v_pk_fma_f32 v[16:17], v[16:17], v[132:133], 0 op_sel_hi:[1,1,0]
	v_pk_fma_f32 v[86:87], v[124:125], v[134:135], 0 op_sel_hi:[0,1,0]
	v_mov_b32_e32 v61, 0
	v_pk_fma_f32 v[16:17], v[56:57], v[130:131], v[16:17]
	v_pk_fma_f32 v[56:57], v[128:129], v[18:19], v[86:87] op_sel_hi:[0,1,1]
	v_pk_mul_f32 v[56:57], v[56:57], v[108:109]
	v_pk_fma_f32 v[16:17], v[16:17], v[106:107], v[56:57] neg_lo:[0,0,1] neg_hi:[0,0,1]
	v_pk_add_f32 v[30:31], v[30:31], v[16:17]
	v_mov_b32_e32 v16, 0
	v_dot4c_i32_i8_e32 v16, v245, v12
	v_dot4c_i32_i8_e32 v16, v204, v13
	;; [unrolled: 1-line block ×5, first 2 shown]
	v_mov_b32_e32 v8, 0
	v_dot4c_i32_i8_e32 v8, v188, v4
	v_dot4c_i32_i8_e32 v8, v191, v5
	;; [unrolled: 1-line block ×11, first 2 shown]
	v_mul_lo_u32 v0, v54, v183
	v_mul_lo_u32 v1, v16, v183
	v_cvt_f32_i32_e32 v1, v1
	v_cvt_f32_i32_e32 v0, v0
	v_mul_lo_u32 v4, v55, v182
	v_mul_lo_u32 v5, v8, v182
	v_cvt_f32_i32_e32 v5, v5
	v_cvt_f32_i32_e32 v4, v4
	v_pk_fma_f32 v[2:3], v[116:117], v[134:135], 0 op_sel_hi:[0,1,0]
	v_pk_fma_f32 v[0:1], v[0:1], v[132:133], 0 op_sel_hi:[1,1,0]
	v_pk_fma_f32 v[2:3], v[114:115], v[18:19], v[2:3] op_sel_hi:[0,1,1]
	v_pk_fma_f32 v[0:1], v[4:5], v[130:131], v[0:1]
	v_pk_mul_f32 v[2:3], v[2:3], v[112:113]
	v_pk_fma_f32 v[0:1], v[0:1], v[110:111], v[2:3] neg_lo:[0,0,1] neg_hi:[0,0,1]
	v_pk_add_f32 v[28:29], v[28:29], v[0:1]
	ds_read_b128 v[0:3], v127 offset:6144
	ds_read_b128 v[4:7], v127 offset:6160
	ds_read2_b64 v[16:19], v129 offset0:96 offset1:112
	ds_read_b128 v[8:11], v127 offset:6176
	ds_read_b128 v[12:15], v127 offset:6192
	v_mov_b32_e32 v63, 0
	v_mov_b32_e32 v56, 0
	;; [unrolled: 1-line block ×7, first 2 shown]
	s_waitcnt lgkmcnt(4)
	v_dot4c_i32_i8_e32 v61, v199, v0
	s_waitcnt lgkmcnt(1)
	v_dot4c_i32_i8_e32 v63, v212, v8
	v_dot4c_i32_i8_e32 v56, v200, v0
	;; [unrolled: 1-line block ×32, first 2 shown]
	s_waitcnt lgkmcnt(0)
	v_dot4c_i32_i8_e32 v63, v225, v12
	v_dot4c_i32_i8_e32 v56, v213, v4
	v_dot4c_i32_i8_e32 v57, v238, v12
	v_dot4c_i32_i8_e32 v54, v233, v4
	v_dot4c_i32_i8_e32 v55, v249, v12
	v_dot4c_i32_i8_e32 v255, v194, v4
	v_dot4c_i32_i8_e32 v254, v185, v12
	v_dot4c_i32_i8_e32 v61, v206, v5
	v_dot4c_i32_i8_e32 v63, v226, v13
	v_dot4c_i32_i8_e32 v56, v214, v5
	v_dot4c_i32_i8_e32 v57, v241, v13
	v_dot4c_i32_i8_e32 v54, v235, v5
	v_dot4c_i32_i8_e32 v55, v251, v13
	v_dot4c_i32_i8_e32 v255, v195, v5
	v_dot4c_i32_i8_e32 v254, v186, v13
	v_dot4c_i32_i8_e32 v61, v210, v6
	v_dot4c_i32_i8_e32 v63, v227, v14
	v_dot4c_i32_i8_e32 v56, v216, v6
	v_dot4c_i32_i8_e32 v57, v242, v14
	v_dot4c_i32_i8_e32 v54, v237, v6
	v_dot4c_i32_i8_e32 v55, v252, v14
	v_dot4c_i32_i8_e32 v255, v196, v6
	v_dot4c_i32_i8_e32 v254, v187, v14
	v_dot4c_i32_i8_e32 v61, v211, v7
	v_dot4c_i32_i8_e32 v63, v230, v15
	v_dot4c_i32_i8_e32 v56, v217, v7
	v_dot4c_i32_i8_e32 v57, v244, v15
	v_dot4c_i32_i8_e32 v54, v240, v7
	v_dot4c_i32_i8_e32 v55, v253, v15
	v_dot4c_i32_i8_e32 v255, v197, v7
	v_dot4c_i32_i8_e32 v254, v189, v15
	ds_read_b128 v[8:11], v127 offset:7168
	ds_read_b128 v[12:15], v127 offset:7184
	;; [unrolled: 1-line block ×4, first 2 shown]
	v_mov_b32_e32 v86, 0
	s_waitcnt lgkmcnt(3)
	v_dot4c_i32_i8_e32 v86, v199, v8
	v_mov_b32_e32 v88, 0
	v_dot4c_i32_i8_e32 v86, v198, v9
	s_waitcnt lgkmcnt(1)
	v_dot4c_i32_i8_e32 v88, v212, v4
	v_dot4c_i32_i8_e32 v86, v201, v10
	;; [unrolled: 1-line block ×8, first 2 shown]
	s_waitcnt lgkmcnt(0)
	v_dot4c_i32_i8_e32 v88, v225, v0
	v_dot4c_i32_i8_e32 v86, v210, v14
	;; [unrolled: 1-line block ×6, first 2 shown]
	v_cvt_f32_f16_e32 v135, v18
	v_cvt_f32_f16_e32 v134, v16
	v_cvt_f32_f16_sdwa v133, v18 dst_sel:DWORD dst_unused:UNUSED_PAD src0_sel:WORD_1
	v_cvt_f32_f16_sdwa v132, v16 dst_sel:DWORD dst_unused:UNUSED_PAD src0_sel:WORD_1
	v_cvt_f32_f16_e32 v130, v17
	v_cvt_f32_f16_sdwa v18, v17 dst_sel:DWORD dst_unused:UNUSED_PAD src0_sel:WORD_1
	v_mul_lo_u32 v16, v61, v208
	v_mul_lo_u32 v17, v86, v208
	v_cvt_f32_f16_e32 v131, v19
	v_cvt_f32_f16_sdwa v19, v19 dst_sel:DWORD dst_unused:UNUSED_PAD src0_sel:WORD_1
	v_cvt_f32_i32_e32 v17, v17
	v_cvt_f32_i32_e32 v16, v16
	v_mul_lo_u32 v61, v63, v221
	v_mul_lo_u32 v63, v88, v221
	v_cvt_f32_i32_e32 v89, v63
	v_cvt_f32_i32_e32 v88, v61
	v_pk_fma_f32 v[86:87], v[118:119], v[132:133], 0 op_sel_hi:[0,1,0]
	v_pk_fma_f32 v[16:17], v[16:17], v[134:135], 0 op_sel_hi:[1,1,0]
	;; [unrolled: 1-line block ×3, first 2 shown]
	v_pk_fma_f32 v[16:17], v[88:89], v[130:131], v[16:17]
	v_pk_mul_f32 v[86:87], v[86:87], v[100:101]
	v_pk_fma_f32 v[16:17], v[16:17], v[98:99], v[86:87] neg_lo:[0,0,1] neg_hi:[0,0,1]
	v_pk_add_f32 v[26:27], v[26:27], v[16:17]
	v_mov_b32_e32 v16, 0
	v_dot4c_i32_i8_e32 v16, v200, v8
	v_mov_b32_e32 v61, 0
	v_dot4c_i32_i8_e32 v16, v203, v9
	v_dot4c_i32_i8_e32 v61, v219, v4
	;; [unrolled: 1-line block ×15, first 2 shown]
	v_mul_lo_u32 v56, v56, v215
	v_mul_lo_u32 v16, v16, v215
	v_cvt_f32_i32_e32 v17, v16
	v_cvt_f32_i32_e32 v16, v56
	v_mul_lo_u32 v56, v57, v239
	v_mul_lo_u32 v57, v61, v239
	v_cvt_f32_i32_e32 v57, v57
	v_cvt_f32_i32_e32 v56, v56
	v_pk_fma_f32 v[16:17], v[16:17], v[134:135], 0 op_sel_hi:[1,1,0]
	v_pk_fma_f32 v[86:87], v[120:121], v[132:133], 0 op_sel_hi:[0,1,0]
	v_mov_b32_e32 v61, 0
	v_pk_fma_f32 v[16:17], v[56:57], v[130:131], v[16:17]
	v_pk_fma_f32 v[56:57], v[126:127], v[18:19], v[86:87] op_sel_hi:[0,1,1]
	v_pk_mul_f32 v[56:57], v[56:57], v[104:105]
	v_pk_fma_f32 v[16:17], v[16:17], v[102:103], v[56:57] neg_lo:[0,0,1] neg_hi:[0,0,1]
	v_pk_add_f32 v[24:25], v[24:25], v[16:17]
	v_mov_b32_e32 v16, 0
	v_dot4c_i32_i8_e32 v16, v218, v8
	v_dot4c_i32_i8_e32 v16, v220, v9
	;; [unrolled: 1-line block ×16, first 2 shown]
	v_mul_lo_u32 v54, v54, v231
	v_mul_lo_u32 v16, v16, v231
	v_cvt_f32_i32_e32 v17, v16
	v_cvt_f32_i32_e32 v16, v54
	v_mul_lo_u32 v54, v55, v250
	v_mul_lo_u32 v55, v61, v250
	v_cvt_f32_i32_e32 v55, v55
	v_cvt_f32_i32_e32 v54, v54
	v_pk_fma_f32 v[16:17], v[16:17], v[134:135], 0 op_sel_hi:[1,1,0]
	v_pk_fma_f32 v[56:57], v[124:125], v[132:133], 0 op_sel_hi:[0,1,0]
	s_add_i32 s4, s4, 8
	v_pk_fma_f32 v[16:17], v[54:55], v[130:131], v[16:17]
	v_pk_fma_f32 v[54:55], v[128:129], v[18:19], v[56:57] op_sel_hi:[0,1,1]
	v_pk_mul_f32 v[54:55], v[54:55], v[108:109]
	v_pk_fma_f32 v[16:17], v[16:17], v[106:107], v[54:55] neg_lo:[0,0,1] neg_hi:[0,0,1]
	v_pk_add_f32 v[22:23], v[22:23], v[16:17]
	v_mov_b32_e32 v16, 0
	v_dot4c_i32_i8_e32 v16, v245, v8
	v_mov_b32_e32 v8, 0
	v_dot4c_i32_i8_e32 v16, v204, v9
	v_dot4c_i32_i8_e32 v8, v188, v4
	;; [unrolled: 1-line block ×15, first 2 shown]
	v_mul_lo_u32 v0, v255, v183
	v_mul_lo_u32 v1, v16, v183
	v_cvt_f32_i32_e32 v1, v1
	v_cvt_f32_i32_e32 v0, v0
	v_mul_lo_u32 v4, v254, v182
	v_mul_lo_u32 v5, v8, v182
	v_cvt_f32_i32_e32 v5, v5
	v_cvt_f32_i32_e32 v4, v4
	v_pk_fma_f32 v[2:3], v[116:117], v[132:133], 0 op_sel_hi:[0,1,0]
	v_pk_fma_f32 v[0:1], v[0:1], v[134:135], 0 op_sel_hi:[1,1,0]
	;; [unrolled: 1-line block ×3, first 2 shown]
	v_pk_fma_f32 v[0:1], v[4:5], v[130:131], v[0:1]
	v_pk_mul_f32 v[2:3], v[2:3], v[112:113]
	v_pk_fma_f32 v[0:1], v[0:1], v[110:111], v[2:3] neg_lo:[0,0,1] neg_hi:[0,0,1]
	s_add_i32 s17, s16, 8
	s_add_i32 s16, s16, 16
	;; [unrolled: 1-line block ×3, first 2 shown]
	v_pk_add_f32 v[20:21], v[20:21], v[0:1]
	v_add_u32_e32 v181, 32, v181
	v_add_u32_e32 v129, 8, v129
	v_add_u32_e32 v127, 64, v127
	s_cmp_lt_u32 s16, 24
	s_mov_b32 s16, s17
	s_cbranch_scc1 .LBB151_8
; %bb.9:                                ;   in Loop: Header=BB151_5 Depth=1
	s_add_i32 s0, s0, 1
	s_cmp_eq_u32 s0, s7
	s_barrier
	s_cbranch_scc0 .LBB151_5
; %bb.10:
	buffer_load_dword v1, off, s[20:23], 0 offset:32 ; 4-byte Folded Reload
	buffer_load_dword v2, off, s[20:23], 0 offset:36 ; 4-byte Folded Reload
.LBB151_11:
	s_waitcnt vmcnt(0)
	v_cmp_gt_u32_e32 vcc, s8, v2
	s_and_saveexec_b64 s[0:1], vcc
	s_cbranch_execz .LBB151_62
; %bb.12:
	v_add_u32_e32 v0, s6, v53
	v_mul_lo_u32 v5, v2, s10
	v_cmp_gt_u32_e32 vcc, s10, v0
	s_and_saveexec_b64 s[2:3], vcc
	s_cbranch_execz .LBB151_14
; %bb.13:
	v_add_u32_e32 v2, v0, v5
	v_mov_b32_e32 v3, 0
	v_cvt_f16_f32_e32 v6, v50
	v_lshlrev_b64 v[2:3], 1, v[2:3]
	s_waitcnt lgkmcnt(0)
	v_mov_b32_e32 v4, s13
	v_add_co_u32_e64 v2, s[0:1], s12, v2
	v_addc_co_u32_e64 v3, s[0:1], v4, v3, s[0:1]
	global_store_short v[2:3], v6, off
.LBB151_14:
	s_or_b64 exec, exec, s[2:3]
	v_add_u32_e32 v2, 32, v0
	v_cmp_gt_u32_e64 s[0:1], s10, v2
	s_and_saveexec_b64 s[4:5], s[0:1]
	s_cbranch_execz .LBB151_16
; %bb.15:
	v_add_u32_e32 v6, v2, v5
	v_mov_b32_e32 v7, 0
	v_cvt_f16_f32_e32 v4, v48
	v_lshlrev_b64 v[6:7], 1, v[6:7]
	s_waitcnt lgkmcnt(0)
	v_mov_b32_e32 v3, s13
	v_add_co_u32_e64 v6, s[2:3], s12, v6
	v_addc_co_u32_e64 v7, s[2:3], v3, v7, s[2:3]
	global_store_short v[6:7], v4, off
.LBB151_16:
	s_or_b64 exec, exec, s[4:5]
	v_add_u32_e32 v3, 64, v0
	v_cmp_gt_u32_e64 s[2:3], s10, v3
	s_and_saveexec_b64 s[6:7], s[2:3]
	;; [unrolled: 16-line block ×3, first 2 shown]
	s_cbranch_execz .LBB151_20
; %bb.19:
	v_add_u32_e32 v6, v4, v5
	v_mov_b32_e32 v7, 0
	v_cvt_f16_f32_e32 v8, v44
	v_lshlrev_b64 v[6:7], 1, v[6:7]
	s_waitcnt lgkmcnt(0)
	v_mov_b32_e32 v5, s13
	v_add_co_u32_e64 v6, s[6:7], s12, v6
	v_addc_co_u32_e64 v7, s[6:7], v5, v7, s[6:7]
	global_store_short v[6:7], v8, off
.LBB151_20:
	s_or_b64 exec, exec, s[14:15]
	v_add3_u32 v5, v1, s11, 8
	v_cmp_gt_u32_e64 s[6:7], s8, v5
	s_and_b64 exec, exec, s[6:7]
	s_cbranch_execz .LBB151_62
; %bb.21:
	v_mul_lo_u32 v5, v5, s10
	s_and_saveexec_b64 s[14:15], vcc
	s_cbranch_execnz .LBB151_63
; %bb.22:
	s_or_b64 exec, exec, s[14:15]
	s_and_saveexec_b64 s[14:15], s[0:1]
	s_cbranch_execnz .LBB151_64
.LBB151_23:
	s_or_b64 exec, exec, s[14:15]
	s_and_saveexec_b64 s[14:15], s[2:3]
	s_cbranch_execnz .LBB151_65
.LBB151_24:
	s_or_b64 exec, exec, s[14:15]
	s_and_saveexec_b64 s[14:15], s[4:5]
	s_cbranch_execz .LBB151_26
.LBB151_25:
	v_add_u32_e32 v6, v5, v4
	v_mov_b32_e32 v7, 0
	v_cvt_f16_f32_e32 v8, v45
	v_lshlrev_b64 v[6:7], 1, v[6:7]
	s_waitcnt lgkmcnt(0)
	v_mov_b32_e32 v5, s13
	v_add_co_u32_e64 v6, s[6:7], s12, v6
	v_addc_co_u32_e64 v7, s[6:7], v5, v7, s[6:7]
	global_store_short v[6:7], v8, off
.LBB151_26:
	s_or_b64 exec, exec, s[14:15]
	v_add3_u32 v5, v1, s11, 16
	v_cmp_gt_u32_e64 s[6:7], s8, v5
	s_and_b64 exec, exec, s[6:7]
	s_cbranch_execz .LBB151_62
; %bb.27:
	v_mul_lo_u32 v5, v5, s10
	s_and_saveexec_b64 s[14:15], vcc
	s_cbranch_execnz .LBB151_66
; %bb.28:
	s_or_b64 exec, exec, s[14:15]
	s_and_saveexec_b64 s[14:15], s[0:1]
	s_cbranch_execnz .LBB151_67
.LBB151_29:
	s_or_b64 exec, exec, s[14:15]
	s_and_saveexec_b64 s[14:15], s[2:3]
	s_cbranch_execnz .LBB151_68
.LBB151_30:
	s_or_b64 exec, exec, s[14:15]
	s_and_saveexec_b64 s[14:15], s[4:5]
	s_cbranch_execz .LBB151_32
.LBB151_31:
	v_add_u32_e32 v6, v5, v4
	v_mov_b32_e32 v7, 0
	v_cvt_f16_f32_e32 v8, v36
	v_lshlrev_b64 v[6:7], 1, v[6:7]
	s_waitcnt lgkmcnt(0)
	v_mov_b32_e32 v5, s13
	v_add_co_u32_e64 v6, s[6:7], s12, v6
	v_addc_co_u32_e64 v7, s[6:7], v5, v7, s[6:7]
	global_store_short v[6:7], v8, off
.LBB151_32:
	s_or_b64 exec, exec, s[14:15]
	v_add3_u32 v5, v1, s11, 24
	v_cmp_gt_u32_e64 s[6:7], s8, v5
	s_and_b64 exec, exec, s[6:7]
	s_cbranch_execz .LBB151_62
; %bb.33:
	v_mul_lo_u32 v5, v5, s10
	s_and_saveexec_b64 s[14:15], vcc
	s_cbranch_execnz .LBB151_69
; %bb.34:
	s_or_b64 exec, exec, s[14:15]
	s_and_saveexec_b64 s[14:15], s[0:1]
	s_cbranch_execnz .LBB151_70
.LBB151_35:
	s_or_b64 exec, exec, s[14:15]
	s_and_saveexec_b64 s[14:15], s[2:3]
	s_cbranch_execnz .LBB151_71
.LBB151_36:
	s_or_b64 exec, exec, s[14:15]
	s_and_saveexec_b64 s[14:15], s[4:5]
	s_cbranch_execz .LBB151_38
.LBB151_37:
	v_add_u32_e32 v6, v5, v4
	v_mov_b32_e32 v7, 0
	v_cvt_f16_f32_e32 v8, v37
	v_lshlrev_b64 v[6:7], 1, v[6:7]
	s_waitcnt lgkmcnt(0)
	v_mov_b32_e32 v5, s13
	v_add_co_u32_e64 v6, s[6:7], s12, v6
	v_addc_co_u32_e64 v7, s[6:7], v5, v7, s[6:7]
	global_store_short v[6:7], v8, off
.LBB151_38:
	s_or_b64 exec, exec, s[14:15]
	v_add3_u32 v5, v1, s11, 32
	v_cmp_gt_u32_e64 s[6:7], s8, v5
	s_and_b64 exec, exec, s[6:7]
	s_cbranch_execz .LBB151_62
; %bb.39:
	v_mul_lo_u32 v5, v5, s10
	s_and_saveexec_b64 s[14:15], vcc
	s_cbranch_execnz .LBB151_72
; %bb.40:
	s_or_b64 exec, exec, s[14:15]
	s_and_saveexec_b64 s[14:15], s[0:1]
	s_cbranch_execnz .LBB151_73
.LBB151_41:
	s_or_b64 exec, exec, s[14:15]
	s_and_saveexec_b64 s[14:15], s[2:3]
	s_cbranch_execnz .LBB151_74
.LBB151_42:
	s_or_b64 exec, exec, s[14:15]
	s_and_saveexec_b64 s[14:15], s[4:5]
	s_cbranch_execz .LBB151_44
.LBB151_43:
	v_add_u32_e32 v6, v5, v4
	v_mov_b32_e32 v7, 0
	v_cvt_f16_f32_e32 v8, v28
	v_lshlrev_b64 v[6:7], 1, v[6:7]
	s_waitcnt lgkmcnt(0)
	v_mov_b32_e32 v5, s13
	v_add_co_u32_e64 v6, s[6:7], s12, v6
	v_addc_co_u32_e64 v7, s[6:7], v5, v7, s[6:7]
	global_store_short v[6:7], v8, off
.LBB151_44:
	s_or_b64 exec, exec, s[14:15]
	v_add3_u32 v5, v1, s11, 40
	v_cmp_gt_u32_e64 s[6:7], s8, v5
	s_and_b64 exec, exec, s[6:7]
	s_cbranch_execz .LBB151_62
; %bb.45:
	v_mul_lo_u32 v5, v5, s10
	s_and_saveexec_b64 s[14:15], vcc
	s_cbranch_execnz .LBB151_75
; %bb.46:
	s_or_b64 exec, exec, s[14:15]
	s_and_saveexec_b64 s[14:15], s[0:1]
	s_cbranch_execnz .LBB151_76
.LBB151_47:
	s_or_b64 exec, exec, s[14:15]
	s_and_saveexec_b64 s[14:15], s[2:3]
	s_cbranch_execnz .LBB151_77
.LBB151_48:
	s_or_b64 exec, exec, s[14:15]
	s_and_saveexec_b64 s[14:15], s[4:5]
	s_cbranch_execz .LBB151_50
.LBB151_49:
	v_add_u32_e32 v6, v5, v4
	v_mov_b32_e32 v7, 0
	v_cvt_f16_f32_e32 v8, v29
	v_lshlrev_b64 v[6:7], 1, v[6:7]
	s_waitcnt lgkmcnt(0)
	v_mov_b32_e32 v5, s13
	v_add_co_u32_e64 v6, s[6:7], s12, v6
	v_addc_co_u32_e64 v7, s[6:7], v5, v7, s[6:7]
	global_store_short v[6:7], v8, off
.LBB151_50:
	s_or_b64 exec, exec, s[14:15]
	v_add3_u32 v5, v1, s11, 48
	v_cmp_gt_u32_e64 s[6:7], s8, v5
	s_and_b64 exec, exec, s[6:7]
	s_cbranch_execz .LBB151_62
; %bb.51:
	v_mul_lo_u32 v5, v5, s10
	s_and_saveexec_b64 s[14:15], vcc
	s_cbranch_execnz .LBB151_78
; %bb.52:
	s_or_b64 exec, exec, s[14:15]
	s_and_saveexec_b64 s[14:15], s[0:1]
	s_cbranch_execnz .LBB151_79
.LBB151_53:
	s_or_b64 exec, exec, s[14:15]
	s_and_saveexec_b64 s[14:15], s[2:3]
	s_cbranch_execnz .LBB151_80
.LBB151_54:
	s_or_b64 exec, exec, s[14:15]
	s_and_saveexec_b64 s[14:15], s[4:5]
	s_cbranch_execz .LBB151_56
.LBB151_55:
	v_add_u32_e32 v6, v5, v4
	v_mov_b32_e32 v7, 0
	v_cvt_f16_f32_e32 v8, v20
	v_lshlrev_b64 v[6:7], 1, v[6:7]
	s_waitcnt lgkmcnt(0)
	v_mov_b32_e32 v5, s13
	v_add_co_u32_e64 v6, s[6:7], s12, v6
	v_addc_co_u32_e64 v7, s[6:7], v5, v7, s[6:7]
	global_store_short v[6:7], v8, off
.LBB151_56:
	s_or_b64 exec, exec, s[14:15]
	v_add3_u32 v1, v1, s11, 56
	v_cmp_gt_u32_e64 s[6:7], s8, v1
	s_and_b64 exec, exec, s[6:7]
	s_cbranch_execz .LBB151_62
; %bb.57:
	v_mul_lo_u32 v1, v1, s10
	s_and_saveexec_b64 s[6:7], vcc
	s_cbranch_execnz .LBB151_81
; %bb.58:
	s_or_b64 exec, exec, s[6:7]
	s_and_saveexec_b64 s[6:7], s[0:1]
	s_cbranch_execnz .LBB151_82
.LBB151_59:
	s_or_b64 exec, exec, s[6:7]
	s_and_saveexec_b64 s[0:1], s[2:3]
	s_cbranch_execnz .LBB151_83
.LBB151_60:
	s_or_b64 exec, exec, s[0:1]
	s_and_b64 exec, exec, s[4:5]
	s_cbranch_execz .LBB151_62
.LBB151_61:
	v_add_u32_e32 v0, v1, v4
	v_mov_b32_e32 v1, 0
	v_cvt_f16_f32_e32 v3, v21
	v_lshlrev_b64 v[0:1], 1, v[0:1]
	s_waitcnt lgkmcnt(0)
	v_mov_b32_e32 v2, s13
	v_add_co_u32_e32 v0, vcc, s12, v0
	v_addc_co_u32_e32 v1, vcc, v2, v1, vcc
	global_store_short v[0:1], v3, off
.LBB151_62:
	s_endpgm
.LBB151_63:
	v_add_u32_e32 v6, v5, v0
	v_mov_b32_e32 v7, 0
	v_cvt_f16_f32_e32 v9, v51
	v_lshlrev_b64 v[6:7], 1, v[6:7]
	s_waitcnt lgkmcnt(0)
	v_mov_b32_e32 v8, s13
	v_add_co_u32_e64 v6, s[6:7], s12, v6
	v_addc_co_u32_e64 v7, s[6:7], v8, v7, s[6:7]
	global_store_short v[6:7], v9, off
	s_or_b64 exec, exec, s[14:15]
	s_and_saveexec_b64 s[14:15], s[0:1]
	s_cbranch_execz .LBB151_23
.LBB151_64:
	v_add_u32_e32 v6, v5, v2
	v_mov_b32_e32 v7, 0
	v_cvt_f16_f32_e32 v9, v49
	v_lshlrev_b64 v[6:7], 1, v[6:7]
	s_waitcnt lgkmcnt(0)
	v_mov_b32_e32 v8, s13
	v_add_co_u32_e64 v6, s[6:7], s12, v6
	v_addc_co_u32_e64 v7, s[6:7], v8, v7, s[6:7]
	global_store_short v[6:7], v9, off
	s_or_b64 exec, exec, s[14:15]
	s_and_saveexec_b64 s[14:15], s[2:3]
	s_cbranch_execz .LBB151_24
.LBB151_65:
	v_add_u32_e32 v6, v5, v3
	v_mov_b32_e32 v7, 0
	v_cvt_f16_f32_e32 v9, v47
	v_lshlrev_b64 v[6:7], 1, v[6:7]
	s_waitcnt lgkmcnt(0)
	v_mov_b32_e32 v8, s13
	v_add_co_u32_e64 v6, s[6:7], s12, v6
	v_addc_co_u32_e64 v7, s[6:7], v8, v7, s[6:7]
	global_store_short v[6:7], v9, off
	s_or_b64 exec, exec, s[14:15]
	s_and_saveexec_b64 s[14:15], s[4:5]
	s_cbranch_execnz .LBB151_25
	s_branch .LBB151_26
.LBB151_66:
	v_add_u32_e32 v6, v5, v0
	v_mov_b32_e32 v7, 0
	v_cvt_f16_f32_e32 v9, v42
	v_lshlrev_b64 v[6:7], 1, v[6:7]
	s_waitcnt lgkmcnt(0)
	v_mov_b32_e32 v8, s13
	v_add_co_u32_e64 v6, s[6:7], s12, v6
	v_addc_co_u32_e64 v7, s[6:7], v8, v7, s[6:7]
	global_store_short v[6:7], v9, off
	s_or_b64 exec, exec, s[14:15]
	s_and_saveexec_b64 s[14:15], s[0:1]
	s_cbranch_execz .LBB151_29
.LBB151_67:
	v_add_u32_e32 v6, v5, v2
	v_mov_b32_e32 v7, 0
	v_cvt_f16_f32_e32 v9, v40
	v_lshlrev_b64 v[6:7], 1, v[6:7]
	s_waitcnt lgkmcnt(0)
	v_mov_b32_e32 v8, s13
	v_add_co_u32_e64 v6, s[6:7], s12, v6
	v_addc_co_u32_e64 v7, s[6:7], v8, v7, s[6:7]
	global_store_short v[6:7], v9, off
	s_or_b64 exec, exec, s[14:15]
	s_and_saveexec_b64 s[14:15], s[2:3]
	s_cbranch_execz .LBB151_30
.LBB151_68:
	v_add_u32_e32 v6, v5, v3
	v_mov_b32_e32 v7, 0
	v_cvt_f16_f32_e32 v9, v38
	v_lshlrev_b64 v[6:7], 1, v[6:7]
	s_waitcnt lgkmcnt(0)
	v_mov_b32_e32 v8, s13
	v_add_co_u32_e64 v6, s[6:7], s12, v6
	v_addc_co_u32_e64 v7, s[6:7], v8, v7, s[6:7]
	global_store_short v[6:7], v9, off
	s_or_b64 exec, exec, s[14:15]
	s_and_saveexec_b64 s[14:15], s[4:5]
	s_cbranch_execnz .LBB151_31
	s_branch .LBB151_32
.LBB151_69:
	v_add_u32_e32 v6, v5, v0
	v_mov_b32_e32 v7, 0
	v_cvt_f16_f32_e32 v9, v43
	v_lshlrev_b64 v[6:7], 1, v[6:7]
	s_waitcnt lgkmcnt(0)
	v_mov_b32_e32 v8, s13
	v_add_co_u32_e64 v6, s[6:7], s12, v6
	v_addc_co_u32_e64 v7, s[6:7], v8, v7, s[6:7]
	global_store_short v[6:7], v9, off
	s_or_b64 exec, exec, s[14:15]
	s_and_saveexec_b64 s[14:15], s[0:1]
	s_cbranch_execz .LBB151_35
.LBB151_70:
	v_add_u32_e32 v6, v5, v2
	v_mov_b32_e32 v7, 0
	v_cvt_f16_f32_e32 v9, v41
	v_lshlrev_b64 v[6:7], 1, v[6:7]
	s_waitcnt lgkmcnt(0)
	v_mov_b32_e32 v8, s13
	v_add_co_u32_e64 v6, s[6:7], s12, v6
	v_addc_co_u32_e64 v7, s[6:7], v8, v7, s[6:7]
	global_store_short v[6:7], v9, off
	s_or_b64 exec, exec, s[14:15]
	s_and_saveexec_b64 s[14:15], s[2:3]
	s_cbranch_execz .LBB151_36
.LBB151_71:
	v_add_u32_e32 v6, v5, v3
	v_mov_b32_e32 v7, 0
	v_cvt_f16_f32_e32 v9, v39
	v_lshlrev_b64 v[6:7], 1, v[6:7]
	s_waitcnt lgkmcnt(0)
	v_mov_b32_e32 v8, s13
	v_add_co_u32_e64 v6, s[6:7], s12, v6
	v_addc_co_u32_e64 v7, s[6:7], v8, v7, s[6:7]
	global_store_short v[6:7], v9, off
	s_or_b64 exec, exec, s[14:15]
	s_and_saveexec_b64 s[14:15], s[4:5]
	s_cbranch_execnz .LBB151_37
	s_branch .LBB151_38
.LBB151_72:
	v_add_u32_e32 v6, v5, v0
	v_mov_b32_e32 v7, 0
	v_cvt_f16_f32_e32 v9, v34
	v_lshlrev_b64 v[6:7], 1, v[6:7]
	s_waitcnt lgkmcnt(0)
	v_mov_b32_e32 v8, s13
	v_add_co_u32_e64 v6, s[6:7], s12, v6
	v_addc_co_u32_e64 v7, s[6:7], v8, v7, s[6:7]
	global_store_short v[6:7], v9, off
	s_or_b64 exec, exec, s[14:15]
	s_and_saveexec_b64 s[14:15], s[0:1]
	s_cbranch_execz .LBB151_41
.LBB151_73:
	v_add_u32_e32 v6, v5, v2
	v_mov_b32_e32 v7, 0
	v_cvt_f16_f32_e32 v9, v32
	v_lshlrev_b64 v[6:7], 1, v[6:7]
	s_waitcnt lgkmcnt(0)
	v_mov_b32_e32 v8, s13
	v_add_co_u32_e64 v6, s[6:7], s12, v6
	v_addc_co_u32_e64 v7, s[6:7], v8, v7, s[6:7]
	global_store_short v[6:7], v9, off
	s_or_b64 exec, exec, s[14:15]
	s_and_saveexec_b64 s[14:15], s[2:3]
	s_cbranch_execz .LBB151_42
.LBB151_74:
	v_add_u32_e32 v6, v5, v3
	v_mov_b32_e32 v7, 0
	v_cvt_f16_f32_e32 v9, v30
	v_lshlrev_b64 v[6:7], 1, v[6:7]
	s_waitcnt lgkmcnt(0)
	v_mov_b32_e32 v8, s13
	v_add_co_u32_e64 v6, s[6:7], s12, v6
	v_addc_co_u32_e64 v7, s[6:7], v8, v7, s[6:7]
	global_store_short v[6:7], v9, off
	s_or_b64 exec, exec, s[14:15]
	s_and_saveexec_b64 s[14:15], s[4:5]
	s_cbranch_execnz .LBB151_43
	s_branch .LBB151_44
.LBB151_75:
	v_add_u32_e32 v6, v5, v0
	v_mov_b32_e32 v7, 0
	v_cvt_f16_f32_e32 v9, v35
	v_lshlrev_b64 v[6:7], 1, v[6:7]
	s_waitcnt lgkmcnt(0)
	v_mov_b32_e32 v8, s13
	v_add_co_u32_e64 v6, s[6:7], s12, v6
	v_addc_co_u32_e64 v7, s[6:7], v8, v7, s[6:7]
	global_store_short v[6:7], v9, off
	s_or_b64 exec, exec, s[14:15]
	s_and_saveexec_b64 s[14:15], s[0:1]
	s_cbranch_execz .LBB151_47
.LBB151_76:
	v_add_u32_e32 v6, v5, v2
	v_mov_b32_e32 v7, 0
	v_cvt_f16_f32_e32 v9, v33
	v_lshlrev_b64 v[6:7], 1, v[6:7]
	s_waitcnt lgkmcnt(0)
	v_mov_b32_e32 v8, s13
	v_add_co_u32_e64 v6, s[6:7], s12, v6
	v_addc_co_u32_e64 v7, s[6:7], v8, v7, s[6:7]
	global_store_short v[6:7], v9, off
	s_or_b64 exec, exec, s[14:15]
	s_and_saveexec_b64 s[14:15], s[2:3]
	s_cbranch_execz .LBB151_48
.LBB151_77:
	v_add_u32_e32 v6, v5, v3
	v_mov_b32_e32 v7, 0
	v_cvt_f16_f32_e32 v9, v31
	v_lshlrev_b64 v[6:7], 1, v[6:7]
	s_waitcnt lgkmcnt(0)
	v_mov_b32_e32 v8, s13
	v_add_co_u32_e64 v6, s[6:7], s12, v6
	v_addc_co_u32_e64 v7, s[6:7], v8, v7, s[6:7]
	global_store_short v[6:7], v9, off
	s_or_b64 exec, exec, s[14:15]
	s_and_saveexec_b64 s[14:15], s[4:5]
	s_cbranch_execnz .LBB151_49
	s_branch .LBB151_50
.LBB151_78:
	v_add_u32_e32 v6, v5, v0
	v_mov_b32_e32 v7, 0
	v_cvt_f16_f32_e32 v9, v26
	v_lshlrev_b64 v[6:7], 1, v[6:7]
	s_waitcnt lgkmcnt(0)
	v_mov_b32_e32 v8, s13
	v_add_co_u32_e64 v6, s[6:7], s12, v6
	v_addc_co_u32_e64 v7, s[6:7], v8, v7, s[6:7]
	global_store_short v[6:7], v9, off
	s_or_b64 exec, exec, s[14:15]
	s_and_saveexec_b64 s[14:15], s[0:1]
	s_cbranch_execz .LBB151_53
.LBB151_79:
	v_add_u32_e32 v6, v5, v2
	v_mov_b32_e32 v7, 0
	v_cvt_f16_f32_e32 v9, v24
	v_lshlrev_b64 v[6:7], 1, v[6:7]
	s_waitcnt lgkmcnt(0)
	v_mov_b32_e32 v8, s13
	v_add_co_u32_e64 v6, s[6:7], s12, v6
	v_addc_co_u32_e64 v7, s[6:7], v8, v7, s[6:7]
	global_store_short v[6:7], v9, off
	s_or_b64 exec, exec, s[14:15]
	s_and_saveexec_b64 s[14:15], s[2:3]
	s_cbranch_execz .LBB151_54
.LBB151_80:
	v_add_u32_e32 v6, v5, v3
	v_mov_b32_e32 v7, 0
	v_cvt_f16_f32_e32 v9, v22
	v_lshlrev_b64 v[6:7], 1, v[6:7]
	s_waitcnt lgkmcnt(0)
	v_mov_b32_e32 v8, s13
	v_add_co_u32_e64 v6, s[6:7], s12, v6
	v_addc_co_u32_e64 v7, s[6:7], v8, v7, s[6:7]
	global_store_short v[6:7], v9, off
	s_or_b64 exec, exec, s[14:15]
	s_and_saveexec_b64 s[14:15], s[4:5]
	s_cbranch_execnz .LBB151_55
	s_branch .LBB151_56
.LBB151_81:
	v_add_u32_e32 v6, v1, v0
	v_mov_b32_e32 v7, 0
	v_cvt_f16_f32_e32 v5, v27
	v_lshlrev_b64 v[6:7], 1, v[6:7]
	s_waitcnt lgkmcnt(0)
	v_mov_b32_e32 v0, s13
	v_add_co_u32_e32 v6, vcc, s12, v6
	v_addc_co_u32_e32 v7, vcc, v0, v7, vcc
	global_store_short v[6:7], v5, off
	s_or_b64 exec, exec, s[6:7]
	s_and_saveexec_b64 s[6:7], s[0:1]
	s_cbranch_execz .LBB151_59
.LBB151_82:
	v_add_u32_e32 v6, v1, v2
	v_mov_b32_e32 v7, 0
	v_cvt_f16_f32_e32 v2, v25
	v_lshlrev_b64 v[6:7], 1, v[6:7]
	s_waitcnt lgkmcnt(0)
	v_mov_b32_e32 v0, s13
	v_add_co_u32_e32 v6, vcc, s12, v6
	v_addc_co_u32_e32 v7, vcc, v0, v7, vcc
	global_store_short v[6:7], v2, off
	s_or_b64 exec, exec, s[6:7]
	s_and_saveexec_b64 s[0:1], s[2:3]
	s_cbranch_execz .LBB151_60
.LBB151_83:
	v_add_u32_e32 v2, v1, v3
	v_mov_b32_e32 v3, 0
	v_cvt_f16_f32_e32 v5, v23
	v_lshlrev_b64 v[2:3], 1, v[2:3]
	s_waitcnt lgkmcnt(0)
	v_mov_b32_e32 v0, s13
	v_add_co_u32_e32 v2, vcc, s12, v2
	v_addc_co_u32_e32 v3, vcc, v0, v3, vcc
	global_store_short v[2:3], v5, off
	s_or_b64 exec, exec, s[0:1]
	s_and_b64 exec, exec, s[4:5]
	s_cbranch_execnz .LBB151_61
	s_branch .LBB151_62
	.section	.rodata,"a",@progbits
	.p2align	6, 0x0
	.amdhsa_kernel _ZL12mul_mat_q4_KIN3c104HalfELb0EEvPKvS3_PT_iiiii
		.amdhsa_group_segment_fixed_size 28752
		.amdhsa_private_segment_fixed_size 44
		.amdhsa_kernarg_size 44
		.amdhsa_user_sgpr_count 6
		.amdhsa_user_sgpr_private_segment_buffer 1
		.amdhsa_user_sgpr_dispatch_ptr 0
		.amdhsa_user_sgpr_queue_ptr 0
		.amdhsa_user_sgpr_kernarg_segment_ptr 1
		.amdhsa_user_sgpr_dispatch_id 0
		.amdhsa_user_sgpr_flat_scratch_init 0
		.amdhsa_user_sgpr_kernarg_preload_length 0
		.amdhsa_user_sgpr_kernarg_preload_offset 0
		.amdhsa_user_sgpr_private_segment_size 0
		.amdhsa_uses_dynamic_stack 0
		.amdhsa_system_sgpr_private_segment_wavefront_offset 1
		.amdhsa_system_sgpr_workgroup_id_x 1
		.amdhsa_system_sgpr_workgroup_id_y 1
		.amdhsa_system_sgpr_workgroup_id_z 0
		.amdhsa_system_sgpr_workgroup_info 0
		.amdhsa_system_vgpr_workitem_id 1
		.amdhsa_next_free_vgpr 256
		.amdhsa_next_free_sgpr 24
		.amdhsa_accum_offset 256
		.amdhsa_reserve_vcc 1
		.amdhsa_reserve_flat_scratch 0
		.amdhsa_float_round_mode_32 0
		.amdhsa_float_round_mode_16_64 0
		.amdhsa_float_denorm_mode_32 3
		.amdhsa_float_denorm_mode_16_64 3
		.amdhsa_dx10_clamp 1
		.amdhsa_ieee_mode 1
		.amdhsa_fp16_overflow 0
		.amdhsa_tg_split 0
		.amdhsa_exception_fp_ieee_invalid_op 0
		.amdhsa_exception_fp_denorm_src 0
		.amdhsa_exception_fp_ieee_div_zero 0
		.amdhsa_exception_fp_ieee_overflow 0
		.amdhsa_exception_fp_ieee_underflow 0
		.amdhsa_exception_fp_ieee_inexact 0
		.amdhsa_exception_int_div_zero 0
	.end_amdhsa_kernel
	.section	.text._ZL12mul_mat_q4_KIN3c104HalfELb0EEvPKvS3_PT_iiiii,"axG",@progbits,_ZL12mul_mat_q4_KIN3c104HalfELb0EEvPKvS3_PT_iiiii,comdat
.Lfunc_end151:
	.size	_ZL12mul_mat_q4_KIN3c104HalfELb0EEvPKvS3_PT_iiiii, .Lfunc_end151-_ZL12mul_mat_q4_KIN3c104HalfELb0EEvPKvS3_PT_iiiii
                                        ; -- End function
	.section	.AMDGPU.csdata,"",@progbits
; Kernel info:
; codeLenInByte = 17424
; NumSgprs: 28
; NumVgprs: 256
; NumAgprs: 0
; TotalNumVgprs: 256
; ScratchSize: 44
; MemoryBound: 0
; FloatMode: 240
; IeeeMode: 1
; LDSByteSize: 28752 bytes/workgroup (compile time only)
; SGPRBlocks: 3
; VGPRBlocks: 31
; NumSGPRsForWavesPerEU: 28
; NumVGPRsForWavesPerEU: 256
; AccumOffset: 256
; Occupancy: 2
; WaveLimiterHint : 0
; COMPUTE_PGM_RSRC2:SCRATCH_EN: 1
; COMPUTE_PGM_RSRC2:USER_SGPR: 6
; COMPUTE_PGM_RSRC2:TRAP_HANDLER: 0
; COMPUTE_PGM_RSRC2:TGID_X_EN: 1
; COMPUTE_PGM_RSRC2:TGID_Y_EN: 1
; COMPUTE_PGM_RSRC2:TGID_Z_EN: 0
; COMPUTE_PGM_RSRC2:TIDIG_COMP_CNT: 1
; COMPUTE_PGM_RSRC3_GFX90A:ACCUM_OFFSET: 63
; COMPUTE_PGM_RSRC3_GFX90A:TG_SPLIT: 0
	.section	.text._ZL12mul_mat_q4_KIN3c104HalfELb1EEvPKvS3_PT_iiiii,"axG",@progbits,_ZL12mul_mat_q4_KIN3c104HalfELb1EEvPKvS3_PT_iiiii,comdat
	.globl	_ZL12mul_mat_q4_KIN3c104HalfELb1EEvPKvS3_PT_iiiii ; -- Begin function _ZL12mul_mat_q4_KIN3c104HalfELb1EEvPKvS3_PT_iiiii
	.p2align	8
	.type	_ZL12mul_mat_q4_KIN3c104HalfELb1EEvPKvS3_PT_iiiii,@function
_ZL12mul_mat_q4_KIN3c104HalfELb1EEvPKvS3_PT_iiiii: ; @_ZL12mul_mat_q4_KIN3c104HalfELb1EEvPKvS3_PT_iiiii
; %bb.0:
	s_mov_b64 s[22:23], s[2:3]
	s_mov_b64 s[20:21], s[0:1]
	s_add_u32 s20, s20, s8
	s_load_dwordx4 s[8:11], s[4:5], 0x18
	s_load_dword s14, s[4:5], 0x28
	s_addc_u32 s21, s21, 0
	s_lshl_b32 s15, s7, 6
	v_bfe_u32 v48, v0, 10, 10
	s_waitcnt lgkmcnt(0)
	s_cmpk_gt_i32 s8, 0xff
	s_cbranch_scc1 .LBB152_2
; %bb.1:
	v_bfe_u32 v1, v0, 10, 10
	v_and_b32_e32 v80, 0x3ff, v0
	v_add_u32_e32 v2, s15, v1
	s_mov_b64 s[0:1], 0
	s_mov_b32 s2, 0
	s_branch .LBB152_3
.LBB152_2:
	s_mov_b64 s[0:1], -1
                                        ; implicit-def: $sgpr2
                                        ; implicit-def: $vgpr1
                                        ; implicit-def: $vgpr80
                                        ; implicit-def: $vgpr2
.LBB152_3:
	s_load_dwordx2 s[12:13], s[4:5], 0x10
	s_lshl_b32 s6, s6, 7
	s_andn2_b64 vcc, exec, s[0:1]
	v_mov_b32_e32 v21, s2
	v_mov_b32_e32 v20, s2
	;; [unrolled: 1-line block ×32, first 2 shown]
	s_cbranch_vccnz .LBB152_11
; %bb.4:
	v_and_b32_e32 v80, 0x3ff, v0
	v_lshlrev_b32_e32 v0, 2, v80
	v_and_b32_e32 v2, 0x7c, v0
	buffer_store_dword v2, off, s[20:23], 0 ; 4-byte Folded Spill
	s_nop 0
	buffer_store_dword v3, off, s[20:23], 0 offset:4 ; 4-byte Folded Spill
	s_load_dwordx4 s[0:3], s[4:5], 0x0
	s_ashr_i32 s4, s8, 31
	s_lshr_b32 s4, s4, 24
	s_add_i32 s4, s8, s4
	s_ashr_i32 s7, s4, 8
	s_ashr_i32 s4, s11, 31
	s_lshr_b32 s4, s4, 27
	s_add_i32 s4, s11, s4
	s_mul_i32 s5, s7, s6
	s_ashr_i32 s4, s4, 5
	s_mul_hi_i32 s16, s5, 0x90
	s_mulk_i32 s5, 0x90
	s_waitcnt lgkmcnt(0)
	s_add_u32 s11, s0, s5
	s_addc_u32 s16, s1, s16
	s_not_b32 s0, s6
	s_add_i32 s5, s0, s9
	v_min_i32_e32 v1, s5, v48
	v_mul_lo_u32 v2, v1, s7
	s_movk_i32 s1, 0x84
	v_mad_u64_u32 v[56:57], s[18:19], v1, s1, v[0:1]
	v_add_u32_e32 v1, 8, v48
	v_add_u32_e32 v7, 24, v48
	;; [unrolled: 1-line block ×6, first 2 shown]
	v_lshlrev_b32_e32 v57, 5, v48
	s_movk_i32 s9, 0x6e40
	v_and_b32_e32 v6, 4, v0
	v_and_b32_e32 v20, 28, v0
	s_movk_i32 s17, 0x6200
	v_add_u32_e32 v22, s15, v48
	v_and_b32_e32 v19, 31, v80
	v_lshlrev_b32_e32 v77, 5, v1
	v_lshlrev_b32_e32 v89, 5, v7
	;; [unrolled: 1-line block ×4, first 2 shown]
	v_lshrrev_b32_e32 v24, 5, v80
	s_mov_b32 s0, 0
	v_mad_u32_u24 v153, v80, s1, 64
	v_mov_b32_e32 v21, s3
	v_lshrrev_b32_e32 v76, 3, v80
	s_movk_i32 s8, 0x90
	v_mov_b32_e32 v72, v24
	v_lshlrev_b32_e32 v168, 4, v80
	v_lshlrev_b32_e32 v172, 2, v76
	;; [unrolled: 1-line block ×3, first 2 shown]
	buffer_store_dword v2, off, s[20:23], 0 offset:8 ; 4-byte Folded Spill
	s_nop 0
	buffer_store_dword v3, off, s[20:23], 0 offset:12 ; 4-byte Folded Spill
	v_min_i32_e32 v2, s5, v1
	v_mul_lo_u32 v4, v2, s7
	buffer_store_dword v4, off, s[20:23], 0 offset:16 ; 4-byte Folded Spill
	s_nop 0
	buffer_store_dword v5, off, s[20:23], 0 offset:20 ; 4-byte Folded Spill
	v_add_u32_e32 v5, 16, v48
	v_mad_u64_u32 v[62:63], s[18:19], v2, s1, v[0:1]
	v_min_i32_e32 v2, s5, v5
	v_mul_lo_u32 v4, v2, s7
	buffer_store_dword v4, off, s[20:23], 0 offset:24 ; 4-byte Folded Spill
	s_nop 0
	buffer_store_dword v5, off, s[20:23], 0 offset:28 ; 4-byte Folded Spill
	v_mad_u64_u32 v[66:67], s[18:19], v2, s1, v[0:1]
	v_min_i32_e32 v2, s5, v7
	v_mul_lo_u32 v4, v2, s7
	v_mad_u64_u32 v[70:71], s[18:19], v2, s1, v[0:1]
	v_min_i32_e32 v2, s5, v10
	v_mad_u64_u32 v[74:75], s[18:19], v2, s1, v[0:1]
	buffer_store_dword v4, off, s[20:23], 0 offset:32 ; 4-byte Folded Spill
	s_nop 0
	buffer_store_dword v5, off, s[20:23], 0 offset:36 ; 4-byte Folded Spill
	v_mul_lo_u32 v4, v2, s7
	v_min_i32_e32 v2, s5, v11
	v_mad_u64_u32 v[78:79], s[18:19], v2, s1, v[0:1]
	buffer_store_dword v4, off, s[20:23], 0 offset:40 ; 4-byte Folded Spill
	s_nop 0
	buffer_store_dword v5, off, s[20:23], 0 offset:44 ; 4-byte Folded Spill
	v_mul_lo_u32 v4, v2, s7
	;; [unrolled: 6-line block ×4, first 2 shown]
	v_add_u32_e32 v2, 64, v48
	v_min_i32_e32 v2, s5, v2
	v_mul_lo_u32 v88, v2, s7
	v_mad_u64_u32 v[90:91], s[18:19], v2, s1, v[0:1]
	v_add_u32_e32 v2, 0x48, v48
	v_min_i32_e32 v2, s5, v2
	v_mul_lo_u32 v92, v2, s7
	v_mad_u64_u32 v[94:95], s[18:19], v2, s1, v[0:1]
	;; [unrolled: 4-line block ×8, first 2 shown]
	v_add_u32_e32 v2, v57, v80
	v_and_b32_e32 v2, 0x7f, v2
	v_min_i32_e32 v2, s5, v2
	v_ashrrev_i32_e32 v3, 31, v2
	v_lshrrev_b32_e32 v3, 27, v3
	v_add_u32_e32 v3, v2, v3
	v_ashrrev_i32_e32 v3, 5, v3
	v_mul_lo_u32 v120, v2, s7
	v_lshlrev_b32_e32 v3, 2, v3
	v_lshlrev_b32_e32 v2, 2, v2
	v_add3_u32 v73, v3, v2, s9
	v_lshrrev_b32_e32 v2, 2, v80
	v_lshl_add_u32 v3, v48, 3, v2
	v_and_b32_e32 v2, 3, v80
	v_cmp_gt_u32_e32 vcc, 2, v2
	v_lshlrev_b32_e32 v15, 2, v2
	v_or_b32_e32 v1, v77, v19
	v_lshlrev_b32_e32 v95, 5, v10
	v_lshlrev_b32_e32 v107, 5, v12
	buffer_store_dword v4, off, s[20:23], 0 offset:64 ; 4-byte Folded Spill
	s_nop 0
	buffer_store_dword v5, off, s[20:23], 0 offset:68 ; 4-byte Folded Spill
	v_add_u32_e32 v4, 0xfe, v2
	v_cndmask_b32_e32 v4, v4, v2, vcc
	v_and_b32_e32 v8, 0xff, v4
	v_cmp_ne_u32_e32 vcc, 0, v2
	v_addc_co_u32_e32 v4, vcc, 0, v8, vcc
	v_lshlrev_b32_e32 v65, 1, v8
	v_and_b32_e32 v8, 0x7f, v3
	v_min_i32_e32 v9, s5, v8
	v_ashrrev_i32_e32 v14, 31, v9
	v_xor_b32_e32 v8, 64, v8
	v_lshrrev_b32_e32 v14, 29, v14
	v_min_i32_e32 v8, s5, v8
	v_mul_lo_u32 v122, v9, s7
	v_add_u32_e32 v14, v9, v14
	v_lshlrev_b32_e32 v16, 4, v9
	v_ashrrev_i32_e32 v9, 31, v8
	v_cmp_lt_u32_e32 vcc, 1, v2
	v_lshrrev_b32_e32 v9, 29, v9
	v_and_b32_e32 v3, 63, v3
	v_cndmask_b32_e32 v63, 0, v6, vcc
	v_cndmask_b32_e64 v6, 0, 1, vcc
	v_add_u32_e32 v9, v8, v9
	s_add_i32 s5, s10, -1
	v_add_co_u32_e32 v126, vcc, s2, v20
	v_or_b32_e32 v20, s15, v3
	v_ashrrev_i32_e32 v9, 3, v9
	v_min_i32_e32 v20, s5, v20
	v_lshlrev_b32_e32 v9, 2, v9
	v_mad_u64_u32 v[128:129], s[18:19], v20, s4, v[2:3]
	v_lshl_or_b32 v2, v3, 4, v15
	v_mul_lo_u32 v124, v8, s7
	v_add3_u32 v17, v9, v15, s17
	v_lshlrev_b32_e32 v18, 4, v8
	v_cvt_f64_i32_e32 v[8:9], s5
	v_add_u32_e32 v67, 0x6a40, v2
	v_cvt_f64_u32_e32 v[2:3], v22
	v_ashrrev_i32_e32 v14, 3, v14
	v_min_f64 v[2:3], v[2:3], v[8:9]
	v_lshlrev_b32_e32 v14, 2, v14
	v_cvt_i32_f64_e32 v2, v[2:3]
	v_add3_u32 v14, v14, v15, s17
	v_mul_lo_u32 v71, s4, v2
	v_or_b32_e32 v2, v57, v19
	v_mov_b32_e32 v15, 0x4200
	v_lshl_add_u32 v84, v2, 2, v15
	v_add_u32_e32 v2, 8, v22
	v_cvt_f64_u32_e32 v[2:3], v2
	v_min_f64 v[2:3], v[2:3], v[8:9]
	v_cvt_i32_f64_e32 v2, v[2:3]
	v_lshl_add_u32 v79, v1, 2, v15
	v_add_u32_e32 v1, 16, v22
	v_mul_lo_u32 v75, s4, v2
	v_cvt_f64_u32_e32 v[2:3], v1
	v_min_f64 v[2:3], v[2:3], v[8:9]
	v_cvt_i32_f64_e32 v1, v[2:3]
	v_mul_lo_u32 v81, s4, v1
	v_addc_co_u32_e32 v127, vcc, 0, v21, vcc
	buffer_store_dword v22, off, s[20:23], 0 offset:76 ; 4-byte Folded Spill
	v_mul_u32_u24_e32 v129, 0x84, v80
	v_lshl_add_u32 v157, v48, 7, v15
	v_lshlrev_b32_e32 v173, 2, v4
	v_lshlrev_b32_e32 v174, 2, v6
	v_add_u32_e32 v175, v14, v16
	v_add_u32_e32 v176, v17, v18
	buffer_store_dword v48, off, s[20:23], 0 offset:72 ; 4-byte Folded Spill
	v_lshlrev_b32_e32 v83, 5, v5
	v_or_b32_e32 v1, v83, v19
	v_lshl_add_u32 v85, v1, 2, v15
	v_add_u32_e32 v1, 24, v22
	v_cvt_f64_u32_e32 v[2:3], v1
	v_min_f64 v[2:3], v[2:3], v[8:9]
	v_cvt_i32_f64_e32 v1, v[2:3]
	v_mul_lo_u32 v87, s4, v1
	v_or_b32_e32 v1, v89, v19
	v_lshl_add_u32 v91, v1, 2, v15
	v_add_u32_e32 v1, 32, v22
	v_cvt_f64_u32_e32 v[2:3], v1
	v_min_f64 v[2:3], v[2:3], v[8:9]
	v_cvt_i32_f64_e32 v1, v[2:3]
	v_mul_lo_u32 v93, s4, v1
	v_or_b32_e32 v1, v95, v19
	v_lshl_add_u32 v97, v1, 2, v15
	v_add_u32_e32 v1, 40, v22
	v_cvt_f64_u32_e32 v[2:3], v1
	v_min_f64 v[2:3], v[2:3], v[8:9]
	v_cvt_i32_f64_e32 v1, v[2:3]
	v_mul_lo_u32 v99, s4, v1
	v_or_b32_e32 v1, v101, v19
	v_lshl_add_u32 v103, v1, 2, v15
	v_add_u32_e32 v1, 48, v22
	v_cvt_f64_u32_e32 v[2:3], v1
	v_min_f64 v[2:3], v[2:3], v[8:9]
	v_cvt_i32_f64_e32 v1, v[2:3]
	v_mul_lo_u32 v105, s4, v1
	v_or_b32_e32 v1, v107, v19
	v_lshl_add_u32 v109, v1, 2, v15
	v_add_u32_e32 v1, 56, v22
	v_cvt_f64_u32_e32 v[2:3], v1
	v_min_f64 v[2:3], v[2:3], v[8:9]
	v_cvt_i32_f64_e32 v1, v[2:3]
	v_mul_lo_u32 v111, s4, v1
	v_or_b32_e32 v1, v113, v19
	v_lshl_add_u32 v115, v1, 2, v15
	v_lshlrev_b32_e32 v1, 2, v24
	v_add3_u32 v117, v1, v0, s9
	v_add_u32_e32 v1, 32, v80
	v_lshrrev_b32_e32 v119, 3, v1
	v_lshlrev_b32_e32 v2, 2, v1
	v_and_b32_e32 v1, 60, v119
	v_add3_u32 v121, v0, v1, s9
	v_add_u32_e32 v1, 64, v80
	v_lshlrev_b32_e32 v3, 2, v1
	v_lshrrev_b32_e32 v1, 3, v1
	v_and_b32_e32 v5, 60, v1
	v_add3_u32 v123, v0, v5, s9
	v_add_u32_e32 v5, 0x60, v80
	v_lshlrev_b32_e32 v7, 2, v5
	v_lshrrev_b32_e32 v5, 3, v5
	v_and_b32_e32 v8, 60, v5
	v_add3_u32 v125, v0, v8, s9
	v_mov_b32_e32 v8, 0x1080
	v_mad_u32_u24 v147, v80, s1, v8
	v_mov_b32_e32 v8, 0x2100
	v_mad_u32_u24 v149, v80, s1, v8
	;; [unrolled: 2-line block ×3, first 2 shown]
	s_mov_b32 s1, s0
	v_mov_b32_e32 v8, 0x6a40
	v_pk_mov_b32 v[60:61], s[0:1], s[0:1] op_sel:[0,1]
	v_lshl_add_u32 v155, v48, 4, v8
	v_lshlrev_b32_e32 v169, 2, v5
	v_lshlrev_b32_e32 v170, 2, v1
	v_lshlrev_b32_e32 v171, 2, v119
	s_mov_b32 s1, 0x30303030
	v_lshlrev_b32_e32 v177, 2, v2
	v_lshlrev_b32_e32 v178, 2, v3
	;; [unrolled: 1-line block ×3, first 2 shown]
	v_pk_mov_b32 v[42:43], v[60:61], v[60:61] op_sel:[0,1]
	v_pk_mov_b32 v[34:35], v[60:61], v[60:61] op_sel:[0,1]
	;; [unrolled: 1-line block ×15, first 2 shown]
.LBB152_5:                              ; =>This Loop Header: Depth=1
                                        ;     Child Loop BB152_6 Depth 2
                                        ;     Child Loop BB152_8 Depth 2
	buffer_load_dword v4, off, s[20:23], 0  ; 4-byte Folded Reload
	buffer_load_dword v5, off, s[20:23], 0 offset:4 ; 4-byte Folded Reload
	s_mul_i32 s4, s0, 0x90
	s_mul_hi_u32 s5, s0, 0x90
	s_add_u32 s4, s11, s4
	s_addc_u32 s5, s16, s5
	v_pk_mov_b32 v[0:1], s[4:5], s[4:5] op_sel:[0,1]
	v_mad_u64_u32 v[2:3], s[4:5], v72, s8, v[0:1]
	s_lshl_b32 s9, s0, 3
	v_add_u32_e32 v143, s9, v128
	s_mov_b32 s18, 0
	s_waitcnt vmcnt(1)
	v_add_co_u32_e32 v2, vcc, v2, v4
	buffer_load_dword v4, off, s[20:23], 0 offset:8 ; 4-byte Folded Reload
	buffer_load_dword v5, off, s[20:23], 0 offset:12 ; 4-byte Folded Reload
	;; [unrolled: 1-line block ×16, first 2 shown]
	v_addc_co_u32_e32 v3, vcc, 0, v3, vcc
	v_add_co_u32_e32 v2, vcc, 16, v2
	v_addc_co_u32_e32 v3, vcc, 0, v3, vcc
	s_waitcnt vmcnt(14)
	v_mad_i64_i32 v[4:5], s[4:5], v4, s8, v[2:3]
	s_waitcnt vmcnt(12)
	v_mad_i64_i32 v[6:7], s[4:5], v6, s8, v[2:3]
	s_waitcnt vmcnt(10)
	v_mad_i64_i32 v[8:9], s[4:5], v8, s8, v[2:3]
	s_waitcnt vmcnt(2)
	v_mad_i64_i32 v[16:17], s[4:5], v16, s8, v[2:3]
	s_waitcnt vmcnt(0)
	v_mad_i64_i32 v[18:19], s[4:5], v18, s8, v[2:3]
	v_mad_i64_i32 v[10:11], s[4:5], v10, s8, v[2:3]
	v_mad_i64_i32 v[12:13], s[4:5], v12, s8, v[2:3]
	;; [unrolled: 1-line block ×3, first 2 shown]
	global_load_dword v48, v[4:5], off
	global_load_dword v49, v[6:7], off
	;; [unrolled: 1-line block ×7, first 2 shown]
	s_nop 0
	global_load_dword v18, v[18:19], off
	v_mad_i64_i32 v[4:5], s[4:5], v88, s8, v[2:3]
	v_mad_i64_i32 v[16:17], s[4:5], v112, s8, v[2:3]
	;; [unrolled: 1-line block ×8, first 2 shown]
	global_load_dword v19, v[4:5], off
	global_load_dword v59, v[6:7], off
	;; [unrolled: 1-line block ×6, first 2 shown]
	s_nop 0
	global_load_dword v16, v[16:17], off
	s_nop 0
	global_load_dword v17, v[2:3], off
	v_mad_i64_i32 v[4:5], s[4:5], v122, s8, v[0:1]
	v_add_co_u32_e32 v6, vcc, 4, v4
	v_addc_co_u32_e32 v7, vcc, 0, v5, vcc
	v_add_co_u32_e32 v4, vcc, v6, v173
	v_addc_co_u32_e32 v5, vcc, 0, v7, vcc
	v_add_co_u32_e32 v6, vcc, v6, v174
	v_mad_i64_i32 v[2:3], s[4:5], v120, s8, v[0:1]
	v_addc_co_u32_e32 v7, vcc, 0, v7, vcc
	v_mad_i64_i32 v[0:1], s[4:5], v124, s8, v[0:1]
	v_add_co_u32_e32 v8, vcc, 4, v0
	v_addc_co_u32_e32 v9, vcc, 0, v1, vcc
	v_add_co_u32_e32 v0, vcc, v8, v173
	v_addc_co_u32_e32 v1, vcc, 0, v9, vcc
	;; [unrolled: 2-line block ×3, first 2 shown]
	global_load_dword v131, v[2:3], off
	global_load_dword v132, v[4:5], off
	global_load_dword v133, v[6:7], off
	global_load_dword v134, v[0:1], off
	global_load_dword v135, v[8:9], off
	v_add_u32_e32 v14, s9, v76
	v_add_u32_e32 v0, v14, v71
	;; [unrolled: 1-line block ×6, first 2 shown]
	v_mad_i64_i32 v[0:1], s[4:5], v0, 36, v[126:127]
	v_mad_i64_i32 v[2:3], s[4:5], v2, 36, v[126:127]
	;; [unrolled: 1-line block ×5, first 2 shown]
	v_add_u32_e32 v10, v14, v99
	v_add_u32_e32 v12, v14, v105
	;; [unrolled: 1-line block ×3, first 2 shown]
	v_mad_i64_i32 v[10:11], s[4:5], v10, 36, v[126:127]
	v_mad_i64_i32 v[12:13], s[4:5], v12, 36, v[126:127]
	;; [unrolled: 1-line block ×3, first 2 shown]
	global_load_dword v136, v[0:1], off offset:4
	s_nop 0
	global_load_dword v2, v[2:3], off offset:4
	s_nop 0
	;; [unrolled: 2-line block ×3, first 2 shown]
	global_load_dword v4, v[6:7], off offset:4
	global_load_dword v5, v[8:9], off offset:4
	s_nop 0
	global_load_dword v6, v[10:11], off offset:4
	global_load_dword v7, v[12:13], off offset:4
	;; [unrolled: 1-line block ×3, first 2 shown]
	v_mad_u64_u32 v[0:1], s[4:5], v143, 36, s[2:3]
	global_load_dword v0, v[0:1], off
	s_waitcnt vmcnt(29)
	ds_write_b32 v56, v48
	s_waitcnt vmcnt(28)
	ds_write_b32 v62, v49
	;; [unrolled: 2-line block ×17, first 2 shown]
	s_waitcnt vmcnt(12)
	v_ashrrev_i32_e32 v1, v63, v132
	v_and_b32_e32 v1, 0xf0f0f0f, v1
	s_waitcnt vmcnt(11)
	v_ashrrev_i32_e32 v9, v65, v133
	v_and_or_b32 v1, v9, s1, v1
	ds_write_b32 v175, v1
	s_waitcnt vmcnt(10)
	v_ashrrev_i32_e32 v1, v63, v134
	v_and_b32_e32 v1, 0xf0f0f0f, v1
	s_waitcnt vmcnt(9)
	v_ashrrev_i32_e32 v9, v65, v135
	v_and_or_b32 v1, v9, s1, v1
	ds_write_b32 v176, v1
	s_waitcnt vmcnt(8)
	ds_write_b32 v84, v136
	s_waitcnt vmcnt(7)
	;; [unrolled: 2-line block ×9, first 2 shown]
	ds_write_b32 v67, v0
	s_waitcnt lgkmcnt(0)
	s_barrier
	ds_read_b32 v0, v117
	ds_read_b32 v1, v121 offset:128
	ds_read_b32 v2, v123 offset:256
	;; [unrolled: 1-line block ×3, first 2 shown]
	s_mov_b64 s[4:5], -1
	s_waitcnt lgkmcnt(3)
	v_cvt_f32_f16_e32 v16, v0
	v_cvt_f32_f16_sdwa v18, v0 dst_sel:DWORD dst_unused:UNUSED_PAD src0_sel:WORD_1
	s_waitcnt lgkmcnt(2)
	v_cvt_f32_f16_e32 v130, v1
	v_cvt_f32_f16_sdwa v132, v1 dst_sel:DWORD dst_unused:UNUSED_PAD src0_sel:WORD_1
	;; [unrolled: 3-line block ×4, first 2 shown]
	v_mov_b32_e32 v17, v16
	v_mov_b32_e32 v19, v18
	;; [unrolled: 1-line block ×8, first 2 shown]
.LBB152_6:                              ;   Parent Loop BB152_5 Depth=1
                                        ; =>  This Inner Loop Header: Depth=2
	s_lshl_b32 s17, s18, 1
	s_lshr_b32 s19, s18, 2
	v_or_b32_e32 v0, s17, v57
	s_lshl_b32 s18, s18, 2
	v_lshlrev_b32_e32 v1, 2, v0
	v_add_u32_e32 v49, s18, v129
	v_lshrrev_b32_e32 v48, 1, v0
	ds_read_b128 v[12:15], v1 offset:16896
	ds_read_b128 v[8:11], v1 offset:16912
	;; [unrolled: 1-line block ×4, first 2 shown]
	ds_read_b64 v[158:159], v48 offset:27200
	ds_read2_b32 v[52:53], v49 offset1:1
	ds_read2_b32 v[54:55], v49 offset0:2 offset1:3
	ds_read2_b32 v[144:145], v49 offset0:4 offset1:5
	;; [unrolled: 1-line block ×3, first 2 shown]
	s_addk_i32 s19, 0x6200
	s_waitcnt lgkmcnt(3)
	v_and_b32_e32 v193, 0xf0f0f0f, v52
	v_lshrrev_b32_e32 v52, 4, v52
	v_add3_u32 v48, s19, v172, v180
	v_and_b32_e32 v192, 0xf0f0f0f, v52
	v_lshrrev_b32_e32 v52, 4, v53
	ds_read_u16 v49, v48
	ds_read_u8 v58, v48 offset:8
	ds_read_u8 v48, v48 offset:9
	v_and_b32_e32 v212, 0xf0f0f0f, v52
	s_waitcnt lgkmcnt(5)
	v_lshrrev_b32_e32 v52, 4, v54
	v_and_b32_e32 v213, 0xf0f0f0f, v52
	v_lshrrev_b32_e32 v52, 4, v55
	v_and_b32_e32 v214, 0xf0f0f0f, v52
	s_waitcnt lgkmcnt(4)
	v_lshrrev_b32_e32 v52, 4, v144
	v_and_b32_e32 v215, 0xf0f0f0f, v52
	v_lshrrev_b32_e32 v52, 4, v145
	s_waitcnt lgkmcnt(2)
	v_and_b32_e32 v191, 0xff, v49
	v_and_b32_e32 v216, 0xf0f0f0f, v52
	v_lshrrev_b32_e32 v52, 4, v160
	v_lshrrev_b16_e32 v211, 8, v49
	v_add_u32_e32 v49, s18, v147
	v_and_b32_e32 v195, 0xf0f0f0f, v54
	v_and_b32_e32 v196, 0xf0f0f0f, v55
	;; [unrolled: 1-line block ×3, first 2 shown]
	v_lshrrev_b32_e32 v52, 4, v161
	s_waitcnt lgkmcnt(0)
	v_cvt_f32_ubyte0_e32 v150, v48
	v_add3_u32 v48, s19, v171, v177
	ds_read2_b32 v[54:55], v49 offset1:1
	v_and_b32_e32 v197, 0xf0f0f0f, v144
	v_and_b32_e32 v198, 0xf0f0f0f, v145
	ds_read2_b32 v[144:145], v49 offset0:2 offset1:3
	v_and_b32_e32 v199, 0xf0f0f0f, v160
	v_and_b32_e32 v200, 0xf0f0f0f, v161
	ds_read2_b32 v[160:161], v49 offset0:4 offset1:5
	ds_read2_b32 v[162:163], v49 offset0:6 offset1:7
	v_and_b32_e32 v218, 0xf0f0f0f, v52
	ds_read_u16 v49, v48
	ds_read_u8 v52, v48 offset:8
	ds_read_u8 v48, v48 offset:9
	s_waitcnt lgkmcnt(5)
	v_and_b32_e32 v205, 0xf0f0f0f, v144
	v_and_b32_e32 v206, 0xf0f0f0f, v145
	s_waitcnt lgkmcnt(2)
	v_and_b32_e32 v201, 0xff, v49
	s_waitcnt lgkmcnt(1)
	v_cvt_f32_ubyte0_e32 v148, v52
	v_lshrrev_b32_e32 v52, 4, v54
	v_and_b32_e32 v202, 0xf0f0f0f, v52
	v_lshrrev_b32_e32 v52, 4, v55
	v_and_b32_e32 v221, 0xf0f0f0f, v52
	;; [unrolled: 2-line block ×6, first 2 shown]
	v_lshrrev_b32_e32 v52, 4, v162
	v_lshrrev_b16_e32 v225, 8, v49
	v_add_u32_e32 v49, s18, v149
	v_and_b32_e32 v228, 0xf0f0f0f, v52
	v_lshrrev_b32_e32 v52, 4, v163
	s_waitcnt lgkmcnt(0)
	v_cvt_f32_ubyte0_e32 v154, v48
	v_add3_u32 v48, s19, v170, v178
	ds_read2_b32 v[144:145], v49 offset1:1
	v_and_b32_e32 v207, 0xf0f0f0f, v160
	v_and_b32_e32 v208, 0xf0f0f0f, v161
	ds_read2_b32 v[160:161], v49 offset0:2 offset1:3
	v_and_b32_e32 v209, 0xf0f0f0f, v162
	v_and_b32_e32 v210, 0xf0f0f0f, v163
	ds_read2_b32 v[162:163], v49 offset0:4 offset1:5
	ds_read2_b32 v[164:165], v49 offset0:6 offset1:7
	v_and_b32_e32 v229, 0xf0f0f0f, v52
	ds_read_u16 v49, v48
	ds_read_u8 v52, v48 offset:8
	ds_read_u8 v48, v48 offset:9
	s_waitcnt lgkmcnt(5)
	v_and_b32_e32 v231, 0xf0f0f0f, v160
	v_and_b32_e32 v232, 0xf0f0f0f, v161
	s_waitcnt lgkmcnt(2)
	v_and_b32_e32 v219, 0xff, v49
	s_waitcnt lgkmcnt(1)
	v_cvt_f32_ubyte0_e32 v152, v52
	v_lshrrev_b32_e32 v52, 4, v144
	v_and_b32_e32 v220, 0xf0f0f0f, v52
	v_lshrrev_b32_e32 v52, 4, v145
	v_and_b32_e32 v237, 0xf0f0f0f, v52
	v_lshrrev_b32_e32 v52, 4, v160
	v_lshrrev_b16_e32 v241, 8, v49
	v_add_u32_e32 v49, s18, v151
	v_and_b32_e32 v238, 0xf0f0f0f, v52
	v_lshrrev_b32_e32 v52, 4, v161
	ds_read2_b32 v[160:161], v49 offset1:1
	v_and_b32_e32 v239, 0xf0f0f0f, v52
	v_lshrrev_b32_e32 v52, 4, v162
	v_and_b32_e32 v240, 0xf0f0f0f, v52
	v_lshrrev_b32_e32 v52, 4, v163
	;; [unrolled: 2-line block ×4, first 2 shown]
	v_mov_b32_e32 v252, 0
	v_and_b32_e32 v190, 0xf0f0f0f, v54
	v_mov_b32_e32 v253, 0
	v_and_b32_e32 v203, 0xf0f0f0f, v144
	;; [unrolled: 2-line block ×3, first 2 shown]
	s_waitcnt lgkmcnt(0)
	v_and_b32_e32 v226, 0xf0f0f0f, v160
	v_mov_b32_e32 v52, 0
	v_dot4c_i32_i8_e32 v252, v193, v12
	v_and_b32_e32 v194, 0xf0f0f0f, v53
	v_dot4c_i32_i8_e32 v253, v190, v12
	v_and_b32_e32 v204, 0xf0f0f0f, v55
	;; [unrolled: 2-line block ×4, first 2 shown]
	v_dot4c_i32_i8_e32 v252, v194, v13
	v_dot4c_i32_i8_e32 v253, v204, v13
	;; [unrolled: 1-line block ×4, first 2 shown]
	ds_read2_b32 v[12:13], v49 offset0:2 offset1:3
	v_dot4c_i32_i8_e32 v252, v195, v14
	v_dot4c_i32_i8_e32 v253, v205, v14
	;; [unrolled: 1-line block ×4, first 2 shown]
	s_waitcnt lgkmcnt(0)
	v_and_b32_e32 v246, 0xf0f0f0f, v12
	v_dot4c_i32_i8_e32 v52, v246, v14
	v_and_b32_e32 v247, 0xf0f0f0f, v13
	v_dot4c_i32_i8_e32 v253, v206, v15
	v_dot4c_i32_i8_e32 v255, v232, v15
	;; [unrolled: 1-line block ×3, first 2 shown]
	ds_read2_b32 v[14:15], v49 offset0:4 offset1:5
	v_and_b32_e32 v233, 0xf0f0f0f, v162
	v_dot4c_i32_i8_e32 v252, v197, v8
	v_dot4c_i32_i8_e32 v253, v207, v8
	;; [unrolled: 1-line block ×3, first 2 shown]
	s_waitcnt lgkmcnt(0)
	v_and_b32_e32 v248, 0xf0f0f0f, v14
	v_and_b32_e32 v234, 0xf0f0f0f, v163
	v_dot4c_i32_i8_e32 v52, v248, v8
	v_and_b32_e32 v249, 0xf0f0f0f, v15
	v_dot4c_i32_i8_e32 v252, v198, v9
	v_dot4c_i32_i8_e32 v253, v208, v9
	;; [unrolled: 1-line block ×4, first 2 shown]
	ds_read2_b32 v[8:9], v49 offset0:6 offset1:7
	v_and_b32_e32 v235, 0xf0f0f0f, v164
	v_dot4c_i32_i8_e32 v252, v199, v10
	v_dot4c_i32_i8_e32 v253, v209, v10
	;; [unrolled: 1-line block ×3, first 2 shown]
	s_waitcnt lgkmcnt(0)
	v_and_b32_e32 v250, 0xf0f0f0f, v8
	v_and_b32_e32 v236, 0xf0f0f0f, v165
	v_cvt_f32_ubyte0_e32 v156, v48
	v_add3_u32 v48, s19, v169, v179
	v_dot4c_i32_i8_e32 v52, v250, v10
	v_and_b32_e32 v251, 0xf0f0f0f, v9
	v_dot4c_i32_i8_e32 v252, v200, v11
	v_dot4c_i32_i8_e32 v253, v210, v11
	;; [unrolled: 1-line block ×4, first 2 shown]
	ds_read_u16 v10, v48
	ds_read_u8 v11, v48 offset:8
	ds_read_u8 v48, v48 offset:9
	v_mov_b32_e32 v254, 0
	v_mov_b32_e32 v53, 0
	;; [unrolled: 1-line block ×3, first 2 shown]
	s_waitcnt lgkmcnt(1)
	v_cvt_f32_ubyte0_e32 v144, v11
	v_lshrrev_b32_e32 v11, 4, v160
	v_and_b32_e32 v188, 0xf0f0f0f, v11
	v_mov_b32_e32 v54, 0
	v_dot4c_i32_i8_e32 v254, v192, v4
	v_dot4c_i32_i8_e32 v53, v202, v4
	v_dot4c_i32_i8_e32 v55, v220, v4
	v_dot4c_i32_i8_e32 v54, v188, v4
	v_lshrrev_b32_e32 v4, 4, v161
	v_and_b32_e32 v189, 0xf0f0f0f, v4
	v_lshrrev_b32_e32 v4, 4, v12
	v_dot4c_i32_i8_e32 v254, v212, v5
	v_dot4c_i32_i8_e32 v53, v221, v5
	v_dot4c_i32_i8_e32 v55, v237, v5
	v_dot4c_i32_i8_e32 v54, v189, v5
	v_and_b32_e32 v187, 0xf0f0f0f, v4
	v_lshrrev_b32_e32 v4, 4, v13
	v_dot4c_i32_i8_e32 v254, v213, v6
	v_dot4c_i32_i8_e32 v53, v222, v6
	v_dot4c_i32_i8_e32 v55, v238, v6
	v_dot4c_i32_i8_e32 v54, v187, v6
	;; [unrolled: 6-line block ×3, first 2 shown]
	v_and_b32_e32 v183, 0xf0f0f0f, v4
	v_dot4c_i32_i8_e32 v254, v215, v0
	v_dot4c_i32_i8_e32 v53, v224, v0
	;; [unrolled: 1-line block ×4, first 2 shown]
	v_lshrrev_b32_e32 v0, 4, v15
	v_and_b32_e32 v184, 0xf0f0f0f, v0
	v_lshrrev_b32_e32 v0, 4, v8
	v_and_b32_e32 v185, 0xf0f0f0f, v0
	v_lshrrev_b32_e32 v0, 4, v9
	v_dot4c_i32_i8_e32 v254, v216, v1
	v_dot4c_i32_i8_e32 v53, v227, v1
	;; [unrolled: 1-line block ×4, first 2 shown]
	v_and_b32_e32 v186, 0xf0f0f0f, v0
	v_or_b32_e32 v0, s17, v77
	v_dot4c_i32_i8_e32 v254, v217, v2
	v_dot4c_i32_i8_e32 v53, v228, v2
	;; [unrolled: 1-line block ×4, first 2 shown]
	s_waitcnt lgkmcnt(0)
	v_cvt_f32_ubyte0_e32 v142, v48
	v_lshlrev_b32_e32 v1, 2, v0
	v_lshrrev_b32_e32 v48, 1, v0
	v_dot4c_i32_i8_e32 v254, v218, v3
	v_dot4c_i32_i8_e32 v53, v229, v3
	;; [unrolled: 1-line block ×3, first 2 shown]
	v_and_b32_e32 v145, 0xff, v10
	v_dot4c_i32_i8_e32 v54, v186, v3
	v_lshrrev_b16_e32 v181, 8, v10
	ds_read_b128 v[12:15], v1 offset:16896
	ds_read_b128 v[8:11], v1 offset:16912
	ds_read_b128 v[4:7], v1 offset:16928
	ds_read_b128 v[0:3], v1 offset:16944
	ds_read_b64 v[162:163], v48 offset:27200
	v_mov_b32_e32 v48, 0
	s_waitcnt lgkmcnt(4)
	v_dot4c_i32_i8_e32 v48, v193, v12
	v_dot4c_i32_i8_e32 v48, v194, v13
	;; [unrolled: 1-line block ×4, first 2 shown]
	s_waitcnt lgkmcnt(3)
	v_dot4c_i32_i8_e32 v48, v197, v8
	v_mov_b32_e32 v49, 0
	v_dot4c_i32_i8_e32 v48, v198, v9
	s_waitcnt lgkmcnt(2)
	v_dot4c_i32_i8_e32 v49, v192, v4
	v_dot4c_i32_i8_e32 v48, v199, v10
	;; [unrolled: 1-line block ×6, first 2 shown]
	s_waitcnt lgkmcnt(1)
	v_dot4c_i32_i8_e32 v49, v215, v0
	v_mul_lo_u32 v48, v48, v191
	s_waitcnt lgkmcnt(0)
	v_cvt_f32_f16_e32 v165, v162
	v_cvt_f32_f16_sdwa v167, v162 dst_sel:DWORD dst_unused:UNUSED_PAD src0_sel:WORD_1
	v_cvt_f32_f16_e32 v160, v159
	v_cvt_f32_f16_sdwa v162, v159 dst_sel:DWORD dst_unused:UNUSED_PAD src0_sel:WORD_1
	v_cvt_f32_i32_e32 v159, v48
	v_mul_lo_u32 v48, v254, v211
	v_dot4c_i32_i8_e32 v49, v216, v1
	v_cvt_f32_i32_e32 v68, v48
	v_mov_b32_e32 v48, 0
	v_dot4c_i32_i8_e32 v49, v217, v2
	v_dot4c_i32_i8_e32 v48, v190, v12
	v_cvt_f32_ubyte0_e32 v146, v58
	v_dot4c_i32_i8_e32 v49, v218, v3
	v_cvt_f32_f16_sdwa v166, v158 dst_sel:DWORD dst_unused:UNUSED_PAD src0_sel:WORD_1
	v_mul_lo_u32 v58, v252, v191
	v_dot4c_i32_i8_e32 v48, v204, v13
	v_cvt_f32_f16_e32 v164, v158
	v_cvt_f32_f16_e32 v161, v163
	v_cvt_f32_f16_sdwa v163, v163 dst_sel:DWORD dst_unused:UNUSED_PAD src0_sel:WORD_1
	v_cvt_f32_i32_e32 v158, v58
	v_mul_lo_u32 v49, v49, v211
	v_dot4c_i32_i8_e32 v48, v205, v14
	v_cvt_f32_i32_e32 v69, v49
	v_dot4c_i32_i8_e32 v48, v206, v15
	v_dot4c_i32_i8_e32 v48, v207, v8
	v_mov_b32_e32 v49, 0
	v_pk_fma_f32 v[58:59], v[146:147], v[166:167], 0 op_sel_hi:[0,1,0]
	v_dot4c_i32_i8_e32 v48, v208, v9
	v_dot4c_i32_i8_e32 v49, v202, v4
	v_pk_fma_f32 v[158:159], v[164:165], v[158:159], 0 op_sel_hi:[1,1,0]
	v_pk_fma_f32 v[58:59], v[150:151], v[162:163], v[58:59] op_sel_hi:[0,1,1]
	v_dot4c_i32_i8_e32 v48, v209, v10
	v_dot4c_i32_i8_e32 v49, v221, v5
	v_pk_fma_f32 v[68:69], v[160:161], v[68:69], v[158:159]
	v_pk_mul_f32 v[58:59], v[58:59], v[18:19]
	v_dot4c_i32_i8_e32 v48, v210, v11
	v_dot4c_i32_i8_e32 v49, v222, v6
	v_pk_fma_f32 v[58:59], v[68:69], v[16:17], v[58:59] neg_lo:[0,0,1] neg_hi:[0,0,1]
	v_dot4c_i32_i8_e32 v49, v223, v7
	v_mul_lo_u32 v48, v48, v201
	v_pk_add_f32 v[60:61], v[60:61], v[58:59]
	v_dot4c_i32_i8_e32 v49, v224, v0
	v_cvt_f32_i32_e32 v59, v48
	v_mul_lo_u32 v48, v53, v225
	v_dot4c_i32_i8_e32 v49, v227, v1
	v_cvt_f32_i32_e32 v158, v48
	v_mov_b32_e32 v48, 0
	v_dot4c_i32_i8_e32 v49, v228, v2
	v_dot4c_i32_i8_e32 v48, v203, v12
	v_dot4c_i32_i8_e32 v49, v229, v3
	v_mul_lo_u32 v58, v253, v201
	v_dot4c_i32_i8_e32 v48, v230, v13
	v_cvt_f32_i32_e32 v58, v58
	v_mul_lo_u32 v49, v49, v225
	v_dot4c_i32_i8_e32 v48, v231, v14
	v_cvt_f32_i32_e32 v159, v49
	v_dot4c_i32_i8_e32 v48, v232, v15
	v_dot4c_i32_i8_e32 v48, v233, v8
	v_pk_fma_f32 v[68:69], v[148:149], v[166:167], 0 op_sel_hi:[0,1,0]
	v_dot4c_i32_i8_e32 v48, v234, v9
	v_pk_fma_f32 v[58:59], v[164:165], v[58:59], 0 op_sel_hi:[1,1,0]
	v_pk_fma_f32 v[68:69], v[154:155], v[162:163], v[68:69] op_sel_hi:[0,1,1]
	v_dot4c_i32_i8_e32 v48, v235, v10
	v_pk_fma_f32 v[58:59], v[160:161], v[158:159], v[58:59]
	v_pk_mul_f32 v[68:69], v[68:69], v[132:133]
	v_dot4c_i32_i8_e32 v48, v236, v11
	v_pk_fma_f32 v[58:59], v[58:59], v[130:131], v[68:69] neg_lo:[0,0,1] neg_hi:[0,0,1]
	v_pk_add_f32 v[50:51], v[50:51], v[58:59]
	v_mov_b32_e32 v49, 0
	v_mul_lo_u32 v48, v48, v219
	v_cvt_f32_i32_e32 v59, v48
	v_mul_lo_u32 v48, v55, v241
	v_cvt_f32_i32_e32 v158, v48
	v_mov_b32_e32 v48, 0
	v_dot4c_i32_i8_e32 v48, v226, v12
	v_dot4c_i32_i8_e32 v48, v245, v13
	;; [unrolled: 1-line block ×5, first 2 shown]
	v_mov_b32_e32 v8, 0
	v_dot4c_i32_i8_e32 v8, v188, v4
	v_dot4c_i32_i8_e32 v8, v189, v5
	v_dot4c_i32_i8_e32 v49, v220, v4
	v_dot4c_i32_i8_e32 v8, v187, v6
	v_dot4c_i32_i8_e32 v49, v237, v5
	v_dot4c_i32_i8_e32 v8, v182, v7
	v_dot4c_i32_i8_e32 v49, v238, v6
	v_dot4c_i32_i8_e32 v48, v249, v9
	v_dot4c_i32_i8_e32 v8, v183, v0
	v_dot4c_i32_i8_e32 v49, v239, v7
	v_dot4c_i32_i8_e32 v48, v250, v10
	v_dot4c_i32_i8_e32 v8, v184, v1
	v_dot4c_i32_i8_e32 v49, v240, v0
	v_dot4c_i32_i8_e32 v48, v251, v11
	v_dot4c_i32_i8_e32 v8, v185, v2
	v_dot4c_i32_i8_e32 v49, v242, v1
	v_dot4c_i32_i8_e32 v8, v186, v3
	v_mul_lo_u32 v0, v52, v145
	v_mul_lo_u32 v1, v48, v145
	v_cvt_f32_i32_e32 v1, v1
	v_cvt_f32_i32_e32 v0, v0
	v_mul_lo_u32 v4, v54, v181
	v_mul_lo_u32 v5, v8, v181
	v_cvt_f32_i32_e32 v5, v5
	v_cvt_f32_i32_e32 v4, v4
	v_dot4c_i32_i8_e32 v49, v243, v2
	v_dot4c_i32_i8_e32 v49, v244, v3
	v_mul_lo_u32 v53, v255, v219
	v_pk_fma_f32 v[2:3], v[144:145], v[166:167], 0 op_sel_hi:[0,1,0]
	v_cvt_f32_i32_e32 v58, v53
	v_mul_lo_u32 v49, v49, v241
	v_pk_fma_f32 v[0:1], v[164:165], v[0:1], 0 op_sel_hi:[1,1,0]
	v_pk_fma_f32 v[2:3], v[142:143], v[162:163], v[2:3] op_sel_hi:[0,1,1]
	v_cvt_f32_i32_e32 v159, v49
	v_pk_fma_f32 v[0:1], v[160:161], v[4:5], v[0:1]
	v_pk_mul_f32 v[2:3], v[2:3], v[140:141]
	v_pk_fma_f32 v[0:1], v[0:1], v[138:139], v[2:3] neg_lo:[0,0,1] neg_hi:[0,0,1]
	v_pk_add_f32 v[44:45], v[44:45], v[0:1]
	v_or_b32_e32 v0, s17, v83
	v_pk_fma_f32 v[58:59], v[164:165], v[58:59], 0 op_sel_hi:[1,1,0]
	v_lshlrev_b32_e32 v1, 2, v0
	v_pk_fma_f32 v[58:59], v[160:161], v[158:159], v[58:59]
	v_lshrrev_b32_e32 v48, 1, v0
	ds_read_b128 v[12:15], v1 offset:16896
	ds_read_b128 v[8:11], v1 offset:16912
	;; [unrolled: 1-line block ×4, first 2 shown]
	ds_read_b64 v[158:159], v48 offset:27200
	v_mov_b32_e32 v48, 0
	v_mov_b32_e32 v49, 0
	;; [unrolled: 1-line block ×8, first 2 shown]
	s_waitcnt lgkmcnt(4)
	v_dot4c_i32_i8_e32 v48, v193, v12
	s_waitcnt lgkmcnt(2)
	v_dot4c_i32_i8_e32 v49, v192, v4
	v_dot4c_i32_i8_e32 v64, v190, v12
	;; [unrolled: 1-line block ×15, first 2 shown]
	v_pk_fma_f32 v[68:69], v[152:153], v[166:167], 0 op_sel_hi:[0,1,0]
	v_dot4c_i32_i8_e32 v48, v195, v14
	v_dot4c_i32_i8_e32 v49, v213, v6
	;; [unrolled: 1-line block ×8, first 2 shown]
	v_pk_fma_f32 v[68:69], v[156:157], v[162:163], v[68:69] op_sel_hi:[0,1,1]
	v_dot4c_i32_i8_e32 v48, v196, v15
	v_dot4c_i32_i8_e32 v49, v214, v7
	;; [unrolled: 1-line block ×8, first 2 shown]
	v_pk_mul_f32 v[68:69], v[68:69], v[136:137]
	v_dot4c_i32_i8_e32 v48, v197, v8
	s_waitcnt lgkmcnt(1)
	v_dot4c_i32_i8_e32 v49, v215, v0
	v_dot4c_i32_i8_e32 v64, v207, v8
	;; [unrolled: 1-line block ×7, first 2 shown]
	v_pk_fma_f32 v[58:59], v[58:59], v[134:135], v[68:69] neg_lo:[0,0,1] neg_hi:[0,0,1]
	v_dot4c_i32_i8_e32 v48, v198, v9
	v_dot4c_i32_i8_e32 v49, v216, v1
	v_dot4c_i32_i8_e32 v64, v208, v9
	v_dot4c_i32_i8_e32 v252, v227, v1
	v_dot4c_i32_i8_e32 v54, v234, v9
	v_dot4c_i32_i8_e32 v55, v242, v1
	v_dot4c_i32_i8_e32 v52, v249, v9
	v_dot4c_i32_i8_e32 v53, v184, v1
	v_or_b32_e32 v0, s17, v89
	v_pk_add_f32 v[46:47], v[46:47], v[58:59]
	v_dot4c_i32_i8_e32 v48, v199, v10
	v_dot4c_i32_i8_e32 v49, v217, v2
	v_dot4c_i32_i8_e32 v64, v209, v10
	v_dot4c_i32_i8_e32 v252, v228, v2
	v_dot4c_i32_i8_e32 v54, v235, v10
	v_dot4c_i32_i8_e32 v55, v243, v2
	v_dot4c_i32_i8_e32 v52, v250, v10
	v_dot4c_i32_i8_e32 v53, v185, v2
	v_lshlrev_b32_e32 v1, 2, v0
	v_lshrrev_b32_e32 v58, 1, v0
	v_dot4c_i32_i8_e32 v48, v200, v11
	v_dot4c_i32_i8_e32 v49, v218, v3
	;; [unrolled: 1-line block ×8, first 2 shown]
	ds_read_b128 v[12:15], v1 offset:16896
	ds_read_b128 v[8:11], v1 offset:16912
	;; [unrolled: 1-line block ×4, first 2 shown]
	ds_read_b64 v[58:59], v58 offset:27200
	v_mov_b32_e32 v68, 0
	s_waitcnt lgkmcnt(4)
	v_dot4c_i32_i8_e32 v68, v193, v12
	v_dot4c_i32_i8_e32 v68, v194, v13
	;; [unrolled: 1-line block ×4, first 2 shown]
	s_waitcnt lgkmcnt(3)
	v_dot4c_i32_i8_e32 v68, v197, v8
	v_mov_b32_e32 v253, 0
	v_dot4c_i32_i8_e32 v68, v198, v9
	s_waitcnt lgkmcnt(2)
	v_dot4c_i32_i8_e32 v253, v192, v4
	v_dot4c_i32_i8_e32 v68, v199, v10
	;; [unrolled: 1-line block ×6, first 2 shown]
	s_waitcnt lgkmcnt(0)
	v_cvt_f32_f16_e32 v165, v58
	v_cvt_f32_f16_sdwa v167, v58 dst_sel:DWORD dst_unused:UNUSED_PAD src0_sel:WORD_1
	v_mul_lo_u32 v48, v48, v191
	v_mul_lo_u32 v58, v68, v191
	v_dot4c_i32_i8_e32 v253, v215, v0
	v_cvt_f32_f16_e32 v161, v59
	v_cvt_f32_f16_sdwa v163, v59 dst_sel:DWORD dst_unused:UNUSED_PAD src0_sel:WORD_1
	v_cvt_f32_i32_e32 v59, v58
	v_cvt_f32_i32_e32 v58, v48
	v_mul_lo_u32 v48, v49, v211
	v_dot4c_i32_i8_e32 v253, v216, v1
	v_cvt_f32_f16_e32 v164, v158
	v_cvt_f32_f16_sdwa v166, v158 dst_sel:DWORD dst_unused:UNUSED_PAD src0_sel:WORD_1
	v_cvt_f32_i32_e32 v158, v48
	v_mov_b32_e32 v48, 0
	v_dot4c_i32_i8_e32 v253, v217, v2
	v_dot4c_i32_i8_e32 v48, v190, v12
	;; [unrolled: 1-line block ×4, first 2 shown]
	v_cvt_f32_f16_sdwa v162, v159 dst_sel:DWORD dst_unused:UNUSED_PAD src0_sel:WORD_1
	v_dot4c_i32_i8_e32 v48, v205, v14
	v_mul_lo_u32 v49, v253, v211
	v_cvt_f32_f16_e32 v160, v159
	v_cvt_f32_i32_e32 v159, v49
	v_dot4c_i32_i8_e32 v48, v206, v15
	v_dot4c_i32_i8_e32 v48, v207, v8
	v_mov_b32_e32 v49, 0
	v_pk_fma_f32 v[68:69], v[146:147], v[166:167], 0 op_sel_hi:[0,1,0]
	v_dot4c_i32_i8_e32 v48, v208, v9
	v_dot4c_i32_i8_e32 v49, v202, v4
	v_pk_fma_f32 v[58:59], v[58:59], v[164:165], 0 op_sel_hi:[1,1,0]
	v_pk_fma_f32 v[68:69], v[150:151], v[162:163], v[68:69] op_sel_hi:[0,1,1]
	v_dot4c_i32_i8_e32 v48, v209, v10
	v_dot4c_i32_i8_e32 v49, v221, v5
	v_pk_fma_f32 v[58:59], v[158:159], v[160:161], v[58:59]
	v_pk_mul_f32 v[68:69], v[68:69], v[18:19]
	v_dot4c_i32_i8_e32 v48, v210, v11
	v_dot4c_i32_i8_e32 v49, v222, v6
	v_pk_fma_f32 v[58:59], v[58:59], v[16:17], v[68:69] neg_lo:[0,0,1] neg_hi:[0,0,1]
	v_dot4c_i32_i8_e32 v49, v223, v7
	v_mul_lo_u32 v48, v48, v201
	v_pk_add_f32 v[42:43], v[42:43], v[58:59]
	v_dot4c_i32_i8_e32 v49, v224, v0
	v_cvt_f32_i32_e32 v59, v48
	v_mul_lo_u32 v48, v252, v225
	v_dot4c_i32_i8_e32 v49, v227, v1
	v_cvt_f32_i32_e32 v158, v48
	v_mov_b32_e32 v48, 0
	v_dot4c_i32_i8_e32 v49, v228, v2
	v_dot4c_i32_i8_e32 v48, v203, v12
	;; [unrolled: 1-line block ×3, first 2 shown]
	v_mul_lo_u32 v58, v64, v201
	v_dot4c_i32_i8_e32 v48, v230, v13
	v_cvt_f32_i32_e32 v58, v58
	v_mul_lo_u32 v49, v49, v225
	v_dot4c_i32_i8_e32 v48, v231, v14
	v_cvt_f32_i32_e32 v159, v49
	v_dot4c_i32_i8_e32 v48, v232, v15
	v_dot4c_i32_i8_e32 v48, v233, v8
	v_pk_fma_f32 v[68:69], v[148:149], v[166:167], 0 op_sel_hi:[0,1,0]
	v_dot4c_i32_i8_e32 v48, v234, v9
	v_pk_fma_f32 v[58:59], v[58:59], v[164:165], 0 op_sel_hi:[1,1,0]
	v_pk_fma_f32 v[68:69], v[154:155], v[162:163], v[68:69] op_sel_hi:[0,1,1]
	v_dot4c_i32_i8_e32 v48, v235, v10
	v_pk_fma_f32 v[58:59], v[158:159], v[160:161], v[58:59]
	v_pk_mul_f32 v[68:69], v[68:69], v[132:133]
	v_dot4c_i32_i8_e32 v48, v236, v11
	v_pk_fma_f32 v[58:59], v[58:59], v[130:131], v[68:69] neg_lo:[0,0,1] neg_hi:[0,0,1]
	v_pk_add_f32 v[40:41], v[40:41], v[58:59]
	v_mul_lo_u32 v54, v54, v219
	v_mul_lo_u32 v48, v48, v219
	v_cvt_f32_i32_e32 v59, v48
	v_mul_lo_u32 v48, v55, v241
	v_cvt_f32_i32_e32 v58, v54
	v_cvt_f32_i32_e32 v54, v48
	v_mov_b32_e32 v48, 0
	v_dot4c_i32_i8_e32 v48, v226, v12
	v_dot4c_i32_i8_e32 v48, v245, v13
	;; [unrolled: 1-line block ×5, first 2 shown]
	v_mov_b32_e32 v8, 0
	v_dot4c_i32_i8_e32 v8, v188, v4
	v_mov_b32_e32 v49, 0
	v_dot4c_i32_i8_e32 v8, v189, v5
	v_dot4c_i32_i8_e32 v49, v220, v4
	;; [unrolled: 1-line block ×16, first 2 shown]
	v_mul_lo_u32 v0, v52, v145
	v_mul_lo_u32 v1, v48, v145
	v_cvt_f32_i32_e32 v1, v1
	v_cvt_f32_i32_e32 v0, v0
	v_mul_lo_u32 v4, v53, v181
	v_mul_lo_u32 v5, v8, v181
	v_dot4c_i32_i8_e32 v49, v243, v2
	v_cvt_f32_i32_e32 v5, v5
	v_cvt_f32_i32_e32 v4, v4
	v_dot4c_i32_i8_e32 v49, v244, v3
	v_pk_fma_f32 v[2:3], v[144:145], v[166:167], 0 op_sel_hi:[0,1,0]
	v_pk_fma_f32 v[0:1], v[0:1], v[164:165], 0 op_sel_hi:[1,1,0]
	;; [unrolled: 1-line block ×3, first 2 shown]
	v_mul_lo_u32 v49, v49, v241
	v_cvt_f32_i32_e32 v55, v49
	v_pk_fma_f32 v[0:1], v[4:5], v[160:161], v[0:1]
	v_pk_mul_f32 v[2:3], v[2:3], v[140:141]
	v_pk_fma_f32 v[0:1], v[0:1], v[138:139], v[2:3] neg_lo:[0,0,1] neg_hi:[0,0,1]
	v_pk_fma_f32 v[58:59], v[58:59], v[164:165], 0 op_sel_hi:[1,1,0]
	v_pk_fma_f32 v[68:69], v[152:153], v[166:167], 0 op_sel_hi:[0,1,0]
	v_pk_add_f32 v[36:37], v[36:37], v[0:1]
	v_or_b32_e32 v0, s17, v95
	v_pk_fma_f32 v[54:55], v[54:55], v[160:161], v[58:59]
	v_pk_fma_f32 v[58:59], v[156:157], v[162:163], v[68:69] op_sel_hi:[0,1,1]
	v_lshlrev_b32_e32 v1, 2, v0
	v_pk_mul_f32 v[58:59], v[58:59], v[136:137]
	v_lshrrev_b32_e32 v48, 1, v0
	ds_read_b128 v[12:15], v1 offset:16896
	ds_read_b128 v[8:11], v1 offset:16912
	;; [unrolled: 1-line block ×4, first 2 shown]
	ds_read_b64 v[158:159], v48 offset:27200
	v_pk_fma_f32 v[54:55], v[54:55], v[134:135], v[58:59] neg_lo:[0,0,1] neg_hi:[0,0,1]
	v_pk_add_f32 v[38:39], v[38:39], v[54:55]
	v_mov_b32_e32 v48, 0
	v_mov_b32_e32 v49, 0
	;; [unrolled: 1-line block ×8, first 2 shown]
	s_waitcnt lgkmcnt(4)
	v_dot4c_i32_i8_e32 v48, v193, v12
	s_waitcnt lgkmcnt(2)
	v_dot4c_i32_i8_e32 v49, v192, v4
	v_dot4c_i32_i8_e32 v64, v190, v12
	;; [unrolled: 1-line block ×32, first 2 shown]
	s_waitcnt lgkmcnt(1)
	v_dot4c_i32_i8_e32 v49, v215, v0
	v_dot4c_i32_i8_e32 v64, v207, v8
	;; [unrolled: 1-line block ×15, first 2 shown]
	v_or_b32_e32 v0, s17, v101
	v_dot4c_i32_i8_e32 v48, v199, v10
	v_dot4c_i32_i8_e32 v49, v217, v2
	;; [unrolled: 1-line block ×8, first 2 shown]
	v_lshlrev_b32_e32 v1, 2, v0
	v_lshrrev_b32_e32 v58, 1, v0
	v_dot4c_i32_i8_e32 v48, v200, v11
	v_dot4c_i32_i8_e32 v49, v218, v3
	;; [unrolled: 1-line block ×8, first 2 shown]
	ds_read_b128 v[12:15], v1 offset:16896
	ds_read_b128 v[8:11], v1 offset:16912
	;; [unrolled: 1-line block ×4, first 2 shown]
	ds_read_b64 v[58:59], v58 offset:27200
	v_mov_b32_e32 v68, 0
	s_waitcnt lgkmcnt(4)
	v_dot4c_i32_i8_e32 v68, v193, v12
	v_dot4c_i32_i8_e32 v68, v194, v13
	;; [unrolled: 1-line block ×4, first 2 shown]
	s_waitcnt lgkmcnt(3)
	v_dot4c_i32_i8_e32 v68, v197, v8
	v_mov_b32_e32 v253, 0
	v_dot4c_i32_i8_e32 v68, v198, v9
	s_waitcnt lgkmcnt(2)
	v_dot4c_i32_i8_e32 v253, v192, v4
	v_dot4c_i32_i8_e32 v68, v199, v10
	;; [unrolled: 1-line block ×6, first 2 shown]
	s_waitcnt lgkmcnt(0)
	v_cvt_f32_f16_e32 v165, v58
	v_cvt_f32_f16_sdwa v167, v58 dst_sel:DWORD dst_unused:UNUSED_PAD src0_sel:WORD_1
	v_mul_lo_u32 v48, v48, v191
	v_mul_lo_u32 v58, v68, v191
	v_dot4c_i32_i8_e32 v253, v215, v0
	v_cvt_f32_f16_e32 v161, v59
	v_cvt_f32_f16_sdwa v163, v59 dst_sel:DWORD dst_unused:UNUSED_PAD src0_sel:WORD_1
	v_cvt_f32_i32_e32 v59, v58
	v_cvt_f32_i32_e32 v58, v48
	v_mul_lo_u32 v48, v49, v211
	v_dot4c_i32_i8_e32 v253, v216, v1
	v_cvt_f32_f16_e32 v164, v158
	v_cvt_f32_f16_sdwa v166, v158 dst_sel:DWORD dst_unused:UNUSED_PAD src0_sel:WORD_1
	v_cvt_f32_i32_e32 v158, v48
	v_mov_b32_e32 v48, 0
	v_dot4c_i32_i8_e32 v253, v217, v2
	v_dot4c_i32_i8_e32 v48, v190, v12
	;; [unrolled: 1-line block ×4, first 2 shown]
	v_cvt_f32_f16_sdwa v162, v159 dst_sel:DWORD dst_unused:UNUSED_PAD src0_sel:WORD_1
	v_dot4c_i32_i8_e32 v48, v205, v14
	v_mul_lo_u32 v49, v253, v211
	v_cvt_f32_f16_e32 v160, v159
	v_cvt_f32_i32_e32 v159, v49
	v_dot4c_i32_i8_e32 v48, v206, v15
	v_dot4c_i32_i8_e32 v48, v207, v8
	v_mov_b32_e32 v49, 0
	v_pk_fma_f32 v[68:69], v[146:147], v[166:167], 0 op_sel_hi:[0,1,0]
	v_dot4c_i32_i8_e32 v48, v208, v9
	v_dot4c_i32_i8_e32 v49, v202, v4
	v_pk_fma_f32 v[58:59], v[58:59], v[164:165], 0 op_sel_hi:[1,1,0]
	v_pk_fma_f32 v[68:69], v[150:151], v[162:163], v[68:69] op_sel_hi:[0,1,1]
	v_dot4c_i32_i8_e32 v48, v209, v10
	v_dot4c_i32_i8_e32 v49, v221, v5
	v_pk_fma_f32 v[58:59], v[158:159], v[160:161], v[58:59]
	v_pk_mul_f32 v[68:69], v[68:69], v[18:19]
	v_dot4c_i32_i8_e32 v48, v210, v11
	v_dot4c_i32_i8_e32 v49, v222, v6
	v_pk_fma_f32 v[58:59], v[58:59], v[16:17], v[68:69] neg_lo:[0,0,1] neg_hi:[0,0,1]
	v_dot4c_i32_i8_e32 v49, v223, v7
	v_mul_lo_u32 v48, v48, v201
	v_pk_add_f32 v[34:35], v[34:35], v[58:59]
	v_dot4c_i32_i8_e32 v49, v224, v0
	v_cvt_f32_i32_e32 v59, v48
	v_mul_lo_u32 v48, v252, v225
	v_dot4c_i32_i8_e32 v49, v227, v1
	v_cvt_f32_i32_e32 v158, v48
	v_mov_b32_e32 v48, 0
	v_dot4c_i32_i8_e32 v49, v228, v2
	v_dot4c_i32_i8_e32 v48, v203, v12
	;; [unrolled: 1-line block ×3, first 2 shown]
	v_mul_lo_u32 v58, v64, v201
	v_dot4c_i32_i8_e32 v48, v230, v13
	v_cvt_f32_i32_e32 v58, v58
	v_mul_lo_u32 v49, v49, v225
	v_dot4c_i32_i8_e32 v48, v231, v14
	v_cvt_f32_i32_e32 v159, v49
	v_dot4c_i32_i8_e32 v48, v232, v15
	v_dot4c_i32_i8_e32 v48, v233, v8
	v_pk_fma_f32 v[68:69], v[148:149], v[166:167], 0 op_sel_hi:[0,1,0]
	v_dot4c_i32_i8_e32 v48, v234, v9
	v_pk_fma_f32 v[58:59], v[58:59], v[164:165], 0 op_sel_hi:[1,1,0]
	v_pk_fma_f32 v[68:69], v[154:155], v[162:163], v[68:69] op_sel_hi:[0,1,1]
	v_dot4c_i32_i8_e32 v48, v235, v10
	v_pk_fma_f32 v[58:59], v[158:159], v[160:161], v[58:59]
	v_pk_mul_f32 v[68:69], v[68:69], v[132:133]
	v_dot4c_i32_i8_e32 v48, v236, v11
	v_pk_fma_f32 v[58:59], v[58:59], v[130:131], v[68:69] neg_lo:[0,0,1] neg_hi:[0,0,1]
	v_pk_add_f32 v[32:33], v[32:33], v[58:59]
	v_mul_lo_u32 v54, v54, v219
	v_mul_lo_u32 v48, v48, v219
	v_cvt_f32_i32_e32 v59, v48
	v_mul_lo_u32 v48, v55, v241
	v_cvt_f32_i32_e32 v58, v54
	v_cvt_f32_i32_e32 v54, v48
	v_mov_b32_e32 v48, 0
	v_dot4c_i32_i8_e32 v48, v226, v12
	v_dot4c_i32_i8_e32 v48, v245, v13
	;; [unrolled: 1-line block ×5, first 2 shown]
	v_mov_b32_e32 v8, 0
	v_dot4c_i32_i8_e32 v8, v188, v4
	v_mov_b32_e32 v49, 0
	v_dot4c_i32_i8_e32 v8, v189, v5
	v_dot4c_i32_i8_e32 v49, v220, v4
	;; [unrolled: 1-line block ×16, first 2 shown]
	v_mul_lo_u32 v0, v52, v145
	v_mul_lo_u32 v1, v48, v145
	v_cvt_f32_i32_e32 v1, v1
	v_cvt_f32_i32_e32 v0, v0
	v_mul_lo_u32 v4, v53, v181
	v_mul_lo_u32 v5, v8, v181
	v_cvt_f32_i32_e32 v5, v5
	v_cvt_f32_i32_e32 v4, v4
	v_dot4c_i32_i8_e32 v49, v243, v2
	v_dot4c_i32_i8_e32 v49, v244, v3
	v_pk_fma_f32 v[2:3], v[144:145], v[166:167], 0 op_sel_hi:[0,1,0]
	v_pk_fma_f32 v[0:1], v[0:1], v[164:165], 0 op_sel_hi:[1,1,0]
	v_pk_fma_f32 v[2:3], v[142:143], v[162:163], v[2:3] op_sel_hi:[0,1,1]
	v_pk_fma_f32 v[0:1], v[4:5], v[160:161], v[0:1]
	v_pk_mul_f32 v[2:3], v[2:3], v[140:141]
	v_pk_fma_f32 v[0:1], v[0:1], v[138:139], v[2:3] neg_lo:[0,0,1] neg_hi:[0,0,1]
	v_pk_add_f32 v[28:29], v[28:29], v[0:1]
	v_or_b32_e32 v0, s17, v107
	v_lshlrev_b32_e32 v1, 2, v0
	v_pk_fma_f32 v[68:69], v[152:153], v[166:167], 0 op_sel_hi:[0,1,0]
	v_lshrrev_b32_e32 v48, 1, v0
	ds_read_b128 v[12:15], v1 offset:16896
	ds_read_b128 v[8:11], v1 offset:16912
	;; [unrolled: 1-line block ×4, first 2 shown]
	ds_read_b64 v[166:167], v48 offset:27200
	v_mul_lo_u32 v49, v49, v241
	v_cvt_f32_i32_e32 v55, v49
	v_mov_b32_e32 v48, 0
	v_mov_b32_e32 v49, 0
	;; [unrolled: 1-line block ×8, first 2 shown]
	s_waitcnt lgkmcnt(4)
	v_dot4c_i32_i8_e32 v48, v193, v12
	s_waitcnt lgkmcnt(2)
	v_dot4c_i32_i8_e32 v49, v192, v4
	v_dot4c_i32_i8_e32 v64, v190, v12
	;; [unrolled: 1-line block ×15, first 2 shown]
	v_pk_fma_f32 v[58:59], v[58:59], v[164:165], 0 op_sel_hi:[1,1,0]
	v_dot4c_i32_i8_e32 v48, v195, v14
	v_dot4c_i32_i8_e32 v49, v213, v6
	;; [unrolled: 1-line block ×8, first 2 shown]
	v_pk_fma_f32 v[54:55], v[54:55], v[160:161], v[58:59]
	v_pk_fma_f32 v[58:59], v[156:157], v[162:163], v[68:69] op_sel_hi:[0,1,1]
	v_dot4c_i32_i8_e32 v48, v196, v15
	v_dot4c_i32_i8_e32 v49, v214, v7
	;; [unrolled: 1-line block ×8, first 2 shown]
	v_pk_mul_f32 v[58:59], v[58:59], v[136:137]
	v_dot4c_i32_i8_e32 v48, v197, v8
	s_waitcnt lgkmcnt(1)
	v_dot4c_i32_i8_e32 v49, v215, v0
	v_dot4c_i32_i8_e32 v64, v207, v8
	;; [unrolled: 1-line block ×7, first 2 shown]
	v_pk_fma_f32 v[54:55], v[54:55], v[134:135], v[58:59] neg_lo:[0,0,1] neg_hi:[0,0,1]
	v_dot4c_i32_i8_e32 v48, v198, v9
	v_dot4c_i32_i8_e32 v49, v216, v1
	v_dot4c_i32_i8_e32 v64, v208, v9
	v_dot4c_i32_i8_e32 v254, v227, v1
	v_dot4c_i32_i8_e32 v52, v234, v9
	v_dot4c_i32_i8_e32 v53, v242, v1
	v_dot4c_i32_i8_e32 v253, v249, v9
	v_dot4c_i32_i8_e32 v252, v184, v1
	v_or_b32_e32 v0, s17, v113
	v_pk_add_f32 v[30:31], v[30:31], v[54:55]
	v_dot4c_i32_i8_e32 v48, v199, v10
	v_dot4c_i32_i8_e32 v49, v217, v2
	;; [unrolled: 1-line block ×8, first 2 shown]
	v_lshlrev_b32_e32 v1, 2, v0
	v_lshrrev_b32_e32 v54, 1, v0
	v_dot4c_i32_i8_e32 v48, v200, v11
	v_dot4c_i32_i8_e32 v49, v218, v3
	;; [unrolled: 1-line block ×8, first 2 shown]
	ds_read_b128 v[12:15], v1 offset:16896
	ds_read_b128 v[8:11], v1 offset:16912
	;; [unrolled: 1-line block ×4, first 2 shown]
	ds_read_b64 v[54:55], v54 offset:27200
	v_mov_b32_e32 v58, 0
	s_waitcnt lgkmcnt(4)
	v_dot4c_i32_i8_e32 v58, v193, v12
	v_dot4c_i32_i8_e32 v58, v194, v13
	v_mov_b32_e32 v68, 0
	v_dot4c_i32_i8_e32 v58, v195, v14
	s_waitcnt lgkmcnt(2)
	v_dot4c_i32_i8_e32 v68, v192, v4
	v_dot4c_i32_i8_e32 v58, v196, v15
	;; [unrolled: 1-line block ×8, first 2 shown]
	s_waitcnt lgkmcnt(1)
	v_dot4c_i32_i8_e32 v68, v215, v0
	v_dot4c_i32_i8_e32 v58, v200, v11
	;; [unrolled: 1-line block ×4, first 2 shown]
	s_waitcnt lgkmcnt(0)
	v_cvt_f32_f16_e32 v165, v54
	v_cvt_f32_f16_sdwa v163, v54 dst_sel:DWORD dst_unused:UNUSED_PAD src0_sel:WORD_1
	v_mul_lo_u32 v48, v48, v191
	v_mul_lo_u32 v54, v58, v191
	v_dot4c_i32_i8_e32 v68, v218, v3
	v_cvt_f32_f16_e32 v161, v55
	v_cvt_f32_f16_sdwa v159, v55 dst_sel:DWORD dst_unused:UNUSED_PAD src0_sel:WORD_1
	v_cvt_f32_i32_e32 v55, v54
	v_cvt_f32_i32_e32 v54, v48
	v_mul_lo_u32 v48, v49, v211
	v_mul_lo_u32 v49, v68, v211
	v_cvt_f32_i32_e32 v68, v48
	v_mov_b32_e32 v48, 0
	v_dot4c_i32_i8_e32 v48, v190, v12
	v_cvt_f32_f16_sdwa v162, v166 dst_sel:DWORD dst_unused:UNUSED_PAD src0_sel:WORD_1
	v_dot4c_i32_i8_e32 v48, v204, v13
	v_cvt_f32_f16_e32 v164, v166
	v_cvt_f32_f16_sdwa v158, v167 dst_sel:DWORD dst_unused:UNUSED_PAD src0_sel:WORD_1
	v_dot4c_i32_i8_e32 v48, v205, v14
	v_cvt_f32_f16_e32 v160, v167
	v_cvt_f32_i32_e32 v69, v49
	v_dot4c_i32_i8_e32 v48, v206, v15
	v_dot4c_i32_i8_e32 v48, v207, v8
	v_mov_b32_e32 v49, 0
	v_pk_fma_f32 v[58:59], v[146:147], v[162:163], 0 op_sel_hi:[0,1,0]
	v_dot4c_i32_i8_e32 v48, v208, v9
	v_dot4c_i32_i8_e32 v49, v202, v4
	v_pk_fma_f32 v[54:55], v[54:55], v[164:165], 0 op_sel_hi:[1,1,0]
	v_pk_fma_f32 v[58:59], v[150:151], v[158:159], v[58:59] op_sel_hi:[0,1,1]
	v_dot4c_i32_i8_e32 v48, v209, v10
	v_dot4c_i32_i8_e32 v49, v221, v5
	v_pk_fma_f32 v[54:55], v[68:69], v[160:161], v[54:55]
	v_pk_mul_f32 v[58:59], v[58:59], v[18:19]
	v_dot4c_i32_i8_e32 v48, v210, v11
	v_dot4c_i32_i8_e32 v49, v222, v6
	v_pk_fma_f32 v[54:55], v[54:55], v[16:17], v[58:59] neg_lo:[0,0,1] neg_hi:[0,0,1]
	v_dot4c_i32_i8_e32 v49, v223, v7
	v_mul_lo_u32 v48, v48, v201
	v_pk_add_f32 v[26:27], v[26:27], v[54:55]
	v_dot4c_i32_i8_e32 v49, v224, v0
	v_cvt_f32_i32_e32 v55, v48
	v_mul_lo_u32 v48, v254, v225
	v_dot4c_i32_i8_e32 v49, v227, v1
	v_cvt_f32_i32_e32 v68, v48
	v_mov_b32_e32 v48, 0
	v_mov_b32_e32 v146, 0
	v_dot4c_i32_i8_e32 v49, v228, v2
	v_dot4c_i32_i8_e32 v48, v203, v12
	;; [unrolled: 1-line block ×7, first 2 shown]
	v_mul_lo_u32 v49, v49, v225
	v_dot4c_i32_i8_e32 v146, v246, v14
	v_cvt_f32_i32_e32 v69, v49
	v_dot4c_i32_i8_e32 v48, v232, v15
	v_mov_b32_e32 v49, 0
	v_dot4c_i32_i8_e32 v146, v247, v15
	v_mul_lo_u32 v54, v64, v201
	v_dot4c_i32_i8_e32 v48, v233, v8
	v_dot4c_i32_i8_e32 v49, v220, v4
	;; [unrolled: 1-line block ×3, first 2 shown]
	v_mov_b32_e32 v8, 0
	v_cvt_f32_i32_e32 v54, v54
	v_dot4c_i32_i8_e32 v49, v237, v5
	v_dot4c_i32_i8_e32 v8, v188, v4
	;; [unrolled: 1-line block ×6, first 2 shown]
	v_pk_fma_f32 v[58:59], v[148:149], v[162:163], 0 op_sel_hi:[0,1,0]
	v_dot4c_i32_i8_e32 v48, v234, v9
	v_dot4c_i32_i8_e32 v49, v240, v0
	;; [unrolled: 1-line block ×3, first 2 shown]
	v_pk_fma_f32 v[54:55], v[54:55], v[164:165], 0 op_sel_hi:[1,1,0]
	v_pk_fma_f32 v[58:59], v[154:155], v[158:159], v[58:59] op_sel_hi:[0,1,1]
	v_dot4c_i32_i8_e32 v48, v235, v10
	v_dot4c_i32_i8_e32 v49, v242, v1
	;; [unrolled: 1-line block ×4, first 2 shown]
	v_pk_fma_f32 v[54:55], v[68:69], v[160:161], v[54:55]
	v_pk_mul_f32 v[58:59], v[58:59], v[132:133]
	v_dot4c_i32_i8_e32 v48, v236, v11
	v_dot4c_i32_i8_e32 v49, v243, v2
	;; [unrolled: 1-line block ×4, first 2 shown]
	v_pk_fma_f32 v[54:55], v[54:55], v[130:131], v[58:59] neg_lo:[0,0,1] neg_hi:[0,0,1]
	v_dot4c_i32_i8_e32 v49, v244, v3
	v_mul_lo_u32 v52, v52, v219
	v_mul_lo_u32 v48, v48, v219
	v_dot4c_i32_i8_e32 v146, v251, v11
	v_dot4c_i32_i8_e32 v8, v185, v2
	v_pk_add_f32 v[24:25], v[24:25], v[54:55]
	v_cvt_f32_i32_e32 v55, v48
	v_cvt_f32_i32_e32 v54, v52
	v_mul_lo_u32 v48, v53, v241
	v_mul_lo_u32 v49, v49, v241
	v_dot4c_i32_i8_e32 v8, v186, v3
	v_mul_lo_u32 v0, v253, v145
	v_mul_lo_u32 v1, v146, v145
	v_cvt_f32_i32_e32 v53, v49
	v_cvt_f32_i32_e32 v52, v48
	;; [unrolled: 1-line block ×4, first 2 shown]
	v_mul_lo_u32 v4, v252, v181
	v_mul_lo_u32 v5, v8, v181
	v_cvt_f32_i32_e32 v5, v5
	v_cvt_f32_i32_e32 v4, v4
	v_pk_fma_f32 v[54:55], v[54:55], v[164:165], 0 op_sel_hi:[1,1,0]
	v_pk_fma_f32 v[58:59], v[152:153], v[162:163], 0 op_sel_hi:[0,1,0]
	;; [unrolled: 1-line block ×3, first 2 shown]
	v_pk_fma_f32 v[52:53], v[52:53], v[160:161], v[54:55]
	v_pk_fma_f32 v[54:55], v[156:157], v[158:159], v[58:59] op_sel_hi:[0,1,1]
	v_pk_fma_f32 v[0:1], v[0:1], v[164:165], 0 op_sel_hi:[1,1,0]
	;; [unrolled: 1-line block ×3, first 2 shown]
	v_pk_mul_f32 v[54:55], v[54:55], v[136:137]
	v_pk_fma_f32 v[0:1], v[4:5], v[160:161], v[0:1]
	v_pk_mul_f32 v[2:3], v[2:3], v[140:141]
	v_pk_fma_f32 v[52:53], v[52:53], v[134:135], v[54:55] neg_lo:[0,0,1] neg_hi:[0,0,1]
	v_pk_fma_f32 v[0:1], v[0:1], v[138:139], v[2:3] neg_lo:[0,0,1] neg_hi:[0,0,1]
	v_pk_add_f32 v[22:23], v[22:23], v[52:53]
	v_pk_add_f32 v[20:21], v[20:21], v[0:1]
	s_mov_b32 s18, 8
	s_and_b64 vcc, exec, s[4:5]
	s_mov_b64 s[4:5], 0
	s_cbranch_vccnz .LBB152_6
; %bb.7:                                ;   in Loop: Header=BB152_5 Depth=1
	v_add_u32_e32 v14, s9, v119
	v_add_u32_e32 v0, v14, v71
	;; [unrolled: 1-line block ×6, first 2 shown]
	v_mad_i64_i32 v[0:1], s[4:5], v0, 36, v[126:127]
	v_mad_i64_i32 v[2:3], s[4:5], v2, 36, v[126:127]
	;; [unrolled: 1-line block ×5, first 2 shown]
	v_add_u32_e32 v10, v14, v99
	v_add_u32_e32 v12, v14, v105
	;; [unrolled: 1-line block ×3, first 2 shown]
	s_barrier
	v_mad_i64_i32 v[10:11], s[4:5], v10, 36, v[126:127]
	v_mad_i64_i32 v[12:13], s[4:5], v12, 36, v[126:127]
	;; [unrolled: 1-line block ×3, first 2 shown]
	global_load_dword v16, v[0:1], off offset:4
	s_nop 0
	global_load_dword v2, v[2:3], off offset:4
	s_nop 0
	;; [unrolled: 2-line block ×3, first 2 shown]
	global_load_dword v4, v[6:7], off offset:4
	global_load_dword v5, v[8:9], off offset:4
	s_nop 0
	global_load_dword v6, v[10:11], off offset:4
	global_load_dword v7, v[12:13], off offset:4
	;; [unrolled: 1-line block ×3, first 2 shown]
	v_add_u32_e32 v0, 4, v143
	v_mad_u64_u32 v[0:1], s[4:5], v0, 36, s[2:3]
	global_load_dword v0, v[0:1], off
	s_mov_b32 s4, 16
	s_mov_b32 s5, 0
	v_mov_b32_e32 v159, v157
	v_mov_b32_e32 v161, v155
	s_mov_b32 s9, 0
	v_mov_b32_e32 v181, v153
	s_waitcnt vmcnt(8)
	ds_write_b32 v84, v16
	s_waitcnt vmcnt(7)
	ds_write_b32 v79, v2
	;; [unrolled: 2-line block ×9, first 2 shown]
	s_waitcnt lgkmcnt(0)
	s_barrier
	ds_read_b32 v0, v117
	ds_read_b32 v1, v121 offset:128
	ds_read_b32 v2, v123 offset:256
	;; [unrolled: 1-line block ×3, first 2 shown]
	s_waitcnt lgkmcnt(2)
	v_cvt_f32_f16_e32 v134, v1
	v_cvt_f32_f16_e32 v130, v0
	v_cvt_f32_f16_sdwa v132, v0 dst_sel:DWORD dst_unused:UNUSED_PAD src0_sel:WORD_1
	v_cvt_f32_f16_sdwa v136, v1 dst_sel:DWORD dst_unused:UNUSED_PAD src0_sel:WORD_1
	s_waitcnt lgkmcnt(1)
	v_cvt_f32_f16_e32 v138, v2
	v_cvt_f32_f16_sdwa v140, v2 dst_sel:DWORD dst_unused:UNUSED_PAD src0_sel:WORD_1
	s_waitcnt lgkmcnt(0)
	v_cvt_f32_f16_e32 v142, v3
	v_cvt_f32_f16_sdwa v144, v3 dst_sel:DWORD dst_unused:UNUSED_PAD src0_sel:WORD_1
	v_mov_b32_e32 v131, v130
	v_mov_b32_e32 v133, v132
	v_mov_b32_e32 v135, v134
	v_mov_b32_e32 v137, v136
	v_mov_b32_e32 v139, v138
	v_mov_b32_e32 v141, v140
	v_mov_b32_e32 v143, v142
	v_mov_b32_e32 v145, v144
.LBB152_8:                              ;   Parent Loop BB152_5 Depth=1
                                        ; =>  This Inner Loop Header: Depth=2
	ds_read_b128 v[16:19], v159
	ds_read_b128 v[12:15], v159 offset:16
	ds_read_b128 v[8:11], v159 offset:32
	;; [unrolled: 1-line block ×3, first 2 shown]
	ds_read2_b64 v[0:3], v161 offset1:16
	ds_read2_b32 v[58:59], v181 offset1:1
	ds_read2_b32 v[68:69], v181 offset0:2 offset1:3
	ds_read2_b32 v[162:163], v181 offset0:4 offset1:5
	;; [unrolled: 1-line block ×3, first 2 shown]
	s_lshr_b32 s17, s4, 2
	s_and_b32 s17, s17, 0x3ffffffc
	v_add_u32_e32 v54, s5, v168
	v_add3_u32 v48, v172, s17, v54
	ds_read_u16 v49, v48 offset:25088
	ds_read_u16 v48, v48 offset:25096
	s_waitcnt lgkmcnt(5)
	v_lshrrev_b32_e32 v52, 4, v58
	v_and_b32_e32 v212, 0xf0f0f0f, v52
	v_lshrrev_b32_e32 v52, 4, v59
	v_and_b32_e32 v222, 0xf0f0f0f, v52
	s_waitcnt lgkmcnt(4)
	v_lshrrev_b32_e32 v52, 4, v68
	s_waitcnt lgkmcnt(1)
	v_and_b32_e32 v208, 0xff, v49
	v_and_b32_e32 v223, 0xf0f0f0f, v52
	v_lshrrev_b32_e32 v52, 4, v69
	v_lshrrev_b16_e32 v221, 8, v49
	v_add_u32_e32 v49, 0x1080, v181
	v_and_b32_e32 v199, 0xf0f0f0f, v58
	v_and_b32_e32 v198, 0xf0f0f0f, v59
	;; [unrolled: 1-line block ×3, first 2 shown]
	v_lshrrev_b32_e32 v52, 4, v162
	ds_read2_b32 v[58:59], v49 offset1:1
	v_add_u32_e32 v49, 0x1088, v181
	v_and_b32_e32 v201, 0xf0f0f0f, v68
	v_and_b32_e32 v202, 0xf0f0f0f, v69
	;; [unrolled: 1-line block ×3, first 2 shown]
	v_lshrrev_b32_e32 v52, 4, v163
	ds_read2_b32 v[68:69], v49 offset1:1
	v_add_u32_e32 v49, 0x1090, v181
	v_and_b32_e32 v205, 0xf0f0f0f, v162
	v_and_b32_e32 v206, 0xf0f0f0f, v163
	s_waitcnt lgkmcnt(2)
	v_cvt_f32_ubyte0_e32 v150, v48
	v_and_b32_e32 v226, 0xf0f0f0f, v52
	v_lshrrev_b32_e32 v52, 4, v164
	v_cvt_f32_ubyte1_e32 v154, v48
	v_add3_u32 v48, v171, s17, v54
	ds_read2_b32 v[162:163], v49 offset1:1
	v_add_u32_e32 v49, 0x1098, v181
	v_and_b32_e32 v210, 0xf0f0f0f, v164
	v_and_b32_e32 v211, 0xf0f0f0f, v165
	v_and_b32_e32 v227, 0xf0f0f0f, v52
	v_lshrrev_b32_e32 v52, 4, v165
	ds_read2_b32 v[164:165], v49 offset1:1
	ds_read_u16 v49, v48 offset:25600
	ds_read_u16 v48, v48 offset:25608
	s_waitcnt lgkmcnt(5)
	v_lshrrev_b32_e32 v55, 4, v59
	v_and_b32_e32 v232, 0xf0f0f0f, v55
	s_waitcnt lgkmcnt(4)
	v_lshrrev_b32_e32 v55, 4, v68
	s_waitcnt lgkmcnt(1)
	v_and_b32_e32 v215, 0xff, v49
	v_and_b32_e32 v234, 0xf0f0f0f, v55
	v_lshrrev_b32_e32 v55, 4, v69
	v_lshrrev_b16_e32 v239, 8, v49
	v_add_u32_e32 v49, 0x2100, v181
	v_and_b32_e32 v230, 0xf0f0f0f, v52
	v_and_b32_e32 v200, 0xf0f0f0f, v58
	;; [unrolled: 1-line block ×3, first 2 shown]
	v_lshrrev_b32_e32 v52, 4, v58
	v_and_b32_e32 v236, 0xf0f0f0f, v55
	v_lshrrev_b32_e32 v55, 4, v162
	ds_read2_b32 v[58:59], v49 offset1:1
	v_add_u32_e32 v49, 0x2108, v181
	v_and_b32_e32 v207, 0xf0f0f0f, v68
	v_and_b32_e32 v209, 0xf0f0f0f, v69
	;; [unrolled: 1-line block ×3, first 2 shown]
	v_lshrrev_b32_e32 v55, 4, v163
	ds_read2_b32 v[68:69], v49 offset1:1
	v_add_u32_e32 v49, 0x2110, v181
	v_and_b32_e32 v213, 0xf0f0f0f, v162
	v_and_b32_e32 v214, 0xf0f0f0f, v163
	s_waitcnt lgkmcnt(2)
	v_cvt_f32_ubyte0_e32 v152, v48
	v_and_b32_e32 v241, 0xf0f0f0f, v55
	v_lshrrev_b32_e32 v55, 4, v164
	v_cvt_f32_ubyte1_e32 v158, v48
	v_add3_u32 v48, v170, s17, v54
	ds_read2_b32 v[162:163], v49 offset1:1
	v_add_u32_e32 v49, 0x2118, v181
	v_and_b32_e32 v216, 0xf0f0f0f, v164
	v_and_b32_e32 v217, 0xf0f0f0f, v165
	;; [unrolled: 1-line block ×3, first 2 shown]
	v_lshrrev_b32_e32 v55, 4, v165
	ds_read2_b32 v[164:165], v49 offset1:1
	ds_read_u16 v49, v48 offset:26112
	ds_read_u16 v48, v48 offset:26120
	s_waitcnt lgkmcnt(5)
	v_and_b32_e32 v220, 0xf0f0f0f, v59
	v_lshrrev_b32_e32 v59, 4, v59
	v_and_b32_e32 v246, 0xf0f0f0f, v59
	s_waitcnt lgkmcnt(1)
	v_and_b32_e32 v231, 0xff, v49
	v_lshrrev_b32_e32 v59, 4, v68
	v_lshrrev_b16_e32 v250, 8, v49
	v_add_u32_e32 v49, 0x3180, v181
	v_and_b32_e32 v228, 0xf0f0f0f, v68
	v_and_b32_e32 v229, 0xf0f0f0f, v69
	;; [unrolled: 1-line block ×3, first 2 shown]
	v_lshrrev_b32_e32 v59, 4, v69
	ds_read2_b32 v[68:69], v49 offset1:1
	v_mov_b32_e32 v254, 0
	v_mov_b32_e32 v255, 0
	v_and_b32_e32 v244, 0xf0f0f0f, v55
	v_and_b32_e32 v218, 0xf0f0f0f, v58
	v_mov_b32_e32 v55, 0
	s_waitcnt lgkmcnt(1)
	v_cvt_f32_ubyte0_e32 v156, v48
	v_cvt_f32_ubyte1_e32 v160, v48
	v_add3_u32 v48, v169, s17, v54
	s_waitcnt lgkmcnt(0)
	v_and_b32_e32 v245, 0xf0f0f0f, v68
	v_mov_b32_e32 v54, 0
	v_dot4c_i32_i8_e32 v254, v199, v16
	v_dot4c_i32_i8_e32 v255, v200, v16
	;; [unrolled: 1-line block ×4, first 2 shown]
	v_and_b32_e32 v204, 0xf0f0f0f, v69
	v_add_u32_e32 v16, 0x3188, v181
	v_dot4c_i32_i8_e32 v254, v198, v17
	v_dot4c_i32_i8_e32 v255, v203, v17
	;; [unrolled: 1-line block ×4, first 2 shown]
	ds_read2_b32 v[16:17], v16 offset1:1
	v_dot4c_i32_i8_e32 v254, v201, v18
	v_dot4c_i32_i8_e32 v255, v207, v18
	;; [unrolled: 1-line block ×4, first 2 shown]
	s_waitcnt lgkmcnt(0)
	v_and_b32_e32 v193, 0xf0f0f0f, v16
	v_dot4c_i32_i8_e32 v54, v193, v18
	v_and_b32_e32 v192, 0xf0f0f0f, v17
	v_add_u32_e32 v18, 0x3190, v181
	v_dot4c_i32_i8_e32 v255, v209, v19
	v_dot4c_i32_i8_e32 v55, v229, v19
	;; [unrolled: 1-line block ×3, first 2 shown]
	ds_read2_b32 v[18:19], v18 offset1:1
	v_and_b32_e32 v233, 0xf0f0f0f, v162
	v_dot4c_i32_i8_e32 v254, v205, v12
	v_dot4c_i32_i8_e32 v255, v213, v12
	;; [unrolled: 1-line block ×3, first 2 shown]
	s_waitcnt lgkmcnt(0)
	v_and_b32_e32 v194, 0xf0f0f0f, v18
	v_and_b32_e32 v235, 0xf0f0f0f, v163
	v_dot4c_i32_i8_e32 v54, v194, v12
	v_and_b32_e32 v195, 0xf0f0f0f, v19
	v_add_u32_e32 v12, 0x3198, v181
	v_dot4c_i32_i8_e32 v254, v206, v13
	v_dot4c_i32_i8_e32 v255, v214, v13
	;; [unrolled: 1-line block ×4, first 2 shown]
	ds_read2_b32 v[12:13], v12 offset1:1
	v_and_b32_e32 v237, 0xf0f0f0f, v164
	v_dot4c_i32_i8_e32 v254, v210, v14
	v_dot4c_i32_i8_e32 v255, v216, v14
	;; [unrolled: 1-line block ×3, first 2 shown]
	s_waitcnt lgkmcnt(0)
	v_and_b32_e32 v196, 0xf0f0f0f, v12
	v_and_b32_e32 v240, 0xf0f0f0f, v165
	v_dot4c_i32_i8_e32 v54, v196, v14
	v_and_b32_e32 v197, 0xf0f0f0f, v13
	v_dot4c_i32_i8_e32 v254, v211, v15
	v_dot4c_i32_i8_e32 v255, v217, v15
	;; [unrolled: 1-line block ×3, first 2 shown]
	v_lshrrev_b32_e32 v58, 4, v58
	v_dot4c_i32_i8_e32 v54, v197, v15
	ds_read_u16 v14, v48 offset:26624
	ds_read_u16 v15, v48 offset:26632
	v_lshrrev_b32_e32 v48, 4, v68
	v_mov_b32_e32 v53, 0
	v_and_b32_e32 v219, 0xf0f0f0f, v52
	v_mov_b32_e32 v52, 0
	v_and_b32_e32 v243, 0xf0f0f0f, v58
	;; [unrolled: 2-line block ×3, first 2 shown]
	v_mov_b32_e32 v64, 0
	v_dot4c_i32_i8_e32 v53, v212, v8
	v_dot4c_i32_i8_e32 v52, v219, v8
	;; [unrolled: 1-line block ×4, first 2 shown]
	v_lshrrev_b32_e32 v8, 4, v69
	v_and_b32_e32 v191, 0xf0f0f0f, v8
	v_lshrrev_b32_e32 v8, 4, v16
	v_dot4c_i32_i8_e32 v53, v222, v9
	v_dot4c_i32_i8_e32 v52, v232, v9
	;; [unrolled: 1-line block ×4, first 2 shown]
	v_and_b32_e32 v190, 0xf0f0f0f, v8
	v_lshrrev_b32_e32 v8, 4, v17
	v_dot4c_i32_i8_e32 v53, v223, v10
	v_dot4c_i32_i8_e32 v52, v234, v10
	;; [unrolled: 1-line block ×3, first 2 shown]
	v_and_b32_e32 v248, 0xf0f0f0f, v59
	v_lshrrev_b32_e32 v59, 4, v162
	v_dot4c_i32_i8_e32 v64, v190, v10
	v_and_b32_e32 v184, 0xf0f0f0f, v8
	v_lshrrev_b32_e32 v8, 4, v18
	v_dot4c_i32_i8_e32 v53, v224, v11
	v_dot4c_i32_i8_e32 v52, v236, v11
	;; [unrolled: 1-line block ×3, first 2 shown]
	v_and_b32_e32 v249, 0xf0f0f0f, v59
	v_dot4c_i32_i8_e32 v64, v184, v11
	v_and_b32_e32 v185, 0xf0f0f0f, v8
	v_dot4c_i32_i8_e32 v53, v225, v4
	v_dot4c_i32_i8_e32 v52, v238, v4
	;; [unrolled: 1-line block ×3, first 2 shown]
	v_lshrrev_b32_e32 v59, 4, v163
	v_dot4c_i32_i8_e32 v64, v185, v4
	v_lshrrev_b32_e32 v4, 4, v19
	v_and_b32_e32 v251, 0xf0f0f0f, v59
	v_lshrrev_b32_e32 v59, 4, v164
	v_and_b32_e32 v186, 0xf0f0f0f, v4
	v_lshrrev_b32_e32 v4, 4, v12
	v_dot4c_i32_i8_e32 v53, v226, v5
	v_dot4c_i32_i8_e32 v52, v241, v5
	v_dot4c_i32_i8_e32 v58, v251, v5
	v_and_b32_e32 v252, 0xf0f0f0f, v59
	v_lshrrev_b32_e32 v59, 4, v165
	v_dot4c_i32_i8_e32 v64, v186, v5
	v_and_b32_e32 v187, 0xf0f0f0f, v4
	v_lshrrev_b32_e32 v4, 4, v13
	v_dot4c_i32_i8_e32 v53, v227, v6
	v_dot4c_i32_i8_e32 v52, v242, v6
	;; [unrolled: 1-line block ×3, first 2 shown]
	v_and_b32_e32 v253, 0xf0f0f0f, v59
	v_dot4c_i32_i8_e32 v64, v187, v6
	v_and_b32_e32 v189, 0xf0f0f0f, v4
	v_dot4c_i32_i8_e32 v53, v230, v7
	v_dot4c_i32_i8_e32 v52, v244, v7
	v_dot4c_i32_i8_e32 v58, v253, v7
	s_waitcnt lgkmcnt(1)
	v_and_b32_e32 v183, 0xff, v14
	s_waitcnt lgkmcnt(0)
	v_cvt_f32_ubyte0_e32 v148, v15
	v_dot4c_i32_i8_e32 v64, v189, v7
	v_lshrrev_b16_e32 v182, 8, v14
	v_cvt_f32_ubyte1_e32 v146, v15
	ds_read_b128 v[16:19], v159 offset:1024
	ds_read_b128 v[12:15], v159 offset:1040
	;; [unrolled: 1-line block ×4, first 2 shown]
	v_mov_b32_e32 v48, 0
	s_waitcnt lgkmcnt(3)
	v_dot4c_i32_i8_e32 v48, v199, v16
	v_mov_b32_e32 v49, 0
	v_dot4c_i32_i8_e32 v48, v198, v17
	s_waitcnt lgkmcnt(1)
	v_dot4c_i32_i8_e32 v49, v212, v8
	v_dot4c_i32_i8_e32 v48, v201, v18
	;; [unrolled: 1-line block ×8, first 2 shown]
	s_waitcnt lgkmcnt(0)
	v_dot4c_i32_i8_e32 v49, v225, v4
	v_dot4c_i32_i8_e32 v48, v210, v14
	;; [unrolled: 1-line block ×6, first 2 shown]
	v_cvt_f32_f16_e32 v165, v2
	v_cvt_f32_f16_e32 v164, v0
	v_cvt_f32_f16_sdwa v167, v2 dst_sel:DWORD dst_unused:UNUSED_PAD src0_sel:WORD_1
	v_cvt_f32_f16_sdwa v166, v0 dst_sel:DWORD dst_unused:UNUSED_PAD src0_sel:WORD_1
	v_cvt_f32_f16_e32 v162, v1
	v_cvt_f32_f16_sdwa v2, v1 dst_sel:DWORD dst_unused:UNUSED_PAD src0_sel:WORD_1
	v_mul_lo_u32 v0, v254, v208
	v_mul_lo_u32 v1, v48, v208
	v_cvt_f32_i32_e32 v1, v1
	v_cvt_f32_i32_e32 v0, v0
	v_mul_lo_u32 v48, v53, v221
	v_mul_lo_u32 v49, v49, v221
	v_cvt_f32_f16_e32 v163, v3
	v_cvt_f32_f16_sdwa v3, v3 dst_sel:DWORD dst_unused:UNUSED_PAD src0_sel:WORD_1
	v_cvt_f32_i32_e32 v49, v49
	v_cvt_f32_i32_e32 v48, v48
	v_pk_fma_f32 v[0:1], v[164:165], v[0:1], 0 op_sel_hi:[1,1,0]
	v_pk_fma_f32 v[68:69], v[150:151], v[166:167], 0 op_sel_hi:[0,1,0]
	v_mov_b32_e32 v53, 0
	v_pk_fma_f32 v[0:1], v[162:163], v[48:49], v[0:1]
	v_pk_fma_f32 v[48:49], v[154:155], v[2:3], v[68:69] op_sel_hi:[0,1,1]
	v_pk_mul_f32 v[48:49], v[48:49], v[132:133]
	v_pk_fma_f32 v[0:1], v[0:1], v[130:131], v[48:49] neg_lo:[0,0,1] neg_hi:[0,0,1]
	v_pk_add_f32 v[60:61], v[60:61], v[0:1]
	v_mov_b32_e32 v0, 0
	v_dot4c_i32_i8_e32 v0, v200, v16
	v_dot4c_i32_i8_e32 v0, v203, v17
	;; [unrolled: 1-line block ×16, first 2 shown]
	v_mul_lo_u32 v48, v255, v215
	v_mul_lo_u32 v0, v0, v215
	v_cvt_f32_i32_e32 v1, v0
	v_cvt_f32_i32_e32 v0, v48
	v_mul_lo_u32 v52, v52, v239
	v_mul_lo_u32 v53, v53, v239
	v_cvt_f32_i32_e32 v53, v53
	v_cvt_f32_i32_e32 v52, v52
	v_pk_fma_f32 v[48:49], v[152:153], v[166:167], 0 op_sel_hi:[0,1,0]
	v_pk_fma_f32 v[0:1], v[164:165], v[0:1], 0 op_sel_hi:[1,1,0]
	v_pk_fma_f32 v[48:49], v[158:159], v[2:3], v[48:49] op_sel_hi:[0,1,1]
	v_pk_fma_f32 v[0:1], v[162:163], v[52:53], v[0:1]
	v_pk_mul_f32 v[48:49], v[48:49], v[136:137]
	v_pk_fma_f32 v[0:1], v[0:1], v[134:135], v[48:49] neg_lo:[0,0,1] neg_hi:[0,0,1]
	v_pk_add_f32 v[50:51], v[50:51], v[0:1]
	v_mov_b32_e32 v0, 0
	v_dot4c_i32_i8_e32 v0, v218, v16
	v_mov_b32_e32 v52, 0
	v_dot4c_i32_i8_e32 v0, v220, v17
	v_dot4c_i32_i8_e32 v52, v243, v8
	;; [unrolled: 1-line block ×15, first 2 shown]
	v_mul_lo_u32 v48, v55, v231
	v_mul_lo_u32 v0, v0, v231
	v_cvt_f32_i32_e32 v1, v0
	v_cvt_f32_i32_e32 v0, v48
	v_mul_lo_u32 v55, v58, v250
	v_mul_lo_u32 v52, v52, v250
	v_cvt_f32_i32_e32 v53, v52
	v_cvt_f32_i32_e32 v52, v55
	v_pk_fma_f32 v[48:49], v[156:157], v[166:167], 0 op_sel_hi:[0,1,0]
	v_pk_fma_f32 v[0:1], v[164:165], v[0:1], 0 op_sel_hi:[1,1,0]
	;; [unrolled: 1-line block ×3, first 2 shown]
	v_pk_fma_f32 v[0:1], v[162:163], v[52:53], v[0:1]
	v_pk_mul_f32 v[48:49], v[48:49], v[140:141]
	v_pk_fma_f32 v[0:1], v[0:1], v[138:139], v[48:49] neg_lo:[0,0,1] neg_hi:[0,0,1]
	v_pk_add_f32 v[46:47], v[46:47], v[0:1]
	v_mov_b32_e32 v0, 0
	v_dot4c_i32_i8_e32 v0, v245, v16
	v_dot4c_i32_i8_e32 v0, v204, v17
	;; [unrolled: 1-line block ×5, first 2 shown]
	v_mov_b32_e32 v12, 0
	v_dot4c_i32_i8_e32 v12, v188, v8
	v_dot4c_i32_i8_e32 v12, v191, v9
	;; [unrolled: 1-line block ×11, first 2 shown]
	v_mul_lo_u32 v4, v54, v183
	v_mul_lo_u32 v0, v0, v183
	v_cvt_f32_i32_e32 v1, v0
	v_cvt_f32_i32_e32 v0, v4
	v_mul_lo_u32 v6, v64, v182
	v_mul_lo_u32 v7, v12, v182
	v_cvt_f32_i32_e32 v7, v7
	v_cvt_f32_i32_e32 v6, v6
	v_pk_fma_f32 v[4:5], v[148:149], v[166:167], 0 op_sel_hi:[0,1,0]
	v_pk_fma_f32 v[0:1], v[164:165], v[0:1], 0 op_sel_hi:[1,1,0]
	;; [unrolled: 1-line block ×3, first 2 shown]
	v_pk_fma_f32 v[0:1], v[162:163], v[6:7], v[0:1]
	v_pk_mul_f32 v[2:3], v[2:3], v[144:145]
	v_pk_fma_f32 v[0:1], v[0:1], v[142:143], v[2:3] neg_lo:[0,0,1] neg_hi:[0,0,1]
	v_pk_add_f32 v[44:45], v[44:45], v[0:1]
	ds_read_b128 v[8:11], v159 offset:2048
	ds_read_b128 v[12:15], v159 offset:2064
	ds_read2_b64 v[16:19], v161 offset0:32 offset1:48
	ds_read_b128 v[4:7], v159 offset:2080
	ds_read_b128 v[0:3], v159 offset:2096
	v_mov_b32_e32 v48, 0
	v_mov_b32_e32 v55, 0
	;; [unrolled: 1-line block ×8, first 2 shown]
	s_waitcnt lgkmcnt(4)
	v_dot4c_i32_i8_e32 v48, v199, v8
	s_waitcnt lgkmcnt(1)
	v_dot4c_i32_i8_e32 v55, v212, v4
	v_dot4c_i32_i8_e32 v64, v200, v8
	;; [unrolled: 1-line block ×32, first 2 shown]
	s_waitcnt lgkmcnt(0)
	v_dot4c_i32_i8_e32 v55, v225, v0
	v_dot4c_i32_i8_e32 v64, v213, v12
	;; [unrolled: 1-line block ×31, first 2 shown]
	ds_read_b128 v[12:15], v159 offset:3072
	ds_read_b128 v[8:11], v159 offset:3088
	;; [unrolled: 1-line block ×4, first 2 shown]
	v_mov_b32_e32 v49, 0
	s_waitcnt lgkmcnt(3)
	v_dot4c_i32_i8_e32 v49, v199, v12
	v_mov_b32_e32 v58, 0
	v_dot4c_i32_i8_e32 v49, v198, v13
	s_waitcnt lgkmcnt(1)
	v_dot4c_i32_i8_e32 v58, v212, v4
	v_dot4c_i32_i8_e32 v49, v201, v14
	;; [unrolled: 1-line block ×8, first 2 shown]
	s_waitcnt lgkmcnt(0)
	v_dot4c_i32_i8_e32 v58, v225, v0
	v_dot4c_i32_i8_e32 v49, v210, v10
	;; [unrolled: 1-line block ×6, first 2 shown]
	v_cvt_f32_f16_e32 v165, v18
	v_cvt_f32_f16_e32 v164, v16
	v_cvt_f32_f16_sdwa v167, v18 dst_sel:DWORD dst_unused:UNUSED_PAD src0_sel:WORD_1
	v_cvt_f32_f16_sdwa v166, v16 dst_sel:DWORD dst_unused:UNUSED_PAD src0_sel:WORD_1
	v_cvt_f32_f16_e32 v162, v17
	v_cvt_f32_f16_sdwa v18, v17 dst_sel:DWORD dst_unused:UNUSED_PAD src0_sel:WORD_1
	v_mul_lo_u32 v16, v48, v208
	v_mul_lo_u32 v17, v49, v208
	v_cvt_f32_f16_e32 v163, v19
	v_cvt_f32_f16_sdwa v19, v19 dst_sel:DWORD dst_unused:UNUSED_PAD src0_sel:WORD_1
	v_cvt_f32_i32_e32 v17, v17
	v_cvt_f32_i32_e32 v16, v16
	v_mul_lo_u32 v55, v55, v221
	v_mul_lo_u32 v58, v58, v221
	v_cvt_f32_i32_e32 v59, v58
	v_cvt_f32_i32_e32 v58, v55
	v_pk_fma_f32 v[48:49], v[150:151], v[166:167], 0 op_sel_hi:[0,1,0]
	v_pk_fma_f32 v[16:17], v[16:17], v[164:165], 0 op_sel_hi:[1,1,0]
	;; [unrolled: 1-line block ×3, first 2 shown]
	v_pk_fma_f32 v[16:17], v[58:59], v[162:163], v[16:17]
	v_pk_mul_f32 v[48:49], v[48:49], v[132:133]
	v_pk_fma_f32 v[16:17], v[16:17], v[130:131], v[48:49] neg_lo:[0,0,1] neg_hi:[0,0,1]
	v_pk_add_f32 v[42:43], v[42:43], v[16:17]
	v_mov_b32_e32 v16, 0
	v_dot4c_i32_i8_e32 v16, v200, v12
	v_mov_b32_e32 v55, 0
	v_dot4c_i32_i8_e32 v16, v203, v13
	v_dot4c_i32_i8_e32 v55, v219, v4
	v_dot4c_i32_i8_e32 v16, v207, v14
	v_dot4c_i32_i8_e32 v55, v232, v5
	v_dot4c_i32_i8_e32 v16, v209, v15
	v_dot4c_i32_i8_e32 v55, v234, v6
	v_dot4c_i32_i8_e32 v16, v213, v8
	v_dot4c_i32_i8_e32 v55, v236, v7
	v_dot4c_i32_i8_e32 v16, v214, v9
	v_dot4c_i32_i8_e32 v55, v238, v0
	v_dot4c_i32_i8_e32 v16, v216, v10
	v_dot4c_i32_i8_e32 v55, v241, v1
	v_dot4c_i32_i8_e32 v16, v217, v11
	v_dot4c_i32_i8_e32 v55, v242, v2
	v_dot4c_i32_i8_e32 v55, v244, v3
	v_mul_lo_u32 v48, v64, v215
	v_mul_lo_u32 v16, v16, v215
	v_cvt_f32_i32_e32 v17, v16
	v_cvt_f32_i32_e32 v16, v48
	v_mul_lo_u32 v58, v68, v239
	v_mul_lo_u32 v55, v55, v239
	v_cvt_f32_i32_e32 v59, v55
	v_cvt_f32_i32_e32 v58, v58
	v_pk_fma_f32 v[48:49], v[152:153], v[166:167], 0 op_sel_hi:[0,1,0]
	v_pk_fma_f32 v[16:17], v[16:17], v[164:165], 0 op_sel_hi:[1,1,0]
	;; [unrolled: 1-line block ×3, first 2 shown]
	v_pk_fma_f32 v[16:17], v[58:59], v[162:163], v[16:17]
	v_pk_mul_f32 v[48:49], v[48:49], v[136:137]
	v_pk_fma_f32 v[16:17], v[16:17], v[134:135], v[48:49] neg_lo:[0,0,1] neg_hi:[0,0,1]
	v_pk_add_f32 v[40:41], v[40:41], v[16:17]
	v_mov_b32_e32 v16, 0
	v_dot4c_i32_i8_e32 v16, v218, v12
	v_mov_b32_e32 v55, 0
	v_dot4c_i32_i8_e32 v16, v220, v13
	v_dot4c_i32_i8_e32 v55, v243, v4
	;; [unrolled: 1-line block ×15, first 2 shown]
	v_mul_lo_u32 v48, v54, v231
	v_mul_lo_u32 v16, v16, v231
	v_cvt_f32_i32_e32 v17, v16
	v_cvt_f32_i32_e32 v16, v48
	v_mul_lo_u32 v54, v69, v250
	v_mul_lo_u32 v55, v55, v250
	v_cvt_f32_i32_e32 v55, v55
	v_cvt_f32_i32_e32 v54, v54
	v_pk_fma_f32 v[48:49], v[156:157], v[166:167], 0 op_sel_hi:[0,1,0]
	v_pk_fma_f32 v[16:17], v[16:17], v[164:165], 0 op_sel_hi:[1,1,0]
	;; [unrolled: 1-line block ×3, first 2 shown]
	v_pk_fma_f32 v[16:17], v[54:55], v[162:163], v[16:17]
	v_pk_mul_f32 v[48:49], v[48:49], v[140:141]
	v_pk_fma_f32 v[16:17], v[16:17], v[138:139], v[48:49] neg_lo:[0,0,1] neg_hi:[0,0,1]
	v_pk_add_f32 v[38:39], v[38:39], v[16:17]
	v_mov_b32_e32 v16, 0
	v_dot4c_i32_i8_e32 v16, v245, v12
	v_dot4c_i32_i8_e32 v16, v204, v13
	;; [unrolled: 1-line block ×5, first 2 shown]
	v_mov_b32_e32 v8, 0
	v_dot4c_i32_i8_e32 v8, v188, v4
	v_dot4c_i32_i8_e32 v8, v191, v5
	;; [unrolled: 1-line block ×11, first 2 shown]
	v_mul_lo_u32 v0, v52, v183
	v_mul_lo_u32 v1, v16, v183
	v_cvt_f32_i32_e32 v1, v1
	v_cvt_f32_i32_e32 v0, v0
	v_mul_lo_u32 v4, v53, v182
	v_mul_lo_u32 v5, v8, v182
	v_cvt_f32_i32_e32 v5, v5
	v_cvt_f32_i32_e32 v4, v4
	v_pk_fma_f32 v[2:3], v[148:149], v[166:167], 0 op_sel_hi:[0,1,0]
	v_pk_fma_f32 v[0:1], v[0:1], v[164:165], 0 op_sel_hi:[1,1,0]
	;; [unrolled: 1-line block ×3, first 2 shown]
	v_pk_fma_f32 v[0:1], v[4:5], v[162:163], v[0:1]
	v_pk_mul_f32 v[2:3], v[2:3], v[144:145]
	v_pk_fma_f32 v[0:1], v[0:1], v[142:143], v[2:3] neg_lo:[0,0,1] neg_hi:[0,0,1]
	v_pk_add_f32 v[36:37], v[36:37], v[0:1]
	ds_read_b128 v[12:15], v159 offset:4096
	ds_read_b128 v[8:11], v159 offset:4112
	ds_read2_b64 v[16:19], v161 offset0:64 offset1:80
	ds_read_b128 v[4:7], v159 offset:4128
	ds_read_b128 v[0:3], v159 offset:4144
	v_mov_b32_e32 v48, 0
	v_mov_b32_e32 v58, 0
	;; [unrolled: 1-line block ×8, first 2 shown]
	s_waitcnt lgkmcnt(4)
	v_dot4c_i32_i8_e32 v48, v199, v12
	s_waitcnt lgkmcnt(1)
	v_dot4c_i32_i8_e32 v58, v212, v4
	v_dot4c_i32_i8_e32 v64, v200, v12
	;; [unrolled: 1-line block ×32, first 2 shown]
	s_waitcnt lgkmcnt(0)
	v_dot4c_i32_i8_e32 v58, v225, v0
	v_dot4c_i32_i8_e32 v64, v213, v8
	;; [unrolled: 1-line block ×31, first 2 shown]
	ds_read_b128 v[12:15], v159 offset:5120
	ds_read_b128 v[8:11], v159 offset:5136
	;; [unrolled: 1-line block ×4, first 2 shown]
	v_mov_b32_e32 v49, 0
	s_waitcnt lgkmcnt(3)
	v_dot4c_i32_i8_e32 v49, v199, v12
	v_mov_b32_e32 v59, 0
	v_dot4c_i32_i8_e32 v49, v198, v13
	s_waitcnt lgkmcnt(1)
	v_dot4c_i32_i8_e32 v59, v212, v4
	v_dot4c_i32_i8_e32 v49, v201, v14
	;; [unrolled: 1-line block ×8, first 2 shown]
	s_waitcnt lgkmcnt(0)
	v_dot4c_i32_i8_e32 v59, v225, v0
	v_dot4c_i32_i8_e32 v49, v210, v10
	;; [unrolled: 1-line block ×6, first 2 shown]
	v_cvt_f32_f16_e32 v165, v18
	v_cvt_f32_f16_e32 v164, v16
	v_cvt_f32_f16_sdwa v167, v18 dst_sel:DWORD dst_unused:UNUSED_PAD src0_sel:WORD_1
	v_cvt_f32_f16_sdwa v166, v16 dst_sel:DWORD dst_unused:UNUSED_PAD src0_sel:WORD_1
	v_cvt_f32_f16_e32 v162, v17
	v_cvt_f32_f16_sdwa v18, v17 dst_sel:DWORD dst_unused:UNUSED_PAD src0_sel:WORD_1
	v_mul_lo_u32 v16, v48, v208
	v_mul_lo_u32 v17, v49, v208
	v_cvt_f32_f16_e32 v163, v19
	v_cvt_f32_f16_sdwa v19, v19 dst_sel:DWORD dst_unused:UNUSED_PAD src0_sel:WORD_1
	v_cvt_f32_i32_e32 v17, v17
	v_cvt_f32_i32_e32 v16, v16
	v_mul_lo_u32 v58, v58, v221
	v_mul_lo_u32 v59, v59, v221
	v_cvt_f32_i32_e32 v59, v59
	v_cvt_f32_i32_e32 v58, v58
	v_pk_fma_f32 v[48:49], v[150:151], v[166:167], 0 op_sel_hi:[0,1,0]
	v_pk_fma_f32 v[16:17], v[16:17], v[164:165], 0 op_sel_hi:[1,1,0]
	;; [unrolled: 1-line block ×3, first 2 shown]
	v_pk_fma_f32 v[16:17], v[58:59], v[162:163], v[16:17]
	v_pk_mul_f32 v[48:49], v[48:49], v[132:133]
	v_pk_fma_f32 v[16:17], v[16:17], v[130:131], v[48:49] neg_lo:[0,0,1] neg_hi:[0,0,1]
	v_pk_add_f32 v[34:35], v[34:35], v[16:17]
	v_mov_b32_e32 v16, 0
	v_dot4c_i32_i8_e32 v16, v200, v12
	v_mov_b32_e32 v58, 0
	v_dot4c_i32_i8_e32 v16, v203, v13
	v_dot4c_i32_i8_e32 v58, v219, v4
	;; [unrolled: 1-line block ×15, first 2 shown]
	v_mul_lo_u32 v48, v64, v215
	v_mul_lo_u32 v16, v16, v215
	v_cvt_f32_i32_e32 v17, v16
	v_cvt_f32_i32_e32 v16, v48
	v_mul_lo_u32 v64, v68, v239
	v_mul_lo_u32 v58, v58, v239
	v_cvt_f32_i32_e32 v59, v58
	v_cvt_f32_i32_e32 v58, v64
	v_pk_fma_f32 v[48:49], v[152:153], v[166:167], 0 op_sel_hi:[0,1,0]
	v_pk_fma_f32 v[16:17], v[16:17], v[164:165], 0 op_sel_hi:[1,1,0]
	;; [unrolled: 1-line block ×3, first 2 shown]
	v_pk_fma_f32 v[16:17], v[58:59], v[162:163], v[16:17]
	v_pk_mul_f32 v[48:49], v[48:49], v[136:137]
	v_pk_fma_f32 v[16:17], v[16:17], v[134:135], v[48:49] neg_lo:[0,0,1] neg_hi:[0,0,1]
	v_pk_add_f32 v[32:33], v[32:33], v[16:17]
	v_mov_b32_e32 v16, 0
	v_dot4c_i32_i8_e32 v16, v218, v12
	v_mov_b32_e32 v58, 0
	v_dot4c_i32_i8_e32 v16, v220, v13
	v_dot4c_i32_i8_e32 v58, v243, v4
	;; [unrolled: 1-line block ×15, first 2 shown]
	v_mul_lo_u32 v48, v54, v231
	v_mul_lo_u32 v16, v16, v231
	v_cvt_f32_i32_e32 v17, v16
	v_cvt_f32_i32_e32 v16, v48
	v_mul_lo_u32 v54, v55, v250
	v_mul_lo_u32 v55, v58, v250
	v_cvt_f32_i32_e32 v55, v55
	v_cvt_f32_i32_e32 v54, v54
	v_pk_fma_f32 v[48:49], v[156:157], v[166:167], 0 op_sel_hi:[0,1,0]
	v_pk_fma_f32 v[16:17], v[16:17], v[164:165], 0 op_sel_hi:[1,1,0]
	;; [unrolled: 1-line block ×3, first 2 shown]
	v_pk_fma_f32 v[16:17], v[54:55], v[162:163], v[16:17]
	v_pk_mul_f32 v[48:49], v[48:49], v[140:141]
	v_pk_fma_f32 v[16:17], v[16:17], v[138:139], v[48:49] neg_lo:[0,0,1] neg_hi:[0,0,1]
	v_pk_add_f32 v[30:31], v[30:31], v[16:17]
	v_mov_b32_e32 v16, 0
	v_dot4c_i32_i8_e32 v16, v245, v12
	v_dot4c_i32_i8_e32 v16, v204, v13
	;; [unrolled: 1-line block ×5, first 2 shown]
	v_mov_b32_e32 v8, 0
	v_dot4c_i32_i8_e32 v8, v188, v4
	v_dot4c_i32_i8_e32 v8, v191, v5
	;; [unrolled: 1-line block ×11, first 2 shown]
	v_mul_lo_u32 v0, v52, v183
	v_mul_lo_u32 v1, v16, v183
	v_cvt_f32_i32_e32 v1, v1
	v_cvt_f32_i32_e32 v0, v0
	v_mul_lo_u32 v4, v53, v182
	v_mul_lo_u32 v5, v8, v182
	v_cvt_f32_i32_e32 v5, v5
	v_cvt_f32_i32_e32 v4, v4
	v_pk_fma_f32 v[2:3], v[148:149], v[166:167], 0 op_sel_hi:[0,1,0]
	v_pk_fma_f32 v[0:1], v[0:1], v[164:165], 0 op_sel_hi:[1,1,0]
	;; [unrolled: 1-line block ×3, first 2 shown]
	v_pk_fma_f32 v[0:1], v[4:5], v[162:163], v[0:1]
	v_pk_mul_f32 v[2:3], v[2:3], v[144:145]
	v_pk_fma_f32 v[0:1], v[0:1], v[142:143], v[2:3] neg_lo:[0,0,1] neg_hi:[0,0,1]
	v_pk_add_f32 v[28:29], v[28:29], v[0:1]
	ds_read_b128 v[0:3], v159 offset:6144
	ds_read_b128 v[4:7], v159 offset:6160
	ds_read2_b64 v[16:19], v161 offset0:96 offset1:112
	ds_read_b128 v[8:11], v159 offset:6176
	ds_read_b128 v[12:15], v159 offset:6192
	v_mov_b32_e32 v58, 0
	v_mov_b32_e32 v64, 0
	;; [unrolled: 1-line block ×8, first 2 shown]
	s_waitcnt lgkmcnt(4)
	v_dot4c_i32_i8_e32 v58, v199, v0
	s_waitcnt lgkmcnt(1)
	v_dot4c_i32_i8_e32 v64, v212, v8
	v_dot4c_i32_i8_e32 v54, v200, v0
	;; [unrolled: 1-line block ×32, first 2 shown]
	s_waitcnt lgkmcnt(0)
	v_dot4c_i32_i8_e32 v64, v225, v12
	v_dot4c_i32_i8_e32 v54, v213, v4
	;; [unrolled: 1-line block ×31, first 2 shown]
	ds_read_b128 v[8:11], v159 offset:7168
	ds_read_b128 v[12:15], v159 offset:7184
	;; [unrolled: 1-line block ×4, first 2 shown]
	v_mov_b32_e32 v48, 0
	s_waitcnt lgkmcnt(3)
	v_dot4c_i32_i8_e32 v48, v199, v8
	v_mov_b32_e32 v59, 0
	v_dot4c_i32_i8_e32 v48, v198, v9
	s_waitcnt lgkmcnt(1)
	v_dot4c_i32_i8_e32 v59, v212, v4
	v_dot4c_i32_i8_e32 v48, v201, v10
	v_dot4c_i32_i8_e32 v59, v222, v5
	v_dot4c_i32_i8_e32 v48, v202, v11
	v_dot4c_i32_i8_e32 v59, v223, v6
	v_dot4c_i32_i8_e32 v48, v205, v12
	v_dot4c_i32_i8_e32 v59, v224, v7
	v_dot4c_i32_i8_e32 v48, v206, v13
	s_waitcnt lgkmcnt(0)
	v_dot4c_i32_i8_e32 v59, v225, v0
	v_dot4c_i32_i8_e32 v48, v210, v14
	;; [unrolled: 1-line block ×6, first 2 shown]
	v_cvt_f32_f16_e32 v167, v18
	v_cvt_f32_f16_e32 v166, v16
	v_cvt_f32_f16_sdwa v165, v18 dst_sel:DWORD dst_unused:UNUSED_PAD src0_sel:WORD_1
	v_cvt_f32_f16_sdwa v164, v16 dst_sel:DWORD dst_unused:UNUSED_PAD src0_sel:WORD_1
	v_cvt_f32_f16_e32 v162, v17
	v_cvt_f32_f16_sdwa v18, v17 dst_sel:DWORD dst_unused:UNUSED_PAD src0_sel:WORD_1
	v_mul_lo_u32 v16, v58, v208
	v_mul_lo_u32 v17, v48, v208
	v_cvt_f32_f16_e32 v163, v19
	v_cvt_f32_f16_sdwa v19, v19 dst_sel:DWORD dst_unused:UNUSED_PAD src0_sel:WORD_1
	v_cvt_f32_i32_e32 v17, v17
	v_cvt_f32_i32_e32 v16, v16
	v_mul_lo_u32 v58, v64, v221
	v_mul_lo_u32 v59, v59, v221
	v_cvt_f32_i32_e32 v59, v59
	v_cvt_f32_i32_e32 v58, v58
	v_pk_fma_f32 v[48:49], v[150:151], v[164:165], 0 op_sel_hi:[0,1,0]
	v_pk_fma_f32 v[16:17], v[16:17], v[166:167], 0 op_sel_hi:[1,1,0]
	v_pk_fma_f32 v[48:49], v[154:155], v[18:19], v[48:49] op_sel_hi:[0,1,1]
	v_pk_fma_f32 v[16:17], v[58:59], v[162:163], v[16:17]
	v_pk_mul_f32 v[48:49], v[48:49], v[132:133]
	v_pk_fma_f32 v[16:17], v[16:17], v[130:131], v[48:49] neg_lo:[0,0,1] neg_hi:[0,0,1]
	v_pk_add_f32 v[26:27], v[26:27], v[16:17]
	v_mov_b32_e32 v16, 0
	v_dot4c_i32_i8_e32 v16, v200, v8
	v_mov_b32_e32 v58, 0
	v_dot4c_i32_i8_e32 v16, v203, v9
	v_dot4c_i32_i8_e32 v58, v219, v4
	v_dot4c_i32_i8_e32 v16, v207, v10
	v_dot4c_i32_i8_e32 v58, v232, v5
	v_dot4c_i32_i8_e32 v16, v209, v11
	v_dot4c_i32_i8_e32 v58, v234, v6
	v_dot4c_i32_i8_e32 v16, v213, v12
	v_dot4c_i32_i8_e32 v58, v236, v7
	v_dot4c_i32_i8_e32 v16, v214, v13
	v_dot4c_i32_i8_e32 v58, v238, v0
	v_dot4c_i32_i8_e32 v16, v216, v14
	v_dot4c_i32_i8_e32 v58, v241, v1
	v_dot4c_i32_i8_e32 v16, v217, v15
	v_dot4c_i32_i8_e32 v58, v242, v2
	v_dot4c_i32_i8_e32 v58, v244, v3
	v_mul_lo_u32 v48, v54, v215
	v_mul_lo_u32 v16, v16, v215
	v_cvt_f32_i32_e32 v17, v16
	v_cvt_f32_i32_e32 v16, v48
	v_mul_lo_u32 v54, v55, v239
	v_mul_lo_u32 v55, v58, v239
	v_cvt_f32_i32_e32 v55, v55
	v_cvt_f32_i32_e32 v54, v54
	v_pk_fma_f32 v[48:49], v[152:153], v[164:165], 0 op_sel_hi:[0,1,0]
	v_pk_fma_f32 v[16:17], v[16:17], v[166:167], 0 op_sel_hi:[1,1,0]
	v_pk_fma_f32 v[48:49], v[158:159], v[18:19], v[48:49] op_sel_hi:[0,1,1]
	v_pk_fma_f32 v[16:17], v[54:55], v[162:163], v[16:17]
	v_pk_mul_f32 v[48:49], v[48:49], v[136:137]
	v_pk_fma_f32 v[16:17], v[16:17], v[134:135], v[48:49] neg_lo:[0,0,1] neg_hi:[0,0,1]
	v_pk_add_f32 v[24:25], v[24:25], v[16:17]
	v_mov_b32_e32 v16, 0
	v_dot4c_i32_i8_e32 v16, v218, v8
	v_mov_b32_e32 v54, 0
	v_dot4c_i32_i8_e32 v16, v220, v9
	v_dot4c_i32_i8_e32 v54, v243, v4
	v_dot4c_i32_i8_e32 v16, v228, v10
	v_dot4c_i32_i8_e32 v54, v246, v5
	v_dot4c_i32_i8_e32 v16, v229, v11
	v_dot4c_i32_i8_e32 v54, v247, v6
	v_dot4c_i32_i8_e32 v16, v233, v12
	v_dot4c_i32_i8_e32 v54, v248, v7
	v_dot4c_i32_i8_e32 v16, v235, v13
	v_dot4c_i32_i8_e32 v54, v249, v0
	v_dot4c_i32_i8_e32 v16, v237, v14
	v_dot4c_i32_i8_e32 v54, v251, v1
	v_dot4c_i32_i8_e32 v16, v240, v15
	v_dot4c_i32_i8_e32 v54, v252, v2
	v_dot4c_i32_i8_e32 v54, v253, v3
	v_mul_lo_u32 v48, v52, v231
	v_mul_lo_u32 v16, v16, v231
	;; [unrolled: 33-line block ×3, first 2 shown]
	v_cvt_f32_i32_e32 v1, v1
	v_cvt_f32_i32_e32 v0, v0
	v_mul_lo_u32 v4, v254, v182
	v_mul_lo_u32 v5, v8, v182
	v_cvt_f32_i32_e32 v5, v5
	v_cvt_f32_i32_e32 v4, v4
	v_pk_fma_f32 v[2:3], v[148:149], v[164:165], 0 op_sel_hi:[0,1,0]
	v_pk_fma_f32 v[0:1], v[0:1], v[166:167], 0 op_sel_hi:[1,1,0]
	v_pk_fma_f32 v[2:3], v[146:147], v[18:19], v[2:3] op_sel_hi:[0,1,1]
	v_pk_fma_f32 v[0:1], v[4:5], v[162:163], v[0:1]
	v_pk_mul_f32 v[2:3], v[2:3], v[144:145]
	v_pk_fma_f32 v[0:1], v[0:1], v[142:143], v[2:3] neg_lo:[0,0,1] neg_hi:[0,0,1]
	s_add_i32 s4, s4, 8
	s_add_i32 s17, s9, 8
	;; [unrolled: 1-line block ×4, first 2 shown]
	v_pk_add_f32 v[20:21], v[20:21], v[0:1]
	v_add_u32_e32 v181, 32, v181
	v_add_u32_e32 v161, 8, v161
	;; [unrolled: 1-line block ×3, first 2 shown]
	s_cmp_lt_u32 s9, 24
	s_mov_b32 s9, s17
	s_cbranch_scc1 .LBB152_8
; %bb.9:                                ;   in Loop: Header=BB152_5 Depth=1
	s_add_i32 s0, s0, 1
	s_cmp_eq_u32 s0, s7
	s_barrier
	s_cbranch_scc0 .LBB152_5
; %bb.10:
	buffer_load_dword v1, off, s[20:23], 0 offset:72 ; 4-byte Folded Reload
	buffer_load_dword v2, off, s[20:23], 0 offset:76 ; 4-byte Folded Reload
.LBB152_11:
	s_waitcnt vmcnt(0)
	v_cmp_gt_u32_e32 vcc, s10, v2
	s_and_saveexec_b64 s[0:1], vcc
	s_cbranch_execz .LBB152_62
; %bb.12:
	v_add_u32_e32 v0, s6, v80
	v_mul_lo_u32 v5, v2, s14
	v_cmp_gt_u32_e32 vcc, s14, v0
	s_and_saveexec_b64 s[2:3], vcc
	s_cbranch_execz .LBB152_14
; %bb.13:
	v_add_u32_e32 v2, v0, v5
	v_mov_b32_e32 v3, 0
	v_cvt_f16_f32_e32 v6, v60
	v_lshlrev_b64 v[2:3], 1, v[2:3]
	s_waitcnt lgkmcnt(0)
	v_mov_b32_e32 v4, s13
	v_add_co_u32_e64 v2, s[0:1], s12, v2
	v_addc_co_u32_e64 v3, s[0:1], v4, v3, s[0:1]
	global_store_short v[2:3], v6, off
.LBB152_14:
	s_or_b64 exec, exec, s[2:3]
	v_add_u32_e32 v2, 32, v0
	v_cmp_gt_u32_e64 s[0:1], s14, v2
	s_and_saveexec_b64 s[4:5], s[0:1]
	s_cbranch_execz .LBB152_16
; %bb.15:
	v_add_u32_e32 v6, v2, v5
	v_mov_b32_e32 v7, 0
	v_cvt_f16_f32_e32 v4, v50
	v_lshlrev_b64 v[6:7], 1, v[6:7]
	s_waitcnt lgkmcnt(0)
	v_mov_b32_e32 v3, s13
	v_add_co_u32_e64 v6, s[2:3], s12, v6
	v_addc_co_u32_e64 v7, s[2:3], v3, v7, s[2:3]
	global_store_short v[6:7], v4, off
.LBB152_16:
	s_or_b64 exec, exec, s[4:5]
	v_add_u32_e32 v3, 64, v0
	v_cmp_gt_u32_e64 s[2:3], s14, v3
	s_and_saveexec_b64 s[6:7], s[2:3]
	;; [unrolled: 16-line block ×3, first 2 shown]
	s_cbranch_execz .LBB152_20
; %bb.19:
	v_add_u32_e32 v6, v4, v5
	v_mov_b32_e32 v7, 0
	v_cvt_f16_f32_e32 v8, v44
	v_lshlrev_b64 v[6:7], 1, v[6:7]
	s_waitcnt lgkmcnt(0)
	v_mov_b32_e32 v5, s13
	v_add_co_u32_e64 v6, s[6:7], s12, v6
	v_addc_co_u32_e64 v7, s[6:7], v5, v7, s[6:7]
	global_store_short v[6:7], v8, off
.LBB152_20:
	s_or_b64 exec, exec, s[8:9]
	v_add3_u32 v5, v1, s15, 8
	v_cmp_gt_u32_e64 s[6:7], s10, v5
	s_and_b64 exec, exec, s[6:7]
	s_cbranch_execz .LBB152_62
; %bb.21:
	v_mul_lo_u32 v5, v5, s14
	s_and_saveexec_b64 s[8:9], vcc
	s_cbranch_execnz .LBB152_63
; %bb.22:
	s_or_b64 exec, exec, s[8:9]
	s_and_saveexec_b64 s[8:9], s[0:1]
	s_cbranch_execnz .LBB152_64
.LBB152_23:
	s_or_b64 exec, exec, s[8:9]
	s_and_saveexec_b64 s[8:9], s[2:3]
	s_cbranch_execnz .LBB152_65
.LBB152_24:
	s_or_b64 exec, exec, s[8:9]
	s_and_saveexec_b64 s[8:9], s[4:5]
	s_cbranch_execz .LBB152_26
.LBB152_25:
	v_add_u32_e32 v6, v5, v4
	v_mov_b32_e32 v7, 0
	v_cvt_f16_f32_e32 v8, v45
	v_lshlrev_b64 v[6:7], 1, v[6:7]
	s_waitcnt lgkmcnt(0)
	v_mov_b32_e32 v5, s13
	v_add_co_u32_e64 v6, s[6:7], s12, v6
	v_addc_co_u32_e64 v7, s[6:7], v5, v7, s[6:7]
	global_store_short v[6:7], v8, off
.LBB152_26:
	s_or_b64 exec, exec, s[8:9]
	v_add3_u32 v5, v1, s15, 16
	v_cmp_gt_u32_e64 s[6:7], s10, v5
	s_and_b64 exec, exec, s[6:7]
	s_cbranch_execz .LBB152_62
; %bb.27:
	v_mul_lo_u32 v5, v5, s14
	s_and_saveexec_b64 s[8:9], vcc
	s_cbranch_execnz .LBB152_66
; %bb.28:
	s_or_b64 exec, exec, s[8:9]
	s_and_saveexec_b64 s[8:9], s[0:1]
	s_cbranch_execnz .LBB152_67
.LBB152_29:
	s_or_b64 exec, exec, s[8:9]
	s_and_saveexec_b64 s[8:9], s[2:3]
	s_cbranch_execnz .LBB152_68
.LBB152_30:
	s_or_b64 exec, exec, s[8:9]
	s_and_saveexec_b64 s[8:9], s[4:5]
	s_cbranch_execz .LBB152_32
.LBB152_31:
	v_add_u32_e32 v6, v5, v4
	v_mov_b32_e32 v7, 0
	v_cvt_f16_f32_e32 v8, v36
	v_lshlrev_b64 v[6:7], 1, v[6:7]
	s_waitcnt lgkmcnt(0)
	v_mov_b32_e32 v5, s13
	v_add_co_u32_e64 v6, s[6:7], s12, v6
	v_addc_co_u32_e64 v7, s[6:7], v5, v7, s[6:7]
	global_store_short v[6:7], v8, off
.LBB152_32:
	s_or_b64 exec, exec, s[8:9]
	v_add3_u32 v5, v1, s15, 24
	v_cmp_gt_u32_e64 s[6:7], s10, v5
	s_and_b64 exec, exec, s[6:7]
	s_cbranch_execz .LBB152_62
; %bb.33:
	v_mul_lo_u32 v5, v5, s14
	s_and_saveexec_b64 s[8:9], vcc
	s_cbranch_execnz .LBB152_69
; %bb.34:
	s_or_b64 exec, exec, s[8:9]
	s_and_saveexec_b64 s[8:9], s[0:1]
	s_cbranch_execnz .LBB152_70
.LBB152_35:
	s_or_b64 exec, exec, s[8:9]
	s_and_saveexec_b64 s[8:9], s[2:3]
	s_cbranch_execnz .LBB152_71
.LBB152_36:
	s_or_b64 exec, exec, s[8:9]
	s_and_saveexec_b64 s[8:9], s[4:5]
	s_cbranch_execz .LBB152_38
.LBB152_37:
	v_add_u32_e32 v6, v5, v4
	v_mov_b32_e32 v7, 0
	v_cvt_f16_f32_e32 v8, v37
	v_lshlrev_b64 v[6:7], 1, v[6:7]
	s_waitcnt lgkmcnt(0)
	v_mov_b32_e32 v5, s13
	v_add_co_u32_e64 v6, s[6:7], s12, v6
	v_addc_co_u32_e64 v7, s[6:7], v5, v7, s[6:7]
	global_store_short v[6:7], v8, off
.LBB152_38:
	s_or_b64 exec, exec, s[8:9]
	v_add3_u32 v5, v1, s15, 32
	v_cmp_gt_u32_e64 s[6:7], s10, v5
	s_and_b64 exec, exec, s[6:7]
	s_cbranch_execz .LBB152_62
; %bb.39:
	v_mul_lo_u32 v5, v5, s14
	s_and_saveexec_b64 s[8:9], vcc
	s_cbranch_execnz .LBB152_72
; %bb.40:
	s_or_b64 exec, exec, s[8:9]
	s_and_saveexec_b64 s[8:9], s[0:1]
	s_cbranch_execnz .LBB152_73
.LBB152_41:
	s_or_b64 exec, exec, s[8:9]
	s_and_saveexec_b64 s[8:9], s[2:3]
	s_cbranch_execnz .LBB152_74
.LBB152_42:
	s_or_b64 exec, exec, s[8:9]
	s_and_saveexec_b64 s[8:9], s[4:5]
	s_cbranch_execz .LBB152_44
.LBB152_43:
	v_add_u32_e32 v6, v5, v4
	v_mov_b32_e32 v7, 0
	v_cvt_f16_f32_e32 v8, v28
	v_lshlrev_b64 v[6:7], 1, v[6:7]
	s_waitcnt lgkmcnt(0)
	v_mov_b32_e32 v5, s13
	v_add_co_u32_e64 v6, s[6:7], s12, v6
	v_addc_co_u32_e64 v7, s[6:7], v5, v7, s[6:7]
	global_store_short v[6:7], v8, off
.LBB152_44:
	s_or_b64 exec, exec, s[8:9]
	v_add3_u32 v5, v1, s15, 40
	v_cmp_gt_u32_e64 s[6:7], s10, v5
	s_and_b64 exec, exec, s[6:7]
	s_cbranch_execz .LBB152_62
; %bb.45:
	v_mul_lo_u32 v5, v5, s14
	s_and_saveexec_b64 s[8:9], vcc
	s_cbranch_execnz .LBB152_75
; %bb.46:
	s_or_b64 exec, exec, s[8:9]
	s_and_saveexec_b64 s[8:9], s[0:1]
	s_cbranch_execnz .LBB152_76
.LBB152_47:
	s_or_b64 exec, exec, s[8:9]
	s_and_saveexec_b64 s[8:9], s[2:3]
	s_cbranch_execnz .LBB152_77
.LBB152_48:
	s_or_b64 exec, exec, s[8:9]
	s_and_saveexec_b64 s[8:9], s[4:5]
	s_cbranch_execz .LBB152_50
.LBB152_49:
	v_add_u32_e32 v6, v5, v4
	v_mov_b32_e32 v7, 0
	v_cvt_f16_f32_e32 v8, v29
	v_lshlrev_b64 v[6:7], 1, v[6:7]
	s_waitcnt lgkmcnt(0)
	v_mov_b32_e32 v5, s13
	v_add_co_u32_e64 v6, s[6:7], s12, v6
	v_addc_co_u32_e64 v7, s[6:7], v5, v7, s[6:7]
	global_store_short v[6:7], v8, off
.LBB152_50:
	s_or_b64 exec, exec, s[8:9]
	v_add3_u32 v5, v1, s15, 48
	v_cmp_gt_u32_e64 s[6:7], s10, v5
	s_and_b64 exec, exec, s[6:7]
	s_cbranch_execz .LBB152_62
; %bb.51:
	v_mul_lo_u32 v5, v5, s14
	s_and_saveexec_b64 s[8:9], vcc
	s_cbranch_execnz .LBB152_78
; %bb.52:
	s_or_b64 exec, exec, s[8:9]
	s_and_saveexec_b64 s[8:9], s[0:1]
	s_cbranch_execnz .LBB152_79
.LBB152_53:
	s_or_b64 exec, exec, s[8:9]
	s_and_saveexec_b64 s[8:9], s[2:3]
	s_cbranch_execnz .LBB152_80
.LBB152_54:
	s_or_b64 exec, exec, s[8:9]
	s_and_saveexec_b64 s[8:9], s[4:5]
	s_cbranch_execz .LBB152_56
.LBB152_55:
	v_add_u32_e32 v6, v5, v4
	v_mov_b32_e32 v7, 0
	v_cvt_f16_f32_e32 v8, v20
	v_lshlrev_b64 v[6:7], 1, v[6:7]
	s_waitcnt lgkmcnt(0)
	v_mov_b32_e32 v5, s13
	v_add_co_u32_e64 v6, s[6:7], s12, v6
	v_addc_co_u32_e64 v7, s[6:7], v5, v7, s[6:7]
	global_store_short v[6:7], v8, off
.LBB152_56:
	s_or_b64 exec, exec, s[8:9]
	v_add3_u32 v1, v1, s15, 56
	v_cmp_gt_u32_e64 s[6:7], s10, v1
	s_and_b64 exec, exec, s[6:7]
	s_cbranch_execz .LBB152_62
; %bb.57:
	v_mul_lo_u32 v1, v1, s14
	s_and_saveexec_b64 s[6:7], vcc
	s_cbranch_execnz .LBB152_81
; %bb.58:
	s_or_b64 exec, exec, s[6:7]
	s_and_saveexec_b64 s[6:7], s[0:1]
	s_cbranch_execnz .LBB152_82
.LBB152_59:
	s_or_b64 exec, exec, s[6:7]
	s_and_saveexec_b64 s[0:1], s[2:3]
	s_cbranch_execnz .LBB152_83
.LBB152_60:
	s_or_b64 exec, exec, s[0:1]
	s_and_b64 exec, exec, s[4:5]
	s_cbranch_execz .LBB152_62
.LBB152_61:
	v_add_u32_e32 v0, v1, v4
	v_mov_b32_e32 v1, 0
	v_cvt_f16_f32_e32 v3, v21
	v_lshlrev_b64 v[0:1], 1, v[0:1]
	s_waitcnt lgkmcnt(0)
	v_mov_b32_e32 v2, s13
	v_add_co_u32_e32 v0, vcc, s12, v0
	v_addc_co_u32_e32 v1, vcc, v2, v1, vcc
	global_store_short v[0:1], v3, off
.LBB152_62:
	s_endpgm
.LBB152_63:
	v_add_u32_e32 v6, v5, v0
	v_mov_b32_e32 v7, 0
	v_cvt_f16_f32_e32 v9, v61
	v_lshlrev_b64 v[6:7], 1, v[6:7]
	s_waitcnt lgkmcnt(0)
	v_mov_b32_e32 v8, s13
	v_add_co_u32_e64 v6, s[6:7], s12, v6
	v_addc_co_u32_e64 v7, s[6:7], v8, v7, s[6:7]
	global_store_short v[6:7], v9, off
	s_or_b64 exec, exec, s[8:9]
	s_and_saveexec_b64 s[8:9], s[0:1]
	s_cbranch_execz .LBB152_23
.LBB152_64:
	v_add_u32_e32 v6, v5, v2
	v_mov_b32_e32 v7, 0
	v_cvt_f16_f32_e32 v9, v51
	v_lshlrev_b64 v[6:7], 1, v[6:7]
	s_waitcnt lgkmcnt(0)
	v_mov_b32_e32 v8, s13
	v_add_co_u32_e64 v6, s[6:7], s12, v6
	v_addc_co_u32_e64 v7, s[6:7], v8, v7, s[6:7]
	global_store_short v[6:7], v9, off
	s_or_b64 exec, exec, s[8:9]
	s_and_saveexec_b64 s[8:9], s[2:3]
	s_cbranch_execz .LBB152_24
.LBB152_65:
	v_add_u32_e32 v6, v5, v3
	v_mov_b32_e32 v7, 0
	v_cvt_f16_f32_e32 v9, v47
	v_lshlrev_b64 v[6:7], 1, v[6:7]
	s_waitcnt lgkmcnt(0)
	v_mov_b32_e32 v8, s13
	v_add_co_u32_e64 v6, s[6:7], s12, v6
	v_addc_co_u32_e64 v7, s[6:7], v8, v7, s[6:7]
	global_store_short v[6:7], v9, off
	s_or_b64 exec, exec, s[8:9]
	s_and_saveexec_b64 s[8:9], s[4:5]
	s_cbranch_execnz .LBB152_25
	s_branch .LBB152_26
.LBB152_66:
	v_add_u32_e32 v6, v5, v0
	v_mov_b32_e32 v7, 0
	v_cvt_f16_f32_e32 v9, v42
	v_lshlrev_b64 v[6:7], 1, v[6:7]
	s_waitcnt lgkmcnt(0)
	v_mov_b32_e32 v8, s13
	v_add_co_u32_e64 v6, s[6:7], s12, v6
	v_addc_co_u32_e64 v7, s[6:7], v8, v7, s[6:7]
	global_store_short v[6:7], v9, off
	s_or_b64 exec, exec, s[8:9]
	s_and_saveexec_b64 s[8:9], s[0:1]
	s_cbranch_execz .LBB152_29
.LBB152_67:
	v_add_u32_e32 v6, v5, v2
	v_mov_b32_e32 v7, 0
	v_cvt_f16_f32_e32 v9, v40
	v_lshlrev_b64 v[6:7], 1, v[6:7]
	s_waitcnt lgkmcnt(0)
	v_mov_b32_e32 v8, s13
	v_add_co_u32_e64 v6, s[6:7], s12, v6
	v_addc_co_u32_e64 v7, s[6:7], v8, v7, s[6:7]
	global_store_short v[6:7], v9, off
	s_or_b64 exec, exec, s[8:9]
	s_and_saveexec_b64 s[8:9], s[2:3]
	s_cbranch_execz .LBB152_30
.LBB152_68:
	v_add_u32_e32 v6, v5, v3
	v_mov_b32_e32 v7, 0
	v_cvt_f16_f32_e32 v9, v38
	v_lshlrev_b64 v[6:7], 1, v[6:7]
	s_waitcnt lgkmcnt(0)
	v_mov_b32_e32 v8, s13
	v_add_co_u32_e64 v6, s[6:7], s12, v6
	v_addc_co_u32_e64 v7, s[6:7], v8, v7, s[6:7]
	global_store_short v[6:7], v9, off
	s_or_b64 exec, exec, s[8:9]
	s_and_saveexec_b64 s[8:9], s[4:5]
	s_cbranch_execnz .LBB152_31
	s_branch .LBB152_32
.LBB152_69:
	v_add_u32_e32 v6, v5, v0
	v_mov_b32_e32 v7, 0
	v_cvt_f16_f32_e32 v9, v43
	v_lshlrev_b64 v[6:7], 1, v[6:7]
	s_waitcnt lgkmcnt(0)
	v_mov_b32_e32 v8, s13
	v_add_co_u32_e64 v6, s[6:7], s12, v6
	v_addc_co_u32_e64 v7, s[6:7], v8, v7, s[6:7]
	global_store_short v[6:7], v9, off
	s_or_b64 exec, exec, s[8:9]
	s_and_saveexec_b64 s[8:9], s[0:1]
	s_cbranch_execz .LBB152_35
.LBB152_70:
	v_add_u32_e32 v6, v5, v2
	v_mov_b32_e32 v7, 0
	v_cvt_f16_f32_e32 v9, v41
	v_lshlrev_b64 v[6:7], 1, v[6:7]
	s_waitcnt lgkmcnt(0)
	v_mov_b32_e32 v8, s13
	v_add_co_u32_e64 v6, s[6:7], s12, v6
	v_addc_co_u32_e64 v7, s[6:7], v8, v7, s[6:7]
	global_store_short v[6:7], v9, off
	s_or_b64 exec, exec, s[8:9]
	s_and_saveexec_b64 s[8:9], s[2:3]
	s_cbranch_execz .LBB152_36
.LBB152_71:
	v_add_u32_e32 v6, v5, v3
	v_mov_b32_e32 v7, 0
	v_cvt_f16_f32_e32 v9, v39
	v_lshlrev_b64 v[6:7], 1, v[6:7]
	s_waitcnt lgkmcnt(0)
	v_mov_b32_e32 v8, s13
	v_add_co_u32_e64 v6, s[6:7], s12, v6
	v_addc_co_u32_e64 v7, s[6:7], v8, v7, s[6:7]
	global_store_short v[6:7], v9, off
	s_or_b64 exec, exec, s[8:9]
	s_and_saveexec_b64 s[8:9], s[4:5]
	s_cbranch_execnz .LBB152_37
	s_branch .LBB152_38
.LBB152_72:
	v_add_u32_e32 v6, v5, v0
	v_mov_b32_e32 v7, 0
	v_cvt_f16_f32_e32 v9, v34
	v_lshlrev_b64 v[6:7], 1, v[6:7]
	s_waitcnt lgkmcnt(0)
	v_mov_b32_e32 v8, s13
	v_add_co_u32_e64 v6, s[6:7], s12, v6
	v_addc_co_u32_e64 v7, s[6:7], v8, v7, s[6:7]
	global_store_short v[6:7], v9, off
	s_or_b64 exec, exec, s[8:9]
	s_and_saveexec_b64 s[8:9], s[0:1]
	s_cbranch_execz .LBB152_41
.LBB152_73:
	v_add_u32_e32 v6, v5, v2
	v_mov_b32_e32 v7, 0
	v_cvt_f16_f32_e32 v9, v32
	v_lshlrev_b64 v[6:7], 1, v[6:7]
	s_waitcnt lgkmcnt(0)
	v_mov_b32_e32 v8, s13
	v_add_co_u32_e64 v6, s[6:7], s12, v6
	v_addc_co_u32_e64 v7, s[6:7], v8, v7, s[6:7]
	global_store_short v[6:7], v9, off
	s_or_b64 exec, exec, s[8:9]
	s_and_saveexec_b64 s[8:9], s[2:3]
	s_cbranch_execz .LBB152_42
.LBB152_74:
	v_add_u32_e32 v6, v5, v3
	v_mov_b32_e32 v7, 0
	v_cvt_f16_f32_e32 v9, v30
	v_lshlrev_b64 v[6:7], 1, v[6:7]
	s_waitcnt lgkmcnt(0)
	v_mov_b32_e32 v8, s13
	v_add_co_u32_e64 v6, s[6:7], s12, v6
	v_addc_co_u32_e64 v7, s[6:7], v8, v7, s[6:7]
	global_store_short v[6:7], v9, off
	s_or_b64 exec, exec, s[8:9]
	s_and_saveexec_b64 s[8:9], s[4:5]
	s_cbranch_execnz .LBB152_43
	s_branch .LBB152_44
.LBB152_75:
	v_add_u32_e32 v6, v5, v0
	v_mov_b32_e32 v7, 0
	v_cvt_f16_f32_e32 v9, v35
	v_lshlrev_b64 v[6:7], 1, v[6:7]
	s_waitcnt lgkmcnt(0)
	v_mov_b32_e32 v8, s13
	v_add_co_u32_e64 v6, s[6:7], s12, v6
	v_addc_co_u32_e64 v7, s[6:7], v8, v7, s[6:7]
	global_store_short v[6:7], v9, off
	s_or_b64 exec, exec, s[8:9]
	s_and_saveexec_b64 s[8:9], s[0:1]
	s_cbranch_execz .LBB152_47
.LBB152_76:
	v_add_u32_e32 v6, v5, v2
	v_mov_b32_e32 v7, 0
	v_cvt_f16_f32_e32 v9, v33
	v_lshlrev_b64 v[6:7], 1, v[6:7]
	s_waitcnt lgkmcnt(0)
	v_mov_b32_e32 v8, s13
	v_add_co_u32_e64 v6, s[6:7], s12, v6
	v_addc_co_u32_e64 v7, s[6:7], v8, v7, s[6:7]
	global_store_short v[6:7], v9, off
	s_or_b64 exec, exec, s[8:9]
	s_and_saveexec_b64 s[8:9], s[2:3]
	s_cbranch_execz .LBB152_48
.LBB152_77:
	v_add_u32_e32 v6, v5, v3
	v_mov_b32_e32 v7, 0
	v_cvt_f16_f32_e32 v9, v31
	v_lshlrev_b64 v[6:7], 1, v[6:7]
	s_waitcnt lgkmcnt(0)
	v_mov_b32_e32 v8, s13
	v_add_co_u32_e64 v6, s[6:7], s12, v6
	v_addc_co_u32_e64 v7, s[6:7], v8, v7, s[6:7]
	global_store_short v[6:7], v9, off
	s_or_b64 exec, exec, s[8:9]
	s_and_saveexec_b64 s[8:9], s[4:5]
	s_cbranch_execnz .LBB152_49
	s_branch .LBB152_50
.LBB152_78:
	v_add_u32_e32 v6, v5, v0
	v_mov_b32_e32 v7, 0
	v_cvt_f16_f32_e32 v9, v26
	v_lshlrev_b64 v[6:7], 1, v[6:7]
	s_waitcnt lgkmcnt(0)
	v_mov_b32_e32 v8, s13
	v_add_co_u32_e64 v6, s[6:7], s12, v6
	v_addc_co_u32_e64 v7, s[6:7], v8, v7, s[6:7]
	global_store_short v[6:7], v9, off
	s_or_b64 exec, exec, s[8:9]
	s_and_saveexec_b64 s[8:9], s[0:1]
	s_cbranch_execz .LBB152_53
.LBB152_79:
	v_add_u32_e32 v6, v5, v2
	v_mov_b32_e32 v7, 0
	v_cvt_f16_f32_e32 v9, v24
	v_lshlrev_b64 v[6:7], 1, v[6:7]
	s_waitcnt lgkmcnt(0)
	v_mov_b32_e32 v8, s13
	v_add_co_u32_e64 v6, s[6:7], s12, v6
	v_addc_co_u32_e64 v7, s[6:7], v8, v7, s[6:7]
	global_store_short v[6:7], v9, off
	s_or_b64 exec, exec, s[8:9]
	s_and_saveexec_b64 s[8:9], s[2:3]
	s_cbranch_execz .LBB152_54
.LBB152_80:
	v_add_u32_e32 v6, v5, v3
	v_mov_b32_e32 v7, 0
	v_cvt_f16_f32_e32 v9, v22
	v_lshlrev_b64 v[6:7], 1, v[6:7]
	s_waitcnt lgkmcnt(0)
	v_mov_b32_e32 v8, s13
	v_add_co_u32_e64 v6, s[6:7], s12, v6
	v_addc_co_u32_e64 v7, s[6:7], v8, v7, s[6:7]
	global_store_short v[6:7], v9, off
	s_or_b64 exec, exec, s[8:9]
	s_and_saveexec_b64 s[8:9], s[4:5]
	s_cbranch_execnz .LBB152_55
	s_branch .LBB152_56
.LBB152_81:
	v_add_u32_e32 v6, v1, v0
	v_mov_b32_e32 v7, 0
	v_cvt_f16_f32_e32 v5, v27
	v_lshlrev_b64 v[6:7], 1, v[6:7]
	s_waitcnt lgkmcnt(0)
	v_mov_b32_e32 v0, s13
	v_add_co_u32_e32 v6, vcc, s12, v6
	v_addc_co_u32_e32 v7, vcc, v0, v7, vcc
	global_store_short v[6:7], v5, off
	s_or_b64 exec, exec, s[6:7]
	s_and_saveexec_b64 s[6:7], s[0:1]
	s_cbranch_execz .LBB152_59
.LBB152_82:
	v_add_u32_e32 v6, v1, v2
	v_mov_b32_e32 v7, 0
	v_cvt_f16_f32_e32 v2, v25
	v_lshlrev_b64 v[6:7], 1, v[6:7]
	s_waitcnt lgkmcnt(0)
	v_mov_b32_e32 v0, s13
	v_add_co_u32_e32 v6, vcc, s12, v6
	v_addc_co_u32_e32 v7, vcc, v0, v7, vcc
	global_store_short v[6:7], v2, off
	s_or_b64 exec, exec, s[6:7]
	s_and_saveexec_b64 s[0:1], s[2:3]
	s_cbranch_execz .LBB152_60
.LBB152_83:
	v_add_u32_e32 v2, v1, v3
	v_mov_b32_e32 v3, 0
	v_cvt_f16_f32_e32 v5, v23
	v_lshlrev_b64 v[2:3], 1, v[2:3]
	s_waitcnt lgkmcnt(0)
	v_mov_b32_e32 v0, s13
	v_add_co_u32_e32 v2, vcc, s12, v2
	v_addc_co_u32_e32 v3, vcc, v0, v3, vcc
	global_store_short v[2:3], v5, off
	s_or_b64 exec, exec, s[0:1]
	s_and_b64 exec, exec, s[4:5]
	s_cbranch_execnz .LBB152_61
	s_branch .LBB152_62
	.section	.rodata,"a",@progbits
	.p2align	6, 0x0
	.amdhsa_kernel _ZL12mul_mat_q4_KIN3c104HalfELb1EEvPKvS3_PT_iiiii
		.amdhsa_group_segment_fixed_size 28752
		.amdhsa_private_segment_fixed_size 84
		.amdhsa_kernarg_size 44
		.amdhsa_user_sgpr_count 6
		.amdhsa_user_sgpr_private_segment_buffer 1
		.amdhsa_user_sgpr_dispatch_ptr 0
		.amdhsa_user_sgpr_queue_ptr 0
		.amdhsa_user_sgpr_kernarg_segment_ptr 1
		.amdhsa_user_sgpr_dispatch_id 0
		.amdhsa_user_sgpr_flat_scratch_init 0
		.amdhsa_user_sgpr_kernarg_preload_length 0
		.amdhsa_user_sgpr_kernarg_preload_offset 0
		.amdhsa_user_sgpr_private_segment_size 0
		.amdhsa_uses_dynamic_stack 0
		.amdhsa_system_sgpr_private_segment_wavefront_offset 1
		.amdhsa_system_sgpr_workgroup_id_x 1
		.amdhsa_system_sgpr_workgroup_id_y 1
		.amdhsa_system_sgpr_workgroup_id_z 0
		.amdhsa_system_sgpr_workgroup_info 0
		.amdhsa_system_vgpr_workitem_id 1
		.amdhsa_next_free_vgpr 256
		.amdhsa_next_free_sgpr 24
		.amdhsa_accum_offset 256
		.amdhsa_reserve_vcc 1
		.amdhsa_reserve_flat_scratch 0
		.amdhsa_float_round_mode_32 0
		.amdhsa_float_round_mode_16_64 0
		.amdhsa_float_denorm_mode_32 3
		.amdhsa_float_denorm_mode_16_64 3
		.amdhsa_dx10_clamp 1
		.amdhsa_ieee_mode 1
		.amdhsa_fp16_overflow 0
		.amdhsa_tg_split 0
		.amdhsa_exception_fp_ieee_invalid_op 0
		.amdhsa_exception_fp_denorm_src 0
		.amdhsa_exception_fp_ieee_div_zero 0
		.amdhsa_exception_fp_ieee_overflow 0
		.amdhsa_exception_fp_ieee_underflow 0
		.amdhsa_exception_fp_ieee_inexact 0
		.amdhsa_exception_int_div_zero 0
	.end_amdhsa_kernel
	.section	.text._ZL12mul_mat_q4_KIN3c104HalfELb1EEvPKvS3_PT_iiiii,"axG",@progbits,_ZL12mul_mat_q4_KIN3c104HalfELb1EEvPKvS3_PT_iiiii,comdat
.Lfunc_end152:
	.size	_ZL12mul_mat_q4_KIN3c104HalfELb1EEvPKvS3_PT_iiiii, .Lfunc_end152-_ZL12mul_mat_q4_KIN3c104HalfELb1EEvPKvS3_PT_iiiii
                                        ; -- End function
	.section	.AMDGPU.csdata,"",@progbits
; Kernel info:
; codeLenInByte = 17904
; NumSgprs: 28
; NumVgprs: 256
; NumAgprs: 0
; TotalNumVgprs: 256
; ScratchSize: 84
; MemoryBound: 0
; FloatMode: 240
; IeeeMode: 1
; LDSByteSize: 28752 bytes/workgroup (compile time only)
; SGPRBlocks: 3
; VGPRBlocks: 31
; NumSGPRsForWavesPerEU: 28
; NumVGPRsForWavesPerEU: 256
; AccumOffset: 256
; Occupancy: 2
; WaveLimiterHint : 0
; COMPUTE_PGM_RSRC2:SCRATCH_EN: 1
; COMPUTE_PGM_RSRC2:USER_SGPR: 6
; COMPUTE_PGM_RSRC2:TRAP_HANDLER: 0
; COMPUTE_PGM_RSRC2:TGID_X_EN: 1
; COMPUTE_PGM_RSRC2:TGID_Y_EN: 1
; COMPUTE_PGM_RSRC2:TGID_Z_EN: 0
; COMPUTE_PGM_RSRC2:TIDIG_COMP_CNT: 1
; COMPUTE_PGM_RSRC3_GFX90A:ACCUM_OFFSET: 63
; COMPUTE_PGM_RSRC3_GFX90A:TG_SPLIT: 0
	.section	.text._ZL12mul_mat_q5_KIN3c104HalfELb0EEvPKvS3_PT_iiiii,"axG",@progbits,_ZL12mul_mat_q5_KIN3c104HalfELb0EEvPKvS3_PT_iiiii,comdat
	.globl	_ZL12mul_mat_q5_KIN3c104HalfELb0EEvPKvS3_PT_iiiii ; -- Begin function _ZL12mul_mat_q5_KIN3c104HalfELb0EEvPKvS3_PT_iiiii
	.p2align	8
	.type	_ZL12mul_mat_q5_KIN3c104HalfELb0EEvPKvS3_PT_iiiii,@function
_ZL12mul_mat_q5_KIN3c104HalfELb0EEvPKvS3_PT_iiiii: ; @_ZL12mul_mat_q5_KIN3c104HalfELb0EEvPKvS3_PT_iiiii
; %bb.0:
	s_mov_b64 s[26:27], s[2:3]
	s_mov_b64 s[24:25], s[0:1]
	s_add_u32 s24, s24, s8
	s_load_dword s14, s[4:5], 0x18
	s_load_dwordx4 s[8:11], s[4:5], 0x20
	s_addc_u32 s25, s25, 0
	s_waitcnt lgkmcnt(0)
	s_lshl_b32 s11, s7, 6
	v_bfe_u32 v9, v0, 10, 10
	s_cmpk_gt_i32 s14, 0xff
	s_cbranch_scc1 .LBB153_2
; %bb.1:
	v_bfe_u32 v1, v0, 10, 10
	v_and_b32_e32 v49, 0x3ff, v0
	v_add_u32_e32 v2, s11, v1
	s_mov_b64 s[0:1], 0
	s_mov_b32 s2, 0
	s_branch .LBB153_3
.LBB153_2:
	s_mov_b64 s[0:1], -1
                                        ; implicit-def: $sgpr2
                                        ; implicit-def: $vgpr1
                                        ; implicit-def: $vgpr49
                                        ; implicit-def: $vgpr2
.LBB153_3:
	s_load_dwordx2 s[12:13], s[4:5], 0x10
	s_lshl_b32 s6, s6, 7
	s_andn2_b64 vcc, exec, s[0:1]
	v_mov_b32_e32 v17, s2
	v_mov_b32_e32 v16, s2
	;; [unrolled: 1-line block ×32, first 2 shown]
	s_cbranch_vccnz .LBB153_11
; %bb.4:
	s_load_dwordx4 s[0:3], s[4:5], 0x0
	s_ashr_i32 s4, s14, 31
	s_lshr_b32 s4, s4, 24
	s_add_i32 s14, s14, s4
	s_ashr_i32 s4, s9, 31
	s_ashr_i32 s7, s14, 8
	s_lshr_b32 s4, s4, 27
	v_and_b32_e32 v49, 0x3ff, v0
	s_add_i32 s4, s9, s4
	s_mul_i32 s5, s7, s6
	v_lshlrev_b32_e32 v0, 1, v49
	v_and_b32_e32 v2, 7, v49
	s_ashr_i32 s4, s4, 5
	s_mul_hi_i32 s15, s5, 0xb0
	s_mulk_i32 s5, 0xb0
	v_and_or_b32 v0, v0, 48, v2
	v_mul_i32_i24_e32 v2, s7, v9
	s_waitcnt lgkmcnt(0)
	s_add_u32 s14, s0, s5
	buffer_store_dword v2, off, s[24:27], 0 ; 4-byte Folded Spill
	s_nop 0
	buffer_store_dword v3, off, s[24:27], 0 offset:4 ; 4-byte Folded Spill
	s_addc_u32 s15, s1, s15
	v_mul_u32_u24_e32 v2, 0x41, v9
	s_lshl_b32 s1, s7, 3
	v_add_lshl_u32 v61, v0, v2, 2
	v_mov_b32_e32 v0, s1
	v_mad_i32_i24 v56, s7, v9, v0
	v_add_u32_e32 v58, s1, v56
	v_add_u32_e32 v60, s1, v58
	;; [unrolled: 1-line block ×13, first 2 shown]
	v_lshrrev_b32_e32 v1, 2, v49
	v_add_u32_e32 v0, s1, v82
	v_and_b32_e32 v57, 6, v1
	buffer_store_dword v0, off, s[24:27], 0 offset:8 ; 4-byte Folded Spill
	s_nop 0
	buffer_store_dword v1, off, s[24:27], 0 offset:12 ; 4-byte Folded Spill
	v_lshlrev_b32_e32 v113, 5, v9
	v_add_u32_e32 v0, v113, v49
	v_and_b32_e32 v2, 0x7f, v0
	v_lshrrev_b32_e32 v0, 3, v0
	v_mul_i32_i24_e32 v4, s7, v2
	v_and_b32_e32 v0, 12, v0
	v_lshlrev_b32_e32 v2, 2, v2
	s_mov_b32 s1, 0xae40
	v_add3_u32 v115, v2, v0, s1
	v_and_b32_e32 v0, 3, v49
	v_add_u32_e32 v2, 0xfe, v0
	v_cmp_gt_u32_e32 vcc, 2, v0
	buffer_store_dword v4, off, s[24:27], 0 offset:16 ; 4-byte Folded Spill
	s_nop 0
	buffer_store_dword v5, off, s[24:27], 0 offset:20 ; 4-byte Folded Spill
	v_lshlrev_b32_e32 v3, 3, v9
	v_cndmask_b32_e32 v2, v2, v0, vcc
	v_and_b32_e32 v6, 0xff, v2
	v_cmp_ne_u32_e32 vcc, 0, v0
	v_addc_co_u32_e32 v2, vcc, 0, v6, vcc
	v_lshlrev_b32_e32 v185, 1, v6
	v_lshlrev_b32_e32 v8, 2, v0
	s_mov_b32 s5, 0xa200
	v_lshlrev_b32_e32 v55, 2, v49
	v_and_b32_e32 v52, 28, v55
	v_and_b32_e32 v4, 4, v55
	v_cmp_lt_u32_e32 vcc, 1, v0
	v_cndmask_b32_e32 v161, 0, v4, vcc
	v_cndmask_b32_e64 v4, 0, 1, vcc
	v_add_co_u32_e32 v92, vcc, s2, v52
	v_add_u32_e32 v10, s11, v9
	v_add_u32_e32 v208, 0x100, v113
	v_add_u32_e32 v211, 0x200, v113
	v_add_u32_e32 v214, 0x300, v113
	v_add_u32_e32 v217, 0x400, v113
	v_add_u32_e32 v220, 0x500, v113
	v_add_u32_e32 v223, 0x600, v113
	v_add_u32_e32 v226, 0x700, v113
	v_lshrrev_b32_e32 v48, 5, v49
	s_mov_b32 s0, 0
	s_movk_i32 s9, 0xb0
	v_and_b32_e32 v50, 0x7c, v55
	v_or_b32_e32 v59, 1, v57
	v_add_u32_e32 v75, 0x38e0, v61
	v_add_u32_e32 v77, 0x4100, v61
	v_add_u32_e32 v79, 0x4920, v61
	v_add_u32_e32 v81, 0x5140, v61
	v_add_u32_e32 v83, 0x5960, v61
	v_add_u32_e32 v54, 0x6180, v61
	v_add_u32_e32 v63, 0x69a0, v61
	v_add_u32_e32 v89, 0x71c0, v61
	v_add_u32_e32 v91, 0x79e0, v61
	v_lshrrev_b32_e32 v204, 3, v49
	v_mul_u32_u24_e32 v235, 0x104, v49
	v_lshlrev_b32_e32 v239, 2, v2
	v_lshlrev_b32_e32 v240, 2, v4
	buffer_store_dword v9, off, s[24:27], 0 offset:24 ; 4-byte Folded Spill
	buffer_store_dword v10, off, s[24:27], 0 offset:28 ; 4-byte Folded Spill
	v_add_u32_e32 v5, v1, v3
	v_add_u16_e32 v1, v1, v3
	v_and_b32_e32 v6, 0x7f, v5
	v_lshrrev_b16_e32 v1, 1, v1
	v_lshl_or_b32 v7, v6, 4, v8
	v_and_b32_e32 v1, 60, v1
	v_add3_u32 v202, v7, v1, s5
	v_xor_b32_e32 v1, 64, v6
	v_mul_i32_i24_e32 v90, s7, v1
	v_lshl_or_b32 v3, v1, 4, v8
	v_lshrrev_b32_e32 v1, 1, v1
	v_and_b32_e32 v1, 60, v1
	v_add3_u32 v203, v3, v1, s5
	v_mov_b32_e32 v1, s3
	v_addc_co_u32_e32 v93, vcc, 0, v1, vcc
	v_and_b32_e32 v1, 63, v5
	s_add_i32 s5, s8, -1
	v_or_b32_e32 v5, s11, v1
	v_min_i32_e32 v5, s5, v5
	v_mad_u64_u32 v[94:95], s[16:17], v5, s4, v[0:1]
	v_lshl_or_b32 v0, v1, 4, v8
	v_mul_i32_i24_e32 v88, s7, v6
	v_cvt_f64_i32_e32 v[6:7], s5
	v_add_u32_e32 v95, 0xaa40, v0
	v_cvt_f64_u32_e32 v[0:1], v10
	v_min_f64 v[0:1], v[0:1], v[6:7]
	v_and_b32_e32 v3, 31, v49
	v_cvt_i32_f64_e32 v0, v[0:1]
	v_mul_lo_u32 v205, s4, v0
	v_or_b32_e32 v0, v113, v3
	v_mov_b32_e32 v5, 0x8200
	v_lshl_add_u32 v206, v0, 2, v5
	v_add_u32_e32 v0, 8, v10
	v_cvt_f64_u32_e32 v[0:1], v0
	v_min_f64 v[0:1], v[0:1], v[6:7]
	v_cvt_i32_f64_e32 v0, v[0:1]
	v_mul_lo_u32 v207, s4, v0
	v_or_b32_e32 v0, v208, v3
	v_lshl_add_u32 v209, v0, 2, v5
	v_add_u32_e32 v0, 16, v10
	v_cvt_f64_u32_e32 v[0:1], v0
	v_min_f64 v[0:1], v[0:1], v[6:7]
	v_cvt_i32_f64_e32 v0, v[0:1]
	v_mul_lo_u32 v210, s4, v0
	v_or_b32_e32 v0, v211, v3
	;; [unrolled: 7-line block ×7, first 2 shown]
	v_lshl_add_u32 v227, v0, 2, v5
	v_lshlrev_b32_e32 v0, 2, v48
	v_add3_u32 v228, v0, v55, s1
	v_add_u32_e32 v0, 32, v49
	v_lshrrev_b32_e32 v229, 3, v0
	v_lshlrev_b32_e32 v1, 2, v0
	v_and_b32_e32 v0, 60, v229
	v_add3_u32 v230, v55, v0, s1
	v_add_u32_e32 v0, 64, v49
	v_lshrrev_b32_e32 v231, 3, v0
	v_lshlrev_b32_e32 v3, 2, v0
	v_and_b32_e32 v0, 60, v231
	;; [unrolled: 5-line block ×3, first 2 shown]
	v_add3_u32 v234, v55, v0, s1
	s_movk_i32 s1, 0x104
	v_mov_b32_e32 v0, 0x2080
	v_mad_u32_u24 v236, v49, s1, v0
	v_mov_b32_e32 v0, 0x4100
	v_mad_u32_u24 v237, v49, s1, v0
	;; [unrolled: 2-line block ×3, first 2 shown]
	s_mov_b32 s1, s0
	v_pk_mov_b32 v[46:47], s[0:1], s[0:1] op_sel:[0,1]
	s_mov_b32 s1, 0x10101010
	s_mov_b32 s16, 0x30303030
	v_lshlrev_b32_e32 v241, 2, v1
	v_lshlrev_b32_e32 v242, 2, v3
	;; [unrolled: 1-line block ×3, first 2 shown]
	v_pk_mov_b32 v[38:39], v[46:47], v[46:47] op_sel:[0,1]
	v_pk_mov_b32 v[30:31], v[46:47], v[46:47] op_sel:[0,1]
	;; [unrolled: 1-line block ×15, first 2 shown]
.LBB153_5:                              ; =>This Loop Header: Depth=1
                                        ;     Child Loop BB153_6 Depth 2
                                        ;     Child Loop BB153_8 Depth 2
	buffer_load_dword v4, off, s[24:27], 0  ; 4-byte Folded Reload
	buffer_load_dword v5, off, s[24:27], 0 offset:4 ; 4-byte Folded Reload
	s_mul_i32 s4, s0, 0xb0
	s_mul_hi_u32 s5, s0, 0xb0
	s_add_u32 s4, s14, s4
	s_addc_u32 s5, s15, s5
	v_pk_mov_b32 v[0:1], s[4:5], s[4:5] op_sel:[0,1]
	v_mad_u64_u32 v[2:3], s[4:5], v48, s9, v[0:1]
	v_mad_u64_u32 v[8:9], s[4:5], v56, s9, v[2:3]
	s_lshl_b32 s17, s0, 3
	v_add_u32_e32 v125, s17, v94
	s_mov_b32 s19, 0
	s_waitcnt vmcnt(0)
	v_mad_u64_u32 v[4:5], s[4:5], v4, s9, v[2:3]
	v_add_co_u32_e32 v6, vcc, v4, v50
	v_addc_co_u32_e32 v7, vcc, 0, v5, vcc
	v_add_co_u32_e32 v4, vcc, v4, v52
	v_addc_co_u32_e32 v5, vcc, 0, v5, vcc
	;; [unrolled: 2-line block ×3, first 2 shown]
	global_load_dword v12, v[6:7], off offset:48
	global_load_dword v13, v[4:5], off offset:16
	;; [unrolled: 1-line block ×3, first 2 shown]
	v_add_co_u32_e32 v4, vcc, v8, v52
	v_addc_co_u32_e32 v5, vcc, 0, v9, vcc
	global_load_dword v15, v[4:5], off offset:16
	v_mad_u64_u32 v[4:5], s[4:5], v58, s9, v[2:3]
	v_add_co_u32_e32 v10, vcc, v4, v50
	v_addc_co_u32_e32 v11, vcc, 0, v5, vcc
	v_add_co_u32_e32 v4, vcc, v4, v52
	v_mad_u64_u32 v[6:7], s[4:5], v60, s9, v[2:3]
	v_addc_co_u32_e32 v5, vcc, 0, v5, vcc
	global_load_dword v51, v[10:11], off offset:48
	global_load_dword v53, v[4:5], off offset:16
	v_add_co_u32_e32 v4, vcc, v6, v50
	v_addc_co_u32_e32 v5, vcc, 0, v7, vcc
	global_load_dword v84, v[4:5], off offset:48
	v_add_co_u32_e32 v4, vcc, v6, v52
	v_addc_co_u32_e32 v5, vcc, 0, v7, vcc
	global_load_dword v85, v[4:5], off offset:16
	v_mad_u64_u32 v[8:9], s[4:5], v62, s9, v[2:3]
	v_add_co_u32_e32 v6, vcc, v8, v50
	v_addc_co_u32_e32 v7, vcc, 0, v9, vcc
	v_add_co_u32_e32 v8, vcc, v8, v52
	v_mad_u64_u32 v[4:5], s[4:5], v64, s9, v[2:3]
	v_addc_co_u32_e32 v9, vcc, 0, v9, vcc
	v_add_co_u32_e32 v10, vcc, v4, v50
	global_load_dword v86, v[6:7], off offset:48
	s_nop 0
	global_load_dword v8, v[8:9], off offset:16
	v_addc_co_u32_e32 v11, vcc, 0, v5, vcc
	v_add_co_u32_e32 v4, vcc, v4, v52
	v_addc_co_u32_e32 v5, vcc, 0, v5, vcc
	s_waitcnt vmcnt(9)
	v_and_b32_e32 v6, 0xf0f0f0f, v12
	v_lshrrev_b32_e32 v7, 4, v12
	s_waitcnt vmcnt(8)
	v_ashrrev_i32_e32 v9, v57, v13
	v_ashrrev_i32_e32 v12, v59, v13
	v_and_b32_e32 v7, 0xf0f0f0f, v7
	v_lshlrev_b32_e32 v9, 4, v9
	v_lshlrev_b32_e32 v12, 4, v12
	v_and_or_b32 v6, v9, s1, v6
	v_and_or_b32 v7, v12, s1, v7
	ds_write2_b32 v61, v6, v7 offset1:8
	global_load_dword v10, v[10:11], off offset:48
	s_nop 0
	global_load_dword v11, v[4:5], off offset:16
	v_mad_u64_u32 v[4:5], s[4:5], v66, s9, v[2:3]
	v_add_co_u32_e32 v6, vcc, v4, v50
	v_addc_co_u32_e32 v7, vcc, 0, v5, vcc
	s_waitcnt vmcnt(8)
	v_ashrrev_i32_e32 v87, v57, v15
	v_add_co_u32_e32 v4, vcc, v4, v52
	v_and_b32_e32 v13, 0xf0f0f0f, v14
	v_lshlrev_b32_e32 v87, 4, v87
	v_addc_co_u32_e32 v5, vcc, 0, v5, vcc
	v_and_or_b32 v9, v87, s1, v13
	global_load_dword v12, v[6:7], off offset:48
	global_load_dword v13, v[4:5], off offset:16
	v_mad_u64_u32 v[4:5], s[4:5], v68, s9, v[2:3]
	v_add_co_u32_e32 v6, vcc, v4, v50
	v_addc_co_u32_e32 v7, vcc, 0, v5, vcc
	v_lshrrev_b32_e32 v14, 4, v14
	v_ashrrev_i32_e32 v15, v59, v15
	v_add_co_u32_e32 v4, vcc, v4, v52
	v_and_b32_e32 v14, 0xf0f0f0f, v14
	v_lshlrev_b32_e32 v15, 4, v15
	v_addc_co_u32_e32 v5, vcc, 0, v5, vcc
	global_load_dword v87, v[6:7], off offset:48
	global_load_dword v96, v[4:5], off offset:16
	v_and_or_b32 v4, v15, s1, v14
	v_add_u32_e32 v5, 0x820, v61
	ds_write2_b32 v5, v9, v4 offset1:8
	s_waitcnt vmcnt(11)
	v_lshrrev_b32_e32 v5, 4, v51
	s_waitcnt vmcnt(10)
	v_ashrrev_i32_e32 v6, v57, v53
	v_ashrrev_i32_e32 v7, v59, v53
	v_and_b32_e32 v4, 0xf0f0f0f, v51
	v_and_b32_e32 v5, 0xf0f0f0f, v5
	v_lshlrev_b32_e32 v6, 4, v6
	v_lshlrev_b32_e32 v7, 4, v7
	v_and_or_b32 v4, v6, s1, v4
	v_and_or_b32 v5, v7, s1, v5
	v_add_u32_e32 v6, 0x1040, v61
	ds_write2_b32 v6, v4, v5 offset1:8
	s_waitcnt vmcnt(9)
	v_lshrrev_b32_e32 v5, 4, v84
	v_and_b32_e32 v9, 0xf0f0f0f, v5
	s_waitcnt vmcnt(8)
	v_ashrrev_i32_e32 v5, v57, v85
	v_and_b32_e32 v4, 0xf0f0f0f, v84
	v_lshlrev_b32_e32 v5, 4, v5
	v_ashrrev_i32_e32 v6, v59, v85
	v_and_or_b32 v15, v5, s1, v4
	v_mad_u64_u32 v[4:5], s[4:5], v70, s9, v[2:3]
	v_lshlrev_b32_e32 v14, 4, v6
	v_add_co_u32_e32 v6, vcc, v4, v50
	v_addc_co_u32_e32 v7, vcc, 0, v5, vcc
	v_add_co_u32_e32 v4, vcc, v4, v52
	v_addc_co_u32_e32 v5, vcc, 0, v5, vcc
	global_load_dword v51, v[6:7], off offset:48
	global_load_dword v53, v[4:5], off offset:16
	v_mad_u64_u32 v[4:5], s[4:5], v72, s9, v[2:3]
	v_add_co_u32_e32 v6, vcc, v4, v50
	v_addc_co_u32_e32 v7, vcc, 0, v5, vcc
	v_add_co_u32_e32 v4, vcc, v4, v52
	v_addc_co_u32_e32 v5, vcc, 0, v5, vcc
	global_load_dword v84, v[6:7], off offset:48
	global_load_dword v85, v[4:5], off offset:16
	v_and_or_b32 v4, v14, s1, v9
	v_add_u32_e32 v5, 0x1860, v61
	ds_write2_b32 v5, v15, v4 offset1:8
	s_waitcnt vmcnt(11)
	v_lshrrev_b32_e32 v5, 4, v86
	s_waitcnt vmcnt(10)
	v_ashrrev_i32_e32 v6, v57, v8
	v_ashrrev_i32_e32 v7, v59, v8
	v_and_b32_e32 v4, 0xf0f0f0f, v86
	v_and_b32_e32 v5, 0xf0f0f0f, v5
	v_lshlrev_b32_e32 v6, 4, v6
	v_lshlrev_b32_e32 v7, 4, v7
	v_and_or_b32 v4, v6, s1, v4
	v_and_or_b32 v5, v7, s1, v5
	v_add_u32_e32 v6, 0x2080, v61
	ds_write2_b32 v6, v4, v5 offset1:8
	s_waitcnt vmcnt(9)
	v_lshrrev_b32_e32 v5, 4, v10
	s_waitcnt vmcnt(8)
	v_ashrrev_i32_e32 v6, v57, v11
	v_ashrrev_i32_e32 v7, v59, v11
	v_and_b32_e32 v4, 0xf0f0f0f, v10
	v_and_b32_e32 v5, 0xf0f0f0f, v5
	v_lshlrev_b32_e32 v6, 4, v6
	v_lshlrev_b32_e32 v7, 4, v7
	v_and_or_b32 v4, v6, s1, v4
	v_and_or_b32 v5, v7, s1, v5
	v_add_u32_e32 v6, 0x28a0, v61
	ds_write2_b32 v6, v4, v5 offset1:8
	s_waitcnt vmcnt(7)
	v_lshrrev_b32_e32 v5, 4, v12
	s_waitcnt vmcnt(6)
	v_ashrrev_i32_e32 v6, v57, v13
	v_ashrrev_i32_e32 v7, v59, v13
	v_and_b32_e32 v4, 0xf0f0f0f, v12
	v_and_b32_e32 v5, 0xf0f0f0f, v5
	v_lshlrev_b32_e32 v6, 4, v6
	v_lshlrev_b32_e32 v7, 4, v7
	v_and_or_b32 v4, v6, s1, v4
	v_and_or_b32 v5, v7, s1, v5
	v_add_u32_e32 v6, 0x30c0, v61
	ds_write2_b32 v6, v4, v5 offset1:8
	s_waitcnt vmcnt(5)
	v_lshrrev_b32_e32 v5, 4, v87
	s_waitcnt vmcnt(4)
	v_ashrrev_i32_e32 v6, v57, v96
	v_ashrrev_i32_e32 v7, v59, v96
	v_and_b32_e32 v4, 0xf0f0f0f, v87
	v_and_b32_e32 v5, 0xf0f0f0f, v5
	v_lshlrev_b32_e32 v6, 4, v6
	v_lshlrev_b32_e32 v7, 4, v7
	v_and_or_b32 v4, v6, s1, v4
	v_and_or_b32 v5, v7, s1, v5
	ds_write2_b32 v75, v4, v5 offset1:8
	v_mad_u64_u32 v[4:5], s[4:5], v74, s9, v[2:3]
	v_add_co_u32_e32 v6, vcc, v4, v50
	v_addc_co_u32_e32 v7, vcc, 0, v5, vcc
	v_add_co_u32_e32 v4, vcc, v4, v52
	v_addc_co_u32_e32 v5, vcc, 0, v5, vcc
	v_mad_u64_u32 v[8:9], s[4:5], v76, s9, v[2:3]
	v_add_co_u32_e32 v10, vcc, v8, v50
	v_addc_co_u32_e32 v11, vcc, 0, v9, vcc
	v_add_co_u32_e32 v8, vcc, v8, v52
	v_addc_co_u32_e32 v9, vcc, 0, v9, vcc
	global_load_dword v86, v[6:7], off offset:48
	global_load_dword v87, v[4:5], off offset:16
	;; [unrolled: 1-line block ×4, first 2 shown]
	s_waitcnt vmcnt(7)
	v_lshrrev_b32_e32 v5, 4, v51
	s_waitcnt vmcnt(6)
	v_ashrrev_i32_e32 v6, v57, v53
	v_ashrrev_i32_e32 v7, v59, v53
	v_and_b32_e32 v4, 0xf0f0f0f, v51
	v_and_b32_e32 v5, 0xf0f0f0f, v5
	v_lshlrev_b32_e32 v6, 4, v6
	v_lshlrev_b32_e32 v7, 4, v7
	v_and_or_b32 v4, v6, s1, v4
	v_and_or_b32 v5, v7, s1, v5
	ds_write2_b32 v77, v4, v5 offset1:8
	v_mad_u64_u32 v[8:9], s[4:5], v80, s9, v[2:3]
	s_waitcnt vmcnt(5)
	v_lshrrev_b32_e32 v5, 4, v84
	s_waitcnt vmcnt(4)
	v_ashrrev_i32_e32 v6, v57, v85
	v_ashrrev_i32_e32 v7, v59, v85
	v_and_b32_e32 v4, 0xf0f0f0f, v84
	v_and_b32_e32 v5, 0xf0f0f0f, v5
	v_lshlrev_b32_e32 v6, 4, v6
	v_lshlrev_b32_e32 v7, 4, v7
	v_and_or_b32 v4, v6, s1, v4
	v_and_or_b32 v5, v7, s1, v5
	ds_write2_b32 v79, v4, v5 offset1:8
	buffer_load_dword v84, off, s[24:27], 0 offset:8 ; 4-byte Folded Reload
	buffer_load_dword v85, off, s[24:27], 0 offset:12 ; 4-byte Folded Reload
	v_mad_u64_u32 v[4:5], s[4:5], v78, s9, v[2:3]
	v_add_co_u32_e32 v6, vcc, v4, v50
	v_addc_co_u32_e32 v7, vcc, 0, v5, vcc
	v_add_co_u32_e32 v4, vcc, v4, v52
	v_addc_co_u32_e32 v5, vcc, 0, v5, vcc
	;; [unrolled: 2-line block ×4, first 2 shown]
	v_mad_u64_u32 v[12:13], s[4:5], v82, s9, v[2:3]
	v_add_co_u32_e32 v14, vcc, v12, v50
	v_addc_co_u32_e32 v15, vcc, 0, v13, vcc
	v_add_co_u32_e32 v12, vcc, v12, v52
	v_addc_co_u32_e32 v13, vcc, 0, v13, vcc
	s_waitcnt vmcnt(1)
	v_mad_u64_u32 v[2:3], s[4:5], v84, s9, v[2:3]
	v_add_co_u32_e32 v96, vcc, v2, v50
	v_addc_co_u32_e32 v97, vcc, 0, v3, vcc
	v_add_co_u32_e32 v2, vcc, v2, v52
	v_addc_co_u32_e32 v3, vcc, 0, v3, vcc
	global_load_dword v51, v[6:7], off offset:48
	global_load_dword v53, v[4:5], off offset:16
	;; [unrolled: 1-line block ×6, first 2 shown]
	s_nop 0
	global_load_dword v96, v[96:97], off offset:48
	s_nop 0
	global_load_dword v97, v[2:3], off offset:16
	s_nop 0
	buffer_load_dword v2, off, s[24:27], 0 offset:16 ; 4-byte Folded Reload
	buffer_load_dword v3, off, s[24:27], 0 offset:20 ; 4-byte Folded Reload
	v_mad_u64_u32 v[4:5], s[4:5], v88, s9, v[0:1]
	v_add_co_u32_e32 v6, vcc, 4, v4
	v_addc_co_u32_e32 v7, vcc, 0, v5, vcc
	v_add_co_u32_e32 v4, vcc, v6, v239
	v_addc_co_u32_e32 v5, vcc, 0, v7, vcc
	;; [unrolled: 2-line block ×3, first 2 shown]
	v_add_u32_e32 v14, s17, v204
	v_add_u32_e32 v10, v14, v219
	;; [unrolled: 1-line block ×3, first 2 shown]
	v_mad_i64_i32 v[10:11], s[4:5], v10, 36, v[92:93]
	v_mad_i64_i32 v[12:13], s[4:5], v12, 36, v[92:93]
	s_waitcnt vmcnt(0)
	v_mad_u64_u32 v[2:3], s[4:5], v2, s9, v[0:1]
	v_mad_u64_u32 v[0:1], s[4:5], v90, s9, v[0:1]
	v_add_co_u32_e32 v8, vcc, 4, v0
	v_addc_co_u32_e32 v9, vcc, 0, v1, vcc
	v_add_co_u32_e32 v0, vcc, v8, v239
	v_addc_co_u32_e32 v1, vcc, 0, v9, vcc
	;; [unrolled: 2-line block ×3, first 2 shown]
	global_load_dword v102, v[2:3], off
	global_load_dword v103, v[4:5], off
	;; [unrolled: 1-line block ×5, first 2 shown]
	v_add_u32_e32 v0, v14, v205
	v_add_u32_e32 v2, v14, v207
	v_add_u32_e32 v4, v14, v210
	v_add_u32_e32 v6, v14, v213
	v_add_u32_e32 v8, v14, v216
	v_mad_i64_i32 v[0:1], s[4:5], v0, 36, v[92:93]
	v_mad_i64_i32 v[2:3], s[4:5], v2, 36, v[92:93]
	;; [unrolled: 1-line block ×5, first 2 shown]
	v_add_u32_e32 v14, v14, v225
	v_mad_i64_i32 v[14:15], s[4:5], v14, 36, v[92:93]
	global_load_dword v107, v[0:1], off offset:4
	s_nop 0
	global_load_dword v2, v[2:3], off offset:4
	s_nop 0
	global_load_dword v3, v[4:5], off offset:4
	s_nop 0
	global_load_dword v4, v[6:7], off offset:4
	global_load_dword v5, v[8:9], off offset:4
	s_nop 0
	global_load_dword v6, v[10:11], off offset:4
	global_load_dword v7, v[12:13], off offset:4
	;; [unrolled: 1-line block ×3, first 2 shown]
	v_mad_u64_u32 v[0:1], s[4:5], v125, 36, s[2:3]
	global_load_dword v0, v[0:1], off
	v_lshrrev_b32_e32 v9, 4, v86
	v_ashrrev_i32_e32 v10, v57, v87
	v_ashrrev_i32_e32 v11, v59, v87
	v_and_b32_e32 v1, 0xf0f0f0f, v86
	v_and_b32_e32 v9, 0xf0f0f0f, v9
	v_lshlrev_b32_e32 v10, 4, v10
	v_lshlrev_b32_e32 v11, 4, v11
	v_and_or_b32 v1, v10, s1, v1
	v_and_or_b32 v9, v11, s1, v9
	ds_write2_b32 v81, v1, v9 offset1:8
	v_lshrrev_b32_e32 v9, 4, v98
	v_ashrrev_i32_e32 v10, v57, v99
	v_ashrrev_i32_e32 v11, v59, v99
	v_and_b32_e32 v1, 0xf0f0f0f, v98
	v_and_b32_e32 v9, 0xf0f0f0f, v9
	v_lshlrev_b32_e32 v10, 4, v10
	v_lshlrev_b32_e32 v11, 4, v11
	v_and_or_b32 v1, v10, s1, v1
	v_and_or_b32 v9, v11, s1, v9
	ds_write2_b32 v83, v1, v9 offset1:8
	;; [unrolled: 10-line block ×6, first 2 shown]
	s_waitcnt vmcnt(13)
	ds_write_b32 v115, v102
	s_waitcnt vmcnt(12)
	v_ashrrev_i32_e32 v1, v161, v103
	v_and_b32_e32 v1, 0xf0f0f0f, v1
	s_waitcnt vmcnt(11)
	v_ashrrev_i32_e32 v9, v185, v104
	v_and_or_b32 v1, v9, s16, v1
	ds_write_b32 v202, v1
	s_waitcnt vmcnt(10)
	v_ashrrev_i32_e32 v1, v161, v105
	v_and_b32_e32 v1, 0xf0f0f0f, v1
	s_waitcnt vmcnt(9)
	v_ashrrev_i32_e32 v9, v185, v106
	v_and_or_b32 v1, v9, s16, v1
	ds_write_b32 v203, v1
	s_waitcnt vmcnt(8)
	ds_write_b32 v206, v107
	s_waitcnt vmcnt(7)
	;; [unrolled: 2-line block ×9, first 2 shown]
	ds_write_b32 v95, v0
	s_waitcnt lgkmcnt(0)
	s_barrier
	ds_read_b32 v0, v228
	ds_read_b32 v1, v230 offset:128
	ds_read_b32 v2, v232 offset:256
	;; [unrolled: 1-line block ×3, first 2 shown]
	s_mov_b64 s[4:5], -1
	s_waitcnt lgkmcnt(3)
	v_cvt_f32_f16_e32 v96, v0
	v_cvt_f32_f16_sdwa v98, v0 dst_sel:DWORD dst_unused:UNUSED_PAD src0_sel:WORD_1
	s_waitcnt lgkmcnt(2)
	v_cvt_f32_f16_e32 v100, v1
	v_cvt_f32_f16_sdwa v102, v1 dst_sel:DWORD dst_unused:UNUSED_PAD src0_sel:WORD_1
	;; [unrolled: 3-line block ×4, first 2 shown]
	v_mov_b32_e32 v97, v96
	v_mov_b32_e32 v99, v98
	;; [unrolled: 1-line block ×8, first 2 shown]
.LBB153_6:                              ;   Parent Loop BB153_5 Depth=1
                                        ; =>  This Inner Loop Header: Depth=2
	s_lshl_b32 s18, s19, 1
	s_lshr_b32 s20, s19, 2
	v_or_b32_e32 v0, s18, v113
	s_add_i32 s20, s20, 0xa200
	v_lshlrev_b32_e32 v1, 2, v0
	v_lshrrev_b32_e32 v51, 1, v0
	v_lshlrev_b32_e32 v244, 2, v204
	v_lshlrev_b32_e32 v245, 2, v55
	s_lshl_b32 s19, s19, 3
	ds_read_b128 v[12:15], v1 offset:33280
	ds_read_b128 v[8:11], v1 offset:33296
	;; [unrolled: 1-line block ×4, first 2 shown]
	ds_read_b64 v[192:193], v51 offset:43584
	v_add3_u32 v51, s20, v244, v245
	v_add_u32_e32 v84, s19, v235
	ds_read2_b32 v[162:163], v84 offset1:1
	ds_read2_b32 v[170:171], v84 offset0:2 offset1:3
	ds_read2_b32 v[174:175], v84 offset0:4 offset1:5
	;; [unrolled: 1-line block ×3, first 2 shown]
	ds_read_u16 v85, v51
	ds_read_u8 v86, v51 offset:8
	ds_read_u8 v51, v51 offset:9
	v_lshlrev_b32_e32 v246, 2, v229
	ds_read2_b32 v[158:159], v84 offset0:8 offset1:9
	ds_read2_b32 v[186:187], v84 offset0:10 offset1:11
	;; [unrolled: 1-line block ×4, first 2 shown]
	s_waitcnt lgkmcnt(4)
	v_cvt_f32_ubyte0_e32 v184, v51
	v_add3_u32 v51, s20, v246, v241
	v_add_u32_e32 v84, s19, v236
	v_and_b32_e32 v250, 0xff, v85
	v_lshrrev_b16_e32 v253, 8, v85
	ds_read2_b32 v[132:133], v84 offset1:1
	ds_read2_b32 v[140:141], v84 offset0:2 offset1:3
	ds_read2_b32 v[142:143], v84 offset0:4 offset1:5
	;; [unrolled: 1-line block ×3, first 2 shown]
	ds_read_u16 v85, v51
	ds_read_u8 v87, v51 offset:8
	ds_read_u8 v51, v51 offset:9
	v_lshlrev_b32_e32 v247, 2, v231
	ds_read2_b32 v[128:129], v84 offset0:8 offset1:9
	ds_read2_b32 v[166:167], v84 offset0:10 offset1:11
	;; [unrolled: 1-line block ×4, first 2 shown]
	s_waitcnt lgkmcnt(4)
	v_cvt_f32_ubyte0_e32 v160, v51
	v_add3_u32 v51, s20, v247, v242
	v_add_u32_e32 v84, s19, v237
	v_and_b32_e32 v165, 0xff, v85
	v_cvt_f32_ubyte0_e32 v124, v87
	v_lshrrev_b16_e32 v251, 8, v85
	ds_read2_b32 v[136:137], v84 offset1:1
	ds_read2_b32 v[146:147], v84 offset0:2 offset1:3
	ds_read2_b32 v[148:149], v84 offset0:4 offset1:5
	;; [unrolled: 1-line block ×3, first 2 shown]
	ds_read_u16 v85, v51
	ds_read_u8 v87, v51 offset:8
	ds_read_u8 v51, v51 offset:9
	v_mov_b32_e32 v53, 0
	v_mov_b32_e32 v254, 0
	s_waitcnt lgkmcnt(2)
	v_and_b32_e32 v249, 0xff, v85
	v_lshrrev_b16_e32 v252, 8, v85
	v_add_u32_e32 v85, s19, v238
	ds_read2_b32 v[138:139], v85 offset1:1
	ds_read2_b32 v[152:153], v85 offset0:2 offset1:3
	ds_read2_b32 v[154:155], v85 offset0:4 offset1:5
	;; [unrolled: 1-line block ×3, first 2 shown]
	v_mov_b32_e32 v255, 0
	s_waitcnt lgkmcnt(4)
	v_cvt_f32_ubyte0_e32 v164, v51
	v_mov_b32_e32 v51, 0
	v_dot4c_i32_i8_e32 v53, v162, v12
	v_dot4c_i32_i8_e32 v254, v132, v12
	;; [unrolled: 1-line block ×3, first 2 shown]
	s_waitcnt lgkmcnt(3)
	v_dot4c_i32_i8_e32 v51, v138, v12
	v_dot4c_i32_i8_e32 v53, v163, v13
	;; [unrolled: 1-line block ×8, first 2 shown]
	s_waitcnt lgkmcnt(2)
	v_dot4c_i32_i8_e32 v51, v152, v14
	v_dot4c_i32_i8_e32 v53, v171, v15
	;; [unrolled: 1-line block ×8, first 2 shown]
	v_lshlrev_b32_e32 v248, 2, v233
	s_waitcnt lgkmcnt(1)
	v_dot4c_i32_i8_e32 v51, v154, v8
	v_dot4c_i32_i8_e32 v53, v175, v9
	;; [unrolled: 1-line block ×4, first 2 shown]
	ds_read2_b32 v[130:131], v84 offset0:8 offset1:9
	ds_read2_b32 v[176:177], v84 offset0:10 offset1:11
	;; [unrolled: 1-line block ×4, first 2 shown]
	v_add3_u32 v84, s20, v248, v243
	v_dot4c_i32_i8_e32 v51, v155, v9
	v_dot4c_i32_i8_e32 v53, v178, v10
	;; [unrolled: 1-line block ×4, first 2 shown]
	s_waitcnt lgkmcnt(4)
	v_dot4c_i32_i8_e32 v51, v156, v10
	ds_read_u16 v8, v84
	ds_read_u8 v9, v84 offset:8
	ds_read_u8 v10, v84 offset:9
	ds_read2_b32 v[122:123], v85 offset0:8 offset1:9
	ds_read2_b32 v[116:117], v85 offset0:10 offset1:11
	;; [unrolled: 1-line block ×4, first 2 shown]
	v_cvt_f32_ubyte0_e32 v134, v86
	v_mov_b32_e32 v86, 0
	v_mov_b32_e32 v65, 0
	;; [unrolled: 1-line block ×4, first 2 shown]
	v_dot4c_i32_i8_e32 v86, v158, v4
	v_dot4c_i32_i8_e32 v65, v128, v4
	s_waitcnt lgkmcnt(10)
	v_dot4c_i32_i8_e32 v67, v130, v4
	s_waitcnt lgkmcnt(3)
	v_dot4c_i32_i8_e32 v69, v122, v4
	v_dot4c_i32_i8_e32 v86, v159, v5
	;; [unrolled: 1-line block ×8, first 2 shown]
	s_waitcnt lgkmcnt(2)
	v_dot4c_i32_i8_e32 v69, v116, v6
	v_dot4c_i32_i8_e32 v86, v187, v7
	;; [unrolled: 1-line block ×8, first 2 shown]
	s_waitcnt lgkmcnt(1)
	v_dot4c_i32_i8_e32 v69, v118, v0
	v_dot4c_i32_i8_e32 v86, v189, v1
	v_dot4c_i32_i8_e32 v65, v169, v1
	v_dot4c_i32_i8_e32 v67, v181, v1
	v_dot4c_i32_i8_e32 v69, v119, v1
	v_or_b32_e32 v0, s18, v208
	v_dot4c_i32_i8_e32 v86, v190, v2
	v_dot4c_i32_i8_e32 v65, v172, v2
	;; [unrolled: 1-line block ×3, first 2 shown]
	s_waitcnt lgkmcnt(0)
	v_dot4c_i32_i8_e32 v69, v120, v2
	v_lshlrev_b32_e32 v1, 2, v0
	v_dot4c_i32_i8_e32 v53, v179, v11
	v_dot4c_i32_i8_e32 v86, v191, v3
	;; [unrolled: 1-line block ×7, first 2 shown]
	v_and_b32_e32 v135, 0xff, v8
	v_cvt_f32_ubyte0_e32 v114, v9
	v_dot4c_i32_i8_e32 v69, v121, v3
	v_lshrrev_b16_e32 v127, 8, v8
	v_cvt_f32_ubyte0_e32 v112, v10
	v_lshrrev_b32_e32 v84, 1, v0
	ds_read_b128 v[12:15], v1 offset:33280
	ds_read_b128 v[8:11], v1 offset:33296
	;; [unrolled: 1-line block ×4, first 2 shown]
	ds_read_b64 v[196:197], v84 offset:43584
	v_mov_b32_e32 v84, 0
	v_cvt_f32_ubyte0_e32 v126, v87
	s_waitcnt lgkmcnt(4)
	v_dot4c_i32_i8_e32 v84, v162, v12
	v_mov_b32_e32 v87, 0
	v_dot4c_i32_i8_e32 v84, v163, v13
	s_waitcnt lgkmcnt(2)
	v_dot4c_i32_i8_e32 v87, v158, v4
	v_dot4c_i32_i8_e32 v84, v170, v14
	;; [unrolled: 1-line block ×8, first 2 shown]
	s_waitcnt lgkmcnt(1)
	v_dot4c_i32_i8_e32 v87, v188, v0
	v_dot4c_i32_i8_e32 v84, v178, v10
	;; [unrolled: 1-line block ×6, first 2 shown]
	v_mul_lo_u32 v53, v53, v250
	v_mul_lo_u32 v84, v84, v250
	s_waitcnt lgkmcnt(0)
	v_cvt_f32_f16_e32 v199, v196
	v_cvt_f32_f16_e32 v198, v192
	v_cvt_f32_f16_sdwa v201, v196 dst_sel:DWORD dst_unused:UNUSED_PAD src0_sel:WORD_1
	v_cvt_f32_f16_sdwa v200, v192 dst_sel:DWORD dst_unused:UNUSED_PAD src0_sel:WORD_1
	v_cvt_f32_f16_e32 v194, v193
	v_cvt_f32_f16_sdwa v196, v193 dst_sel:DWORD dst_unused:UNUSED_PAD src0_sel:WORD_1
	v_cvt_f32_i32_e32 v193, v84
	v_cvt_f32_i32_e32 v192, v53
	v_mul_lo_u32 v53, v86, v253
	v_mul_lo_u32 v86, v87, v253
	v_cvt_f32_f16_e32 v195, v197
	v_cvt_f32_i32_e32 v87, v86
	v_cvt_f32_i32_e32 v86, v53
	v_mov_b32_e32 v53, 0
	v_pk_fma_f32 v[192:193], v[198:199], v[192:193], 0 op_sel_hi:[1,1,0]
	v_dot4c_i32_i8_e32 v53, v132, v12
	v_pk_fma_f32 v[86:87], v[194:195], v[86:87], v[192:193]
	v_dot4c_i32_i8_e32 v53, v133, v13
	v_mov_b32_e32 v192, 0
	v_cvt_f32_f16_sdwa v197, v197 dst_sel:DWORD dst_unused:UNUSED_PAD src0_sel:WORD_1
	v_dot4c_i32_i8_e32 v53, v140, v14
	v_dot4c_i32_i8_e32 v192, v128, v4
	;; [unrolled: 1-line block ×6, first 2 shown]
	v_pk_fma_f32 v[84:85], v[134:135], v[200:201], 0 op_sel_hi:[0,1,0]
	v_dot4c_i32_i8_e32 v53, v143, v9
	v_dot4c_i32_i8_e32 v192, v167, v7
	v_pk_fma_f32 v[84:85], v[184:185], v[196:197], v[84:85] op_sel_hi:[0,1,1]
	v_dot4c_i32_i8_e32 v53, v144, v10
	v_dot4c_i32_i8_e32 v192, v168, v0
	v_pk_mul_f32 v[84:85], v[84:85], v[98:99]
	v_dot4c_i32_i8_e32 v53, v145, v11
	v_dot4c_i32_i8_e32 v192, v169, v1
	v_pk_fma_f32 v[84:85], v[86:87], v[96:97], v[84:85] neg_lo:[0,0,1] neg_hi:[0,0,1]
	v_dot4c_i32_i8_e32 v192, v172, v2
	v_mul_lo_u32 v53, v53, v165
	v_pk_add_f32 v[46:47], v[46:47], v[84:85]
	v_dot4c_i32_i8_e32 v192, v173, v3
	v_cvt_f32_i32_e32 v85, v53
	v_mul_lo_u32 v53, v65, v251
	v_mul_lo_u32 v84, v254, v165
	;; [unrolled: 1-line block ×3, first 2 shown]
	v_cvt_f32_i32_e32 v192, v53
	v_mov_b32_e32 v53, 0
	v_dot4c_i32_i8_e32 v53, v136, v12
	v_dot4c_i32_i8_e32 v53, v137, v13
	v_cvt_f32_i32_e32 v84, v84
	v_dot4c_i32_i8_e32 v53, v146, v14
	v_cvt_f32_i32_e32 v193, v65
	v_dot4c_i32_i8_e32 v53, v147, v15
	v_dot4c_i32_i8_e32 v53, v148, v8
	v_pk_fma_f32 v[86:87], v[124:125], v[200:201], 0 op_sel_hi:[0,1,0]
	v_dot4c_i32_i8_e32 v53, v149, v9
	v_pk_fma_f32 v[84:85], v[198:199], v[84:85], 0 op_sel_hi:[1,1,0]
	v_pk_fma_f32 v[86:87], v[160:161], v[196:197], v[86:87] op_sel_hi:[0,1,1]
	v_dot4c_i32_i8_e32 v53, v150, v10
	v_pk_fma_f32 v[84:85], v[194:195], v[192:193], v[84:85]
	v_pk_mul_f32 v[86:87], v[86:87], v[102:103]
	v_dot4c_i32_i8_e32 v53, v151, v11
	v_pk_fma_f32 v[84:85], v[84:85], v[100:101], v[86:87] neg_lo:[0,0,1] neg_hi:[0,0,1]
	v_pk_add_f32 v[44:45], v[44:45], v[84:85]
	v_mov_b32_e32 v65, 0
	v_mul_lo_u32 v53, v53, v249
	v_cvt_f32_i32_e32 v85, v53
	v_mul_lo_u32 v53, v67, v252
	v_cvt_f32_i32_e32 v192, v53
	v_mov_b32_e32 v53, 0
	v_dot4c_i32_i8_e32 v53, v138, v12
	v_dot4c_i32_i8_e32 v53, v139, v13
	;; [unrolled: 1-line block ×5, first 2 shown]
	v_mov_b32_e32 v8, 0
	v_dot4c_i32_i8_e32 v8, v122, v4
	v_dot4c_i32_i8_e32 v8, v123, v5
	;; [unrolled: 1-line block ×17, first 2 shown]
	v_mul_lo_u32 v0, v51, v135
	v_mul_lo_u32 v1, v53, v135
	v_cvt_f32_i32_e32 v1, v1
	v_cvt_f32_i32_e32 v0, v0
	v_mul_lo_u32 v4, v69, v127
	v_mul_lo_u32 v5, v8, v127
	v_cvt_f32_i32_e32 v5, v5
	v_cvt_f32_i32_e32 v4, v4
	v_dot4c_i32_i8_e32 v65, v182, v2
	v_dot4c_i32_i8_e32 v65, v183, v3
	v_mul_lo_u32 v84, v255, v249
	v_pk_fma_f32 v[2:3], v[114:115], v[200:201], 0 op_sel_hi:[0,1,0]
	v_cvt_f32_i32_e32 v84, v84
	v_mul_lo_u32 v65, v65, v252
	v_pk_fma_f32 v[0:1], v[198:199], v[0:1], 0 op_sel_hi:[1,1,0]
	v_pk_fma_f32 v[2:3], v[112:113], v[196:197], v[2:3] op_sel_hi:[0,1,1]
	v_cvt_f32_i32_e32 v193, v65
	v_pk_fma_f32 v[0:1], v[194:195], v[4:5], v[0:1]
	v_pk_mul_f32 v[2:3], v[2:3], v[110:111]
	v_pk_fma_f32 v[0:1], v[0:1], v[108:109], v[2:3] neg_lo:[0,0,1] neg_hi:[0,0,1]
	v_pk_add_f32 v[40:41], v[40:41], v[0:1]
	v_or_b32_e32 v0, s18, v211
	v_pk_fma_f32 v[84:85], v[198:199], v[84:85], 0 op_sel_hi:[1,1,0]
	v_lshlrev_b32_e32 v1, 2, v0
	v_pk_fma_f32 v[84:85], v[194:195], v[192:193], v[84:85]
	v_lshrrev_b32_e32 v51, 1, v0
	ds_read_b128 v[12:15], v1 offset:33280
	ds_read_b128 v[8:11], v1 offset:33296
	;; [unrolled: 1-line block ×4, first 2 shown]
	ds_read_b64 v[192:193], v51 offset:43584
	v_mov_b32_e32 v51, 0
	v_mov_b32_e32 v53, 0
	;; [unrolled: 1-line block ×8, first 2 shown]
	s_waitcnt lgkmcnt(4)
	v_dot4c_i32_i8_e32 v51, v162, v12
	s_waitcnt lgkmcnt(2)
	v_dot4c_i32_i8_e32 v53, v158, v4
	v_dot4c_i32_i8_e32 v65, v132, v12
	;; [unrolled: 1-line block ×15, first 2 shown]
	v_pk_fma_f32 v[86:87], v[126:127], v[200:201], 0 op_sel_hi:[0,1,0]
	v_dot4c_i32_i8_e32 v51, v170, v14
	v_dot4c_i32_i8_e32 v53, v186, v6
	v_dot4c_i32_i8_e32 v65, v140, v14
	v_dot4c_i32_i8_e32 v67, v166, v6
	v_dot4c_i32_i8_e32 v69, v146, v14
	v_dot4c_i32_i8_e32 v254, v176, v6
	v_dot4c_i32_i8_e32 v255, v152, v14
	v_dot4c_i32_i8_e32 v71, v116, v6
	v_pk_fma_f32 v[86:87], v[164:165], v[196:197], v[86:87] op_sel_hi:[0,1,1]
	v_dot4c_i32_i8_e32 v51, v171, v15
	v_dot4c_i32_i8_e32 v53, v187, v7
	;; [unrolled: 1-line block ×8, first 2 shown]
	v_pk_mul_f32 v[86:87], v[86:87], v[106:107]
	v_dot4c_i32_i8_e32 v51, v174, v8
	s_waitcnt lgkmcnt(1)
	v_dot4c_i32_i8_e32 v53, v188, v0
	v_dot4c_i32_i8_e32 v65, v142, v8
	;; [unrolled: 1-line block ×7, first 2 shown]
	v_pk_fma_f32 v[84:85], v[84:85], v[104:105], v[86:87] neg_lo:[0,0,1] neg_hi:[0,0,1]
	v_dot4c_i32_i8_e32 v51, v175, v9
	v_dot4c_i32_i8_e32 v53, v189, v1
	;; [unrolled: 1-line block ×8, first 2 shown]
	v_or_b32_e32 v0, s18, v214
	v_pk_add_f32 v[42:43], v[42:43], v[84:85]
	v_dot4c_i32_i8_e32 v51, v178, v10
	v_dot4c_i32_i8_e32 v53, v190, v2
	;; [unrolled: 1-line block ×8, first 2 shown]
	v_lshlrev_b32_e32 v1, 2, v0
	v_lshrrev_b32_e32 v84, 1, v0
	v_dot4c_i32_i8_e32 v51, v179, v11
	v_dot4c_i32_i8_e32 v53, v191, v3
	;; [unrolled: 1-line block ×8, first 2 shown]
	ds_read_b128 v[12:15], v1 offset:33280
	ds_read_b128 v[8:11], v1 offset:33296
	ds_read_b128 v[4:7], v1 offset:33312
	ds_read_b128 v[0:3], v1 offset:33328
	ds_read_b64 v[84:85], v84 offset:43584
	v_mov_b32_e32 v86, 0
	s_waitcnt lgkmcnt(4)
	v_dot4c_i32_i8_e32 v86, v162, v12
	v_dot4c_i32_i8_e32 v86, v163, v13
	;; [unrolled: 1-line block ×4, first 2 shown]
	s_waitcnt lgkmcnt(3)
	v_dot4c_i32_i8_e32 v86, v174, v8
	v_mov_b32_e32 v73, 0
	v_dot4c_i32_i8_e32 v86, v175, v9
	s_waitcnt lgkmcnt(2)
	v_dot4c_i32_i8_e32 v73, v158, v4
	v_dot4c_i32_i8_e32 v86, v178, v10
	v_dot4c_i32_i8_e32 v73, v159, v5
	v_dot4c_i32_i8_e32 v86, v179, v11
	v_dot4c_i32_i8_e32 v73, v186, v6
	v_dot4c_i32_i8_e32 v73, v187, v7
	s_waitcnt lgkmcnt(0)
	v_cvt_f32_f16_e32 v199, v84
	v_cvt_f32_f16_sdwa v201, v84 dst_sel:DWORD dst_unused:UNUSED_PAD src0_sel:WORD_1
	v_mul_lo_u32 v51, v51, v250
	v_mul_lo_u32 v84, v86, v250
	v_dot4c_i32_i8_e32 v73, v188, v0
	v_cvt_f32_f16_e32 v195, v85
	v_cvt_f32_f16_sdwa v197, v85 dst_sel:DWORD dst_unused:UNUSED_PAD src0_sel:WORD_1
	v_cvt_f32_i32_e32 v85, v84
	v_cvt_f32_i32_e32 v84, v51
	v_mul_lo_u32 v51, v53, v253
	v_dot4c_i32_i8_e32 v73, v189, v1
	v_cvt_f32_f16_e32 v198, v192
	v_cvt_f32_f16_sdwa v200, v192 dst_sel:DWORD dst_unused:UNUSED_PAD src0_sel:WORD_1
	v_cvt_f32_i32_e32 v192, v51
	v_mov_b32_e32 v51, 0
	v_dot4c_i32_i8_e32 v73, v190, v2
	v_dot4c_i32_i8_e32 v51, v132, v12
	;; [unrolled: 1-line block ×4, first 2 shown]
	v_cvt_f32_f16_sdwa v196, v193 dst_sel:DWORD dst_unused:UNUSED_PAD src0_sel:WORD_1
	v_dot4c_i32_i8_e32 v51, v140, v14
	v_mul_lo_u32 v53, v73, v253
	v_cvt_f32_f16_e32 v194, v193
	v_cvt_f32_i32_e32 v193, v53
	v_dot4c_i32_i8_e32 v51, v141, v15
	v_dot4c_i32_i8_e32 v51, v142, v8
	v_mov_b32_e32 v53, 0
	v_pk_fma_f32 v[86:87], v[134:135], v[200:201], 0 op_sel_hi:[0,1,0]
	v_dot4c_i32_i8_e32 v51, v143, v9
	v_dot4c_i32_i8_e32 v53, v128, v4
	v_pk_fma_f32 v[84:85], v[84:85], v[198:199], 0 op_sel_hi:[1,1,0]
	v_pk_fma_f32 v[86:87], v[184:185], v[196:197], v[86:87] op_sel_hi:[0,1,1]
	v_dot4c_i32_i8_e32 v51, v144, v10
	v_dot4c_i32_i8_e32 v53, v129, v5
	v_pk_fma_f32 v[84:85], v[192:193], v[194:195], v[84:85]
	v_pk_mul_f32 v[86:87], v[86:87], v[98:99]
	v_dot4c_i32_i8_e32 v51, v145, v11
	v_dot4c_i32_i8_e32 v53, v166, v6
	v_pk_fma_f32 v[84:85], v[84:85], v[96:97], v[86:87] neg_lo:[0,0,1] neg_hi:[0,0,1]
	v_dot4c_i32_i8_e32 v53, v167, v7
	v_mul_lo_u32 v51, v51, v165
	v_pk_add_f32 v[38:39], v[38:39], v[84:85]
	v_dot4c_i32_i8_e32 v53, v168, v0
	v_cvt_f32_i32_e32 v85, v51
	v_mul_lo_u32 v51, v67, v251
	v_dot4c_i32_i8_e32 v53, v169, v1
	v_cvt_f32_i32_e32 v192, v51
	v_mov_b32_e32 v51, 0
	v_dot4c_i32_i8_e32 v53, v172, v2
	v_dot4c_i32_i8_e32 v51, v136, v12
	;; [unrolled: 1-line block ×3, first 2 shown]
	v_mul_lo_u32 v65, v65, v165
	v_dot4c_i32_i8_e32 v51, v137, v13
	v_cvt_f32_i32_e32 v84, v65
	v_mul_lo_u32 v53, v53, v251
	v_dot4c_i32_i8_e32 v51, v146, v14
	v_cvt_f32_i32_e32 v193, v53
	v_dot4c_i32_i8_e32 v51, v147, v15
	v_dot4c_i32_i8_e32 v51, v148, v8
	v_pk_fma_f32 v[86:87], v[124:125], v[200:201], 0 op_sel_hi:[0,1,0]
	v_dot4c_i32_i8_e32 v51, v149, v9
	v_pk_fma_f32 v[84:85], v[84:85], v[198:199], 0 op_sel_hi:[1,1,0]
	v_pk_fma_f32 v[86:87], v[160:161], v[196:197], v[86:87] op_sel_hi:[0,1,1]
	v_dot4c_i32_i8_e32 v51, v150, v10
	v_pk_fma_f32 v[84:85], v[192:193], v[194:195], v[84:85]
	v_pk_mul_f32 v[86:87], v[86:87], v[102:103]
	v_dot4c_i32_i8_e32 v51, v151, v11
	v_pk_fma_f32 v[84:85], v[84:85], v[100:101], v[86:87] neg_lo:[0,0,1] neg_hi:[0,0,1]
	v_pk_add_f32 v[36:37], v[36:37], v[84:85]
	v_mov_b32_e32 v53, 0
	v_mul_lo_u32 v51, v51, v249
	v_cvt_f32_i32_e32 v85, v51
	v_mul_lo_u32 v51, v254, v252
	v_cvt_f32_i32_e32 v192, v51
	v_mov_b32_e32 v51, 0
	v_dot4c_i32_i8_e32 v51, v138, v12
	v_dot4c_i32_i8_e32 v51, v139, v13
	v_dot4c_i32_i8_e32 v51, v152, v14
	v_dot4c_i32_i8_e32 v51, v153, v15
	v_dot4c_i32_i8_e32 v51, v154, v8
	v_mov_b32_e32 v8, 0
	v_dot4c_i32_i8_e32 v8, v122, v4
	v_dot4c_i32_i8_e32 v8, v123, v5
	;; [unrolled: 1-line block ×17, first 2 shown]
	v_mul_lo_u32 v0, v255, v135
	v_mul_lo_u32 v1, v51, v135
	v_cvt_f32_i32_e32 v1, v1
	v_cvt_f32_i32_e32 v0, v0
	v_mul_lo_u32 v4, v71, v127
	v_mul_lo_u32 v5, v8, v127
	v_cvt_f32_i32_e32 v5, v5
	v_cvt_f32_i32_e32 v4, v4
	v_dot4c_i32_i8_e32 v53, v182, v2
	v_dot4c_i32_i8_e32 v53, v183, v3
	v_mul_lo_u32 v65, v69, v249
	v_pk_fma_f32 v[2:3], v[114:115], v[200:201], 0 op_sel_hi:[0,1,0]
	v_cvt_f32_i32_e32 v84, v65
	v_mul_lo_u32 v53, v53, v252
	v_pk_fma_f32 v[0:1], v[0:1], v[198:199], 0 op_sel_hi:[1,1,0]
	v_pk_fma_f32 v[2:3], v[112:113], v[196:197], v[2:3] op_sel_hi:[0,1,1]
	v_cvt_f32_i32_e32 v193, v53
	v_pk_fma_f32 v[0:1], v[4:5], v[194:195], v[0:1]
	v_pk_mul_f32 v[2:3], v[2:3], v[110:111]
	v_pk_fma_f32 v[0:1], v[0:1], v[108:109], v[2:3] neg_lo:[0,0,1] neg_hi:[0,0,1]
	v_pk_add_f32 v[32:33], v[32:33], v[0:1]
	v_or_b32_e32 v0, s18, v217
	v_pk_fma_f32 v[84:85], v[84:85], v[198:199], 0 op_sel_hi:[1,1,0]
	v_lshlrev_b32_e32 v1, 2, v0
	v_pk_fma_f32 v[84:85], v[192:193], v[194:195], v[84:85]
	v_lshrrev_b32_e32 v51, 1, v0
	ds_read_b128 v[12:15], v1 offset:33280
	ds_read_b128 v[8:11], v1 offset:33296
	ds_read_b128 v[4:7], v1 offset:33312
	ds_read_b128 v[0:3], v1 offset:33328
	ds_read_b64 v[192:193], v51 offset:43584
	v_mov_b32_e32 v51, 0
	v_mov_b32_e32 v53, 0
	;; [unrolled: 1-line block ×8, first 2 shown]
	s_waitcnt lgkmcnt(4)
	v_dot4c_i32_i8_e32 v51, v162, v12
	s_waitcnt lgkmcnt(2)
	v_dot4c_i32_i8_e32 v53, v158, v4
	v_dot4c_i32_i8_e32 v65, v132, v12
	;; [unrolled: 1-line block ×15, first 2 shown]
	v_pk_fma_f32 v[86:87], v[126:127], v[200:201], 0 op_sel_hi:[0,1,0]
	v_dot4c_i32_i8_e32 v51, v170, v14
	v_dot4c_i32_i8_e32 v53, v186, v6
	;; [unrolled: 1-line block ×8, first 2 shown]
	v_pk_fma_f32 v[86:87], v[164:165], v[196:197], v[86:87] op_sel_hi:[0,1,1]
	v_dot4c_i32_i8_e32 v51, v171, v15
	v_dot4c_i32_i8_e32 v53, v187, v7
	;; [unrolled: 1-line block ×8, first 2 shown]
	v_pk_mul_f32 v[86:87], v[86:87], v[106:107]
	v_dot4c_i32_i8_e32 v51, v174, v8
	s_waitcnt lgkmcnt(1)
	v_dot4c_i32_i8_e32 v53, v188, v0
	v_dot4c_i32_i8_e32 v65, v142, v8
	;; [unrolled: 1-line block ×7, first 2 shown]
	v_pk_fma_f32 v[84:85], v[84:85], v[104:105], v[86:87] neg_lo:[0,0,1] neg_hi:[0,0,1]
	v_dot4c_i32_i8_e32 v51, v175, v9
	v_dot4c_i32_i8_e32 v53, v189, v1
	;; [unrolled: 1-line block ×8, first 2 shown]
	v_or_b32_e32 v0, s18, v220
	v_pk_add_f32 v[34:35], v[34:35], v[84:85]
	v_dot4c_i32_i8_e32 v51, v178, v10
	v_dot4c_i32_i8_e32 v53, v190, v2
	;; [unrolled: 1-line block ×8, first 2 shown]
	v_lshlrev_b32_e32 v1, 2, v0
	v_lshrrev_b32_e32 v84, 1, v0
	v_dot4c_i32_i8_e32 v51, v179, v11
	v_dot4c_i32_i8_e32 v53, v191, v3
	;; [unrolled: 1-line block ×8, first 2 shown]
	ds_read_b128 v[12:15], v1 offset:33280
	ds_read_b128 v[8:11], v1 offset:33296
	ds_read_b128 v[4:7], v1 offset:33312
	ds_read_b128 v[0:3], v1 offset:33328
	ds_read_b64 v[84:85], v84 offset:43584
	v_mov_b32_e32 v86, 0
	s_waitcnt lgkmcnt(4)
	v_dot4c_i32_i8_e32 v86, v162, v12
	v_dot4c_i32_i8_e32 v86, v163, v13
	;; [unrolled: 1-line block ×4, first 2 shown]
	s_waitcnt lgkmcnt(3)
	v_dot4c_i32_i8_e32 v86, v174, v8
	v_mov_b32_e32 v255, 0
	v_dot4c_i32_i8_e32 v86, v175, v9
	s_waitcnt lgkmcnt(2)
	v_dot4c_i32_i8_e32 v255, v158, v4
	v_dot4c_i32_i8_e32 v86, v178, v10
	;; [unrolled: 1-line block ×6, first 2 shown]
	s_waitcnt lgkmcnt(0)
	v_cvt_f32_f16_e32 v199, v84
	v_cvt_f32_f16_sdwa v201, v84 dst_sel:DWORD dst_unused:UNUSED_PAD src0_sel:WORD_1
	v_mul_lo_u32 v51, v51, v250
	v_mul_lo_u32 v84, v86, v250
	v_dot4c_i32_i8_e32 v255, v188, v0
	v_cvt_f32_f16_e32 v195, v85
	v_cvt_f32_f16_sdwa v197, v85 dst_sel:DWORD dst_unused:UNUSED_PAD src0_sel:WORD_1
	v_cvt_f32_i32_e32 v85, v84
	v_cvt_f32_i32_e32 v84, v51
	v_mul_lo_u32 v51, v53, v253
	v_dot4c_i32_i8_e32 v255, v189, v1
	v_cvt_f32_f16_e32 v198, v192
	v_cvt_f32_f16_sdwa v200, v192 dst_sel:DWORD dst_unused:UNUSED_PAD src0_sel:WORD_1
	v_cvt_f32_i32_e32 v192, v51
	v_mov_b32_e32 v51, 0
	v_dot4c_i32_i8_e32 v255, v190, v2
	v_dot4c_i32_i8_e32 v51, v132, v12
	;; [unrolled: 1-line block ×4, first 2 shown]
	v_cvt_f32_f16_sdwa v196, v193 dst_sel:DWORD dst_unused:UNUSED_PAD src0_sel:WORD_1
	v_dot4c_i32_i8_e32 v51, v140, v14
	v_mul_lo_u32 v53, v255, v253
	v_cvt_f32_f16_e32 v194, v193
	v_cvt_f32_i32_e32 v193, v53
	v_dot4c_i32_i8_e32 v51, v141, v15
	v_dot4c_i32_i8_e32 v51, v142, v8
	v_mov_b32_e32 v53, 0
	v_pk_fma_f32 v[86:87], v[134:135], v[200:201], 0 op_sel_hi:[0,1,0]
	v_dot4c_i32_i8_e32 v51, v143, v9
	v_dot4c_i32_i8_e32 v53, v128, v4
	v_pk_fma_f32 v[84:85], v[84:85], v[198:199], 0 op_sel_hi:[1,1,0]
	v_pk_fma_f32 v[86:87], v[184:185], v[196:197], v[86:87] op_sel_hi:[0,1,1]
	v_dot4c_i32_i8_e32 v51, v144, v10
	v_dot4c_i32_i8_e32 v53, v129, v5
	v_pk_fma_f32 v[84:85], v[192:193], v[194:195], v[84:85]
	v_pk_mul_f32 v[86:87], v[86:87], v[98:99]
	v_dot4c_i32_i8_e32 v51, v145, v11
	v_dot4c_i32_i8_e32 v53, v166, v6
	v_pk_fma_f32 v[84:85], v[84:85], v[96:97], v[86:87] neg_lo:[0,0,1] neg_hi:[0,0,1]
	v_dot4c_i32_i8_e32 v53, v167, v7
	v_mul_lo_u32 v51, v51, v165
	v_pk_add_f32 v[30:31], v[30:31], v[84:85]
	v_dot4c_i32_i8_e32 v53, v168, v0
	v_cvt_f32_i32_e32 v85, v51
	v_mul_lo_u32 v51, v67, v251
	v_dot4c_i32_i8_e32 v53, v169, v1
	v_cvt_f32_i32_e32 v192, v51
	v_mov_b32_e32 v51, 0
	v_dot4c_i32_i8_e32 v53, v172, v2
	v_dot4c_i32_i8_e32 v51, v136, v12
	;; [unrolled: 1-line block ×3, first 2 shown]
	v_mul_lo_u32 v65, v65, v165
	v_dot4c_i32_i8_e32 v51, v137, v13
	v_cvt_f32_i32_e32 v84, v65
	v_mul_lo_u32 v53, v53, v251
	v_dot4c_i32_i8_e32 v51, v146, v14
	v_cvt_f32_i32_e32 v193, v53
	v_dot4c_i32_i8_e32 v51, v147, v15
	v_dot4c_i32_i8_e32 v51, v148, v8
	v_pk_fma_f32 v[86:87], v[124:125], v[200:201], 0 op_sel_hi:[0,1,0]
	v_dot4c_i32_i8_e32 v51, v149, v9
	v_pk_fma_f32 v[84:85], v[84:85], v[198:199], 0 op_sel_hi:[1,1,0]
	v_pk_fma_f32 v[86:87], v[160:161], v[196:197], v[86:87] op_sel_hi:[0,1,1]
	v_dot4c_i32_i8_e32 v51, v150, v10
	v_pk_fma_f32 v[84:85], v[192:193], v[194:195], v[84:85]
	v_pk_mul_f32 v[86:87], v[86:87], v[102:103]
	v_dot4c_i32_i8_e32 v51, v151, v11
	v_pk_fma_f32 v[84:85], v[84:85], v[100:101], v[86:87] neg_lo:[0,0,1] neg_hi:[0,0,1]
	v_pk_add_f32 v[28:29], v[28:29], v[84:85]
	v_mov_b32_e32 v53, 0
	v_mul_lo_u32 v51, v51, v249
	v_cvt_f32_i32_e32 v85, v51
	v_mul_lo_u32 v51, v71, v252
	v_cvt_f32_i32_e32 v192, v51
	v_mov_b32_e32 v51, 0
	v_dot4c_i32_i8_e32 v51, v138, v12
	v_dot4c_i32_i8_e32 v51, v139, v13
	;; [unrolled: 1-line block ×5, first 2 shown]
	v_mov_b32_e32 v8, 0
	v_dot4c_i32_i8_e32 v8, v122, v4
	v_dot4c_i32_i8_e32 v8, v123, v5
	;; [unrolled: 1-line block ×17, first 2 shown]
	v_mul_lo_u32 v0, v73, v135
	v_mul_lo_u32 v1, v51, v135
	v_cvt_f32_i32_e32 v1, v1
	v_cvt_f32_i32_e32 v0, v0
	v_mul_lo_u32 v4, v254, v127
	v_mul_lo_u32 v5, v8, v127
	v_cvt_f32_i32_e32 v5, v5
	v_cvt_f32_i32_e32 v4, v4
	v_dot4c_i32_i8_e32 v53, v182, v2
	v_dot4c_i32_i8_e32 v53, v183, v3
	v_mul_lo_u32 v65, v69, v249
	v_pk_fma_f32 v[2:3], v[114:115], v[200:201], 0 op_sel_hi:[0,1,0]
	v_cvt_f32_i32_e32 v84, v65
	v_mul_lo_u32 v53, v53, v252
	v_pk_fma_f32 v[0:1], v[0:1], v[198:199], 0 op_sel_hi:[1,1,0]
	v_pk_fma_f32 v[2:3], v[112:113], v[196:197], v[2:3] op_sel_hi:[0,1,1]
	v_cvt_f32_i32_e32 v193, v53
	v_pk_fma_f32 v[0:1], v[4:5], v[194:195], v[0:1]
	v_pk_mul_f32 v[2:3], v[2:3], v[110:111]
	v_pk_fma_f32 v[0:1], v[0:1], v[108:109], v[2:3] neg_lo:[0,0,1] neg_hi:[0,0,1]
	v_pk_add_f32 v[24:25], v[24:25], v[0:1]
	v_or_b32_e32 v0, s18, v223
	v_pk_fma_f32 v[84:85], v[84:85], v[198:199], 0 op_sel_hi:[1,1,0]
	v_lshlrev_b32_e32 v1, 2, v0
	v_pk_fma_f32 v[84:85], v[192:193], v[194:195], v[84:85]
	v_lshrrev_b32_e32 v51, 1, v0
	ds_read_b128 v[12:15], v1 offset:33280
	ds_read_b128 v[8:11], v1 offset:33296
	;; [unrolled: 1-line block ×4, first 2 shown]
	ds_read_b64 v[192:193], v51 offset:43584
	v_mov_b32_e32 v51, 0
	v_mov_b32_e32 v53, 0
	;; [unrolled: 1-line block ×8, first 2 shown]
	s_waitcnt lgkmcnt(4)
	v_dot4c_i32_i8_e32 v51, v162, v12
	s_waitcnt lgkmcnt(2)
	v_dot4c_i32_i8_e32 v53, v158, v4
	v_dot4c_i32_i8_e32 v65, v132, v12
	;; [unrolled: 1-line block ×23, first 2 shown]
	v_pk_fma_f32 v[86:87], v[126:127], v[200:201], 0 op_sel_hi:[0,1,0]
	v_dot4c_i32_i8_e32 v51, v171, v15
	v_dot4c_i32_i8_e32 v53, v187, v7
	;; [unrolled: 1-line block ×8, first 2 shown]
	v_pk_fma_f32 v[86:87], v[164:165], v[196:197], v[86:87] op_sel_hi:[0,1,1]
	v_dot4c_i32_i8_e32 v51, v174, v8
	s_waitcnt lgkmcnt(1)
	v_dot4c_i32_i8_e32 v53, v188, v0
	v_dot4c_i32_i8_e32 v65, v142, v8
	;; [unrolled: 1-line block ×7, first 2 shown]
	v_pk_mul_f32 v[86:87], v[86:87], v[106:107]
	v_dot4c_i32_i8_e32 v51, v175, v9
	v_dot4c_i32_i8_e32 v53, v189, v1
	;; [unrolled: 1-line block ×8, first 2 shown]
	v_or_b32_e32 v0, s18, v226
	v_pk_fma_f32 v[84:85], v[84:85], v[104:105], v[86:87] neg_lo:[0,0,1] neg_hi:[0,0,1]
	v_dot4c_i32_i8_e32 v51, v178, v10
	v_dot4c_i32_i8_e32 v53, v190, v2
	;; [unrolled: 1-line block ×8, first 2 shown]
	v_lshlrev_b32_e32 v1, 2, v0
	v_lshrrev_b32_e32 v73, 1, v0
	v_pk_add_f32 v[26:27], v[26:27], v[84:85]
	v_dot4c_i32_i8_e32 v51, v179, v11
	v_dot4c_i32_i8_e32 v53, v191, v3
	v_dot4c_i32_i8_e32 v65, v145, v11
	v_dot4c_i32_i8_e32 v67, v173, v3
	v_dot4c_i32_i8_e32 v69, v151, v11
	v_dot4c_i32_i8_e32 v71, v183, v3
	v_dot4c_i32_i8_e32 v195, v157, v11
	v_dot4c_i32_i8_e32 v194, v121, v3
	ds_read_b128 v[12:15], v1 offset:33280
	ds_read_b128 v[8:11], v1 offset:33296
	;; [unrolled: 1-line block ×4, first 2 shown]
	ds_read_b64 v[84:85], v73 offset:43584
	v_mov_b32_e32 v73, 0
	s_waitcnt lgkmcnt(4)
	v_dot4c_i32_i8_e32 v73, v162, v12
	v_dot4c_i32_i8_e32 v73, v163, v13
	v_dot4c_i32_i8_e32 v73, v170, v14
	v_dot4c_i32_i8_e32 v73, v171, v15
	s_waitcnt lgkmcnt(3)
	v_dot4c_i32_i8_e32 v73, v174, v8
	v_dot4c_i32_i8_e32 v73, v175, v9
	;; [unrolled: 1-line block ×3, first 2 shown]
	v_mov_b32_e32 v178, 0
	s_waitcnt lgkmcnt(2)
	v_dot4c_i32_i8_e32 v178, v158, v4
	v_dot4c_i32_i8_e32 v178, v159, v5
	;; [unrolled: 1-line block ×4, first 2 shown]
	s_waitcnt lgkmcnt(1)
	v_dot4c_i32_i8_e32 v178, v188, v0
	v_dot4c_i32_i8_e32 v178, v189, v1
	;; [unrolled: 1-line block ×3, first 2 shown]
	v_mul_lo_u32 v51, v51, v250
	v_dot4c_i32_i8_e32 v178, v191, v3
	s_waitcnt lgkmcnt(0)
	v_cvt_f32_f16_e32 v175, v84
	v_cvt_f32_f16_sdwa v171, v84 dst_sel:DWORD dst_unused:UNUSED_PAD src0_sel:WORD_1
	v_cvt_f32_i32_e32 v84, v51
	v_mul_lo_u32 v51, v53, v253
	v_mul_lo_u32 v53, v178, v253
	v_cvt_f32_i32_e32 v178, v51
	v_mov_b32_e32 v51, 0
	v_dot4c_i32_i8_e32 v73, v179, v11
	v_dot4c_i32_i8_e32 v51, v132, v12
	v_cvt_f32_f16_sdwa v170, v192 dst_sel:DWORD dst_unused:UNUSED_PAD src0_sel:WORD_1
	v_dot4c_i32_i8_e32 v51, v133, v13
	v_mul_lo_u32 v73, v73, v250
	v_cvt_f32_f16_e32 v174, v192
	v_cvt_f32_f16_e32 v163, v85
	v_cvt_f32_f16_sdwa v159, v85 dst_sel:DWORD dst_unused:UNUSED_PAD src0_sel:WORD_1
	v_cvt_f32_f16_sdwa v158, v193 dst_sel:DWORD dst_unused:UNUSED_PAD src0_sel:WORD_1
	v_cvt_f32_i32_e32 v85, v73
	v_dot4c_i32_i8_e32 v51, v140, v14
	v_cvt_f32_f16_e32 v162, v193
	v_cvt_f32_i32_e32 v179, v53
	v_dot4c_i32_i8_e32 v51, v141, v15
	v_dot4c_i32_i8_e32 v51, v142, v8
	v_pk_fma_f32 v[86:87], v[134:135], v[170:171], 0 op_sel_hi:[0,1,0]
	v_dot4c_i32_i8_e32 v51, v143, v9
	v_mov_b32_e32 v53, 0
	v_pk_fma_f32 v[84:85], v[84:85], v[174:175], 0 op_sel_hi:[1,1,0]
	v_pk_fma_f32 v[86:87], v[184:185], v[158:159], v[86:87] op_sel_hi:[0,1,1]
	v_dot4c_i32_i8_e32 v51, v144, v10
	v_dot4c_i32_i8_e32 v53, v128, v4
	v_pk_fma_f32 v[84:85], v[178:179], v[162:163], v[84:85]
	v_pk_mul_f32 v[86:87], v[86:87], v[98:99]
	v_dot4c_i32_i8_e32 v51, v145, v11
	v_dot4c_i32_i8_e32 v53, v129, v5
	v_pk_fma_f32 v[84:85], v[84:85], v[96:97], v[86:87] neg_lo:[0,0,1] neg_hi:[0,0,1]
	v_dot4c_i32_i8_e32 v53, v166, v6
	v_mul_lo_u32 v51, v51, v165
	v_pk_add_f32 v[22:23], v[22:23], v[84:85]
	v_dot4c_i32_i8_e32 v53, v167, v7
	v_cvt_f32_i32_e32 v85, v51
	v_mul_lo_u32 v51, v67, v251
	v_dot4c_i32_i8_e32 v53, v168, v0
	v_pk_fma_f32 v[86:87], v[124:125], v[170:171], 0 op_sel_hi:[0,1,0]
	v_cvt_f32_i32_e32 v128, v51
	v_mov_b32_e32 v51, 0
	v_mov_b32_e32 v124, 0
	v_dot4c_i32_i8_e32 v53, v169, v1
	v_dot4c_i32_i8_e32 v51, v136, v12
	;; [unrolled: 1-line block ×10, first 2 shown]
	v_mul_lo_u32 v53, v53, v251
	v_dot4c_i32_i8_e32 v124, v153, v15
	v_cvt_f32_i32_e32 v129, v53
	v_dot4c_i32_i8_e32 v51, v148, v8
	v_mov_b32_e32 v53, 0
	v_dot4c_i32_i8_e32 v124, v154, v8
	v_mov_b32_e32 v8, 0
	v_mul_lo_u32 v65, v65, v165
	v_dot4c_i32_i8_e32 v53, v130, v4
	v_dot4c_i32_i8_e32 v8, v122, v4
	v_cvt_f32_i32_e32 v84, v65
	v_dot4c_i32_i8_e32 v53, v131, v5
	v_dot4c_i32_i8_e32 v8, v123, v5
	;; [unrolled: 1-line block ×10, first 2 shown]
	v_pk_fma_f32 v[84:85], v[84:85], v[174:175], 0 op_sel_hi:[1,1,0]
	v_pk_fma_f32 v[86:87], v[160:161], v[158:159], v[86:87] op_sel_hi:[0,1,1]
	v_dot4c_i32_i8_e32 v51, v150, v10
	v_dot4c_i32_i8_e32 v53, v181, v1
	;; [unrolled: 1-line block ×4, first 2 shown]
	v_pk_fma_f32 v[84:85], v[128:129], v[162:163], v[84:85]
	v_pk_mul_f32 v[86:87], v[86:87], v[102:103]
	v_dot4c_i32_i8_e32 v51, v151, v11
	v_dot4c_i32_i8_e32 v53, v182, v2
	;; [unrolled: 1-line block ×4, first 2 shown]
	v_pk_fma_f32 v[84:85], v[84:85], v[100:101], v[86:87] neg_lo:[0,0,1] neg_hi:[0,0,1]
	v_dot4c_i32_i8_e32 v53, v183, v3
	v_mul_lo_u32 v65, v69, v249
	v_mul_lo_u32 v51, v51, v249
	v_dot4c_i32_i8_e32 v8, v121, v3
	v_mul_lo_u32 v0, v195, v135
	v_mul_lo_u32 v1, v124, v135
	v_pk_add_f32 v[20:21], v[20:21], v[84:85]
	v_cvt_f32_i32_e32 v85, v51
	v_cvt_f32_i32_e32 v84, v65
	v_mul_lo_u32 v51, v71, v252
	v_mul_lo_u32 v53, v53, v252
	v_cvt_f32_i32_e32 v1, v1
	v_cvt_f32_i32_e32 v0, v0
	v_mul_lo_u32 v4, v194, v127
	v_mul_lo_u32 v5, v8, v127
	v_cvt_f32_i32_e32 v129, v53
	v_cvt_f32_i32_e32 v128, v51
	;; [unrolled: 1-line block ×4, first 2 shown]
	v_pk_fma_f32 v[86:87], v[126:127], v[170:171], 0 op_sel_hi:[0,1,0]
	v_pk_fma_f32 v[2:3], v[114:115], v[170:171], 0 op_sel_hi:[0,1,0]
	;; [unrolled: 1-line block ×6, first 2 shown]
	v_pk_fma_f32 v[84:85], v[128:129], v[162:163], v[84:85]
	v_pk_mul_f32 v[86:87], v[86:87], v[106:107]
	v_pk_fma_f32 v[0:1], v[4:5], v[162:163], v[0:1]
	v_pk_mul_f32 v[2:3], v[2:3], v[110:111]
	v_pk_fma_f32 v[84:85], v[84:85], v[104:105], v[86:87] neg_lo:[0,0,1] neg_hi:[0,0,1]
	v_pk_fma_f32 v[0:1], v[0:1], v[108:109], v[2:3] neg_lo:[0,0,1] neg_hi:[0,0,1]
	v_pk_add_f32 v[18:19], v[18:19], v[84:85]
	v_pk_add_f32 v[16:17], v[16:17], v[0:1]
	s_mov_b32 s19, 8
	s_and_b64 vcc, exec, s[4:5]
	s_mov_b64 s[4:5], 0
	s_cbranch_vccnz .LBB153_6
; %bb.7:                                ;   in Loop: Header=BB153_5 Depth=1
	v_add_u32_e32 v14, s17, v229
	v_add_u32_e32 v0, v14, v205
	;; [unrolled: 1-line block ×6, first 2 shown]
	v_mad_i64_i32 v[0:1], s[4:5], v0, 36, v[92:93]
	v_mad_i64_i32 v[2:3], s[4:5], v2, 36, v[92:93]
	;; [unrolled: 1-line block ×5, first 2 shown]
	v_add_u32_e32 v10, v14, v219
	v_add_u32_e32 v12, v14, v222
	;; [unrolled: 1-line block ×3, first 2 shown]
	s_barrier
	v_mad_i64_i32 v[10:11], s[4:5], v10, 36, v[92:93]
	v_mad_i64_i32 v[12:13], s[4:5], v12, 36, v[92:93]
	;; [unrolled: 1-line block ×3, first 2 shown]
	global_load_dword v51, v[0:1], off offset:4
	s_nop 0
	global_load_dword v2, v[2:3], off offset:4
	s_nop 0
	;; [unrolled: 2-line block ×3, first 2 shown]
	global_load_dword v4, v[6:7], off offset:4
	global_load_dword v5, v[8:9], off offset:4
	s_nop 0
	global_load_dword v6, v[10:11], off offset:4
	global_load_dword v7, v[12:13], off offset:4
	global_load_dword v8, v[14:15], off offset:4
	v_add_u32_e32 v0, 4, v125
	v_mad_u64_u32 v[0:1], s[4:5], v0, 36, s[2:3]
	global_load_dword v0, v[0:1], off
	s_mov_b32 s4, 16
	s_waitcnt vmcnt(8)
	ds_write_b32 v206, v51
	s_waitcnt vmcnt(7)
	ds_write_b32 v209, v2
	s_waitcnt vmcnt(6)
	ds_write_b32 v212, v3
	s_waitcnt vmcnt(5)
	ds_write_b32 v215, v4
	s_waitcnt vmcnt(4)
	ds_write_b32 v218, v5
	s_waitcnt vmcnt(3)
	ds_write_b32 v221, v6
	s_waitcnt vmcnt(2)
	ds_write_b32 v224, v7
	s_waitcnt vmcnt(1)
	ds_write_b32 v227, v8
	s_waitcnt vmcnt(0)
	ds_write_b32 v95, v0
	s_waitcnt lgkmcnt(0)
	s_barrier
	ds_read_b32 v0, v228
	ds_read_b32 v1, v230 offset:128
	ds_read_b32 v2, v232 offset:256
	;; [unrolled: 1-line block ×3, first 2 shown]
	s_waitcnt lgkmcnt(2)
	v_cvt_f32_f16_e32 v100, v1
	v_cvt_f32_f16_e32 v96, v0
	v_cvt_f32_f16_sdwa v98, v0 dst_sel:DWORD dst_unused:UNUSED_PAD src0_sel:WORD_1
	v_cvt_f32_f16_sdwa v102, v1 dst_sel:DWORD dst_unused:UNUSED_PAD src0_sel:WORD_1
	s_waitcnt lgkmcnt(1)
	v_cvt_f32_f16_e32 v104, v2
	v_cvt_f32_f16_sdwa v106, v2 dst_sel:DWORD dst_unused:UNUSED_PAD src0_sel:WORD_1
	s_waitcnt lgkmcnt(0)
	v_cvt_f32_f16_e32 v108, v3
	v_cvt_f32_f16_sdwa v110, v3 dst_sel:DWORD dst_unused:UNUSED_PAD src0_sel:WORD_1
	v_mov_b32_e32 v97, v96
	v_mov_b32_e32 v99, v98
	;; [unrolled: 1-line block ×8, first 2 shown]
.LBB153_8:                              ;   Parent Loop BB153_5 Depth=1
                                        ; =>  This Inner Loop Header: Depth=2
	s_lshr_b32 s5, s4, 2
	s_and_b32 s17, s5, 0x3ffffffe
	s_lshl_b32 s5, s4, 1
	s_and_b32 s5, s5, 16
	v_or_b32_e32 v0, s5, v113
	v_lshlrev_b32_e32 v1, 2, v0
	v_lshrrev_b32_e32 v51, 1, v0
	s_add_i32 s17, s17, 0xa200
	s_lshl_b32 s18, s4, 3
	ds_read_b128 v[12:15], v1 offset:33280
	ds_read_b128 v[8:11], v1 offset:33296
	;; [unrolled: 1-line block ×4, first 2 shown]
	ds_read_b64 v[192:193], v51 offset:43584
	v_add3_u32 v51, s17, v244, v245
	v_add_u32_e32 v53, s18, v235
	ds_read2_b32 v[176:177], v53 offset1:1
	ds_read2_b32 v[178:179], v53 offset0:2 offset1:3
	ds_read2_b32 v[180:181], v53 offset0:4 offset1:5
	;; [unrolled: 1-line block ×3, first 2 shown]
	ds_read_u16 v67, v51
	ds_read_u16 v51, v51 offset:8
	ds_read2_b32 v[158:159], v53 offset0:8 offset1:9
	ds_read2_b32 v[186:187], v53 offset0:10 offset1:11
	;; [unrolled: 1-line block ×4, first 2 shown]
	s_waitcnt lgkmcnt(4)
	v_cvt_f32_ubyte0_e32 v138, v51
	v_cvt_f32_ubyte1_e32 v184, v51
	v_add3_u32 v51, s17, v246, v241
	v_add_u32_e32 v53, s18, v236
	v_and_b32_e32 v249, 0xff, v67
	v_lshrrev_b16_e32 v252, 8, v67
	ds_read2_b32 v[128:129], v53 offset1:1
	ds_read2_b32 v[146:147], v53 offset0:2 offset1:3
	ds_read2_b32 v[152:153], v53 offset0:4 offset1:5
	;; [unrolled: 1-line block ×3, first 2 shown]
	ds_read_u16 v67, v51
	ds_read_u16 v51, v51 offset:8
	ds_read2_b32 v[136:137], v53 offset0:8 offset1:9
	ds_read2_b32 v[166:167], v53 offset0:10 offset1:11
	;; [unrolled: 1-line block ×4, first 2 shown]
	s_waitcnt lgkmcnt(4)
	v_cvt_f32_ubyte0_e32 v132, v51
	v_cvt_f32_ubyte1_e32 v162, v51
	v_add3_u32 v51, s17, v247, v242
	v_add_u32_e32 v53, s18, v237
	v_and_b32_e32 v163, 0xff, v67
	v_lshrrev_b16_e32 v251, 8, v67
	ds_read2_b32 v[126:127], v53 offset1:1
	ds_read2_b32 v[142:143], v53 offset0:2 offset1:3
	ds_read2_b32 v[148:149], v53 offset0:4 offset1:5
	;; [unrolled: 1-line block ×3, first 2 shown]
	ds_read_u16 v67, v51
	ds_read_u16 v51, v51 offset:8
	v_mov_b32_e32 v65, 0
	v_mov_b32_e32 v254, 0
	;; [unrolled: 1-line block ×3, first 2 shown]
	s_waitcnt lgkmcnt(1)
	v_and_b32_e32 v139, 0xff, v67
	v_lshrrev_b16_e32 v250, 8, v67
	v_add_u32_e32 v67, s18, v238
	ds_read2_b32 v[124:125], v67 offset1:1
	ds_read2_b32 v[140:141], v67 offset0:2 offset1:3
	ds_read2_b32 v[144:145], v67 offset0:4 offset1:5
	;; [unrolled: 1-line block ×3, first 2 shown]
	s_waitcnt lgkmcnt(4)
	v_cvt_f32_ubyte0_e32 v130, v51
	v_cvt_f32_ubyte1_e32 v160, v51
	v_mov_b32_e32 v51, 0
	v_dot4c_i32_i8_e32 v65, v176, v12
	v_dot4c_i32_i8_e32 v254, v128, v12
	;; [unrolled: 1-line block ×3, first 2 shown]
	s_waitcnt lgkmcnt(3)
	v_dot4c_i32_i8_e32 v51, v124, v12
	v_dot4c_i32_i8_e32 v65, v177, v13
	;; [unrolled: 1-line block ×8, first 2 shown]
	s_waitcnt lgkmcnt(2)
	v_dot4c_i32_i8_e32 v51, v140, v14
	v_dot4c_i32_i8_e32 v65, v179, v15
	v_dot4c_i32_i8_e32 v254, v147, v15
	v_dot4c_i32_i8_e32 v253, v143, v15
	v_dot4c_i32_i8_e32 v51, v141, v15
	v_dot4c_i32_i8_e32 v65, v180, v8
	v_dot4c_i32_i8_e32 v254, v152, v8
	v_dot4c_i32_i8_e32 v253, v148, v8
	ds_read2_b32 v[134:135], v53 offset0:8 offset1:9
	ds_read2_b32 v[164:165], v53 offset0:10 offset1:11
	;; [unrolled: 1-line block ×4, first 2 shown]
	v_add3_u32 v53, s17, v248, v243
	s_waitcnt lgkmcnt(5)
	v_dot4c_i32_i8_e32 v51, v144, v8
	v_dot4c_i32_i8_e32 v65, v181, v9
	;; [unrolled: 1-line block ×5, first 2 shown]
	ds_read_u16 v8, v53
	ds_read_u16 v9, v53 offset:8
	ds_read2_b32 v[122:123], v67 offset0:8 offset1:9
	ds_read2_b32 v[116:117], v67 offset0:10 offset1:11
	;; [unrolled: 1-line block ×4, first 2 shown]
	v_mov_b32_e32 v69, 0
	v_mov_b32_e32 v71, 0
	;; [unrolled: 1-line block ×4, first 2 shown]
	v_dot4c_i32_i8_e32 v69, v158, v4
	v_dot4c_i32_i8_e32 v71, v136, v4
	s_waitcnt lgkmcnt(9)
	v_dot4c_i32_i8_e32 v73, v134, v4
	s_waitcnt lgkmcnt(3)
	v_dot4c_i32_i8_e32 v53, v122, v4
	v_dot4c_i32_i8_e32 v69, v159, v5
	;; [unrolled: 1-line block ×8, first 2 shown]
	s_waitcnt lgkmcnt(2)
	v_dot4c_i32_i8_e32 v53, v116, v6
	v_dot4c_i32_i8_e32 v69, v187, v7
	v_dot4c_i32_i8_e32 v71, v167, v7
	v_dot4c_i32_i8_e32 v73, v165, v7
	v_dot4c_i32_i8_e32 v53, v117, v7
	v_dot4c_i32_i8_e32 v69, v188, v0
	v_dot4c_i32_i8_e32 v71, v170, v0
	v_dot4c_i32_i8_e32 v73, v168, v0
	s_waitcnt lgkmcnt(1)
	v_dot4c_i32_i8_e32 v53, v118, v0
	v_dot4c_i32_i8_e32 v69, v189, v1
	;; [unrolled: 1-line block ×5, first 2 shown]
	v_or_b32_e32 v0, s5, v208
	v_dot4c_i32_i8_e32 v65, v182, v10
	v_dot4c_i32_i8_e32 v69, v190, v2
	;; [unrolled: 1-line block ×7, first 2 shown]
	s_waitcnt lgkmcnt(0)
	v_dot4c_i32_i8_e32 v53, v120, v2
	v_lshlrev_b32_e32 v1, 2, v0
	v_dot4c_i32_i8_e32 v65, v183, v11
	v_dot4c_i32_i8_e32 v69, v191, v3
	;; [unrolled: 1-line block ×7, first 2 shown]
	v_and_b32_e32 v133, 0xff, v8
	v_cvt_f32_ubyte0_e32 v114, v9
	v_dot4c_i32_i8_e32 v53, v121, v3
	v_lshrrev_b16_e32 v131, 8, v8
	v_cvt_f32_ubyte1_e32 v112, v9
	v_lshrrev_b32_e32 v67, 1, v0
	ds_read_b128 v[12:15], v1 offset:33280
	ds_read_b128 v[8:11], v1 offset:33296
	;; [unrolled: 1-line block ×4, first 2 shown]
	ds_read_b64 v[84:85], v67 offset:43584
	v_mov_b32_e32 v67, 0
	s_waitcnt lgkmcnt(4)
	v_dot4c_i32_i8_e32 v67, v176, v12
	v_mov_b32_e32 v255, 0
	v_dot4c_i32_i8_e32 v67, v177, v13
	s_waitcnt lgkmcnt(2)
	v_dot4c_i32_i8_e32 v255, v158, v4
	v_dot4c_i32_i8_e32 v67, v178, v14
	;; [unrolled: 1-line block ×7, first 2 shown]
	v_mul_lo_u32 v65, v65, v249
	v_dot4c_i32_i8_e32 v67, v181, v9
	s_waitcnt lgkmcnt(1)
	v_dot4c_i32_i8_e32 v255, v188, v0
	s_waitcnt lgkmcnt(0)
	v_cvt_f32_f16_e32 v199, v84
	v_cvt_f32_f16_sdwa v201, v84 dst_sel:DWORD dst_unused:UNUSED_PAD src0_sel:WORD_1
	v_cvt_f32_i32_e32 v84, v65
	v_mul_lo_u32 v65, v69, v252
	v_dot4c_i32_i8_e32 v67, v182, v10
	v_dot4c_i32_i8_e32 v255, v189, v1
	v_cvt_f32_f16_e32 v198, v192
	v_cvt_f32_f16_sdwa v200, v192 dst_sel:DWORD dst_unused:UNUSED_PAD src0_sel:WORD_1
	v_cvt_f32_i32_e32 v192, v65
	v_mov_b32_e32 v65, 0
	v_dot4c_i32_i8_e32 v67, v183, v11
	v_dot4c_i32_i8_e32 v255, v190, v2
	;; [unrolled: 1-line block ×4, first 2 shown]
	v_mul_lo_u32 v67, v67, v249
	v_dot4c_i32_i8_e32 v65, v129, v13
	v_cvt_f32_f16_e32 v195, v85
	v_cvt_f32_f16_sdwa v197, v85 dst_sel:DWORD dst_unused:UNUSED_PAD src0_sel:WORD_1
	v_cvt_f32_f16_sdwa v196, v193 dst_sel:DWORD dst_unused:UNUSED_PAD src0_sel:WORD_1
	v_cvt_f32_i32_e32 v85, v67
	v_mul_lo_u32 v67, v255, v252
	v_dot4c_i32_i8_e32 v65, v146, v14
	v_cvt_f32_f16_e32 v194, v193
	v_cvt_f32_i32_e32 v193, v67
	v_dot4c_i32_i8_e32 v65, v147, v15
	v_dot4c_i32_i8_e32 v65, v152, v8
	v_mov_b32_e32 v67, 0
	v_pk_fma_f32 v[86:87], v[138:139], v[200:201], 0 op_sel_hi:[0,1,0]
	v_dot4c_i32_i8_e32 v65, v153, v9
	v_dot4c_i32_i8_e32 v67, v136, v4
	v_pk_fma_f32 v[84:85], v[198:199], v[84:85], 0 op_sel_hi:[1,1,0]
	v_pk_fma_f32 v[86:87], v[184:185], v[196:197], v[86:87] op_sel_hi:[0,1,1]
	v_dot4c_i32_i8_e32 v65, v156, v10
	v_dot4c_i32_i8_e32 v67, v137, v5
	v_pk_fma_f32 v[84:85], v[194:195], v[192:193], v[84:85]
	v_pk_mul_f32 v[86:87], v[86:87], v[98:99]
	v_dot4c_i32_i8_e32 v65, v157, v11
	v_dot4c_i32_i8_e32 v67, v166, v6
	v_pk_fma_f32 v[84:85], v[84:85], v[96:97], v[86:87] neg_lo:[0,0,1] neg_hi:[0,0,1]
	v_dot4c_i32_i8_e32 v67, v167, v7
	v_mul_lo_u32 v65, v65, v163
	v_pk_add_f32 v[46:47], v[46:47], v[84:85]
	v_dot4c_i32_i8_e32 v67, v170, v0
	v_cvt_f32_i32_e32 v85, v65
	v_mul_lo_u32 v65, v71, v251
	v_dot4c_i32_i8_e32 v67, v171, v1
	v_cvt_f32_i32_e32 v192, v65
	v_mov_b32_e32 v65, 0
	v_dot4c_i32_i8_e32 v67, v174, v2
	v_dot4c_i32_i8_e32 v65, v126, v12
	;; [unrolled: 1-line block ×3, first 2 shown]
	v_mul_lo_u32 v69, v254, v163
	v_dot4c_i32_i8_e32 v65, v127, v13
	v_cvt_f32_i32_e32 v84, v69
	v_mul_lo_u32 v67, v67, v251
	v_dot4c_i32_i8_e32 v65, v142, v14
	v_cvt_f32_i32_e32 v193, v67
	v_dot4c_i32_i8_e32 v65, v143, v15
	v_dot4c_i32_i8_e32 v65, v148, v8
	v_pk_fma_f32 v[86:87], v[132:133], v[200:201], 0 op_sel_hi:[0,1,0]
	v_dot4c_i32_i8_e32 v65, v149, v9
	v_pk_fma_f32 v[84:85], v[198:199], v[84:85], 0 op_sel_hi:[1,1,0]
	v_pk_fma_f32 v[86:87], v[162:163], v[196:197], v[86:87] op_sel_hi:[0,1,1]
	v_dot4c_i32_i8_e32 v65, v154, v10
	v_pk_fma_f32 v[84:85], v[194:195], v[192:193], v[84:85]
	v_pk_mul_f32 v[86:87], v[86:87], v[102:103]
	v_dot4c_i32_i8_e32 v65, v155, v11
	v_pk_fma_f32 v[84:85], v[84:85], v[100:101], v[86:87] neg_lo:[0,0,1] neg_hi:[0,0,1]
	v_pk_add_f32 v[44:45], v[44:45], v[84:85]
	v_mov_b32_e32 v67, 0
	v_mul_lo_u32 v65, v65, v139
	v_cvt_f32_i32_e32 v85, v65
	v_mul_lo_u32 v65, v73, v250
	v_cvt_f32_i32_e32 v192, v65
	v_mov_b32_e32 v65, 0
	v_dot4c_i32_i8_e32 v65, v124, v12
	v_dot4c_i32_i8_e32 v65, v125, v13
	v_dot4c_i32_i8_e32 v65, v140, v14
	v_dot4c_i32_i8_e32 v65, v141, v15
	v_dot4c_i32_i8_e32 v65, v144, v8
	v_mov_b32_e32 v8, 0
	v_dot4c_i32_i8_e32 v8, v122, v4
	v_dot4c_i32_i8_e32 v8, v123, v5
	;; [unrolled: 1-line block ×17, first 2 shown]
	v_mul_lo_u32 v0, v51, v133
	v_mul_lo_u32 v1, v65, v133
	v_cvt_f32_i32_e32 v1, v1
	v_cvt_f32_i32_e32 v0, v0
	v_mul_lo_u32 v4, v53, v131
	v_mul_lo_u32 v5, v8, v131
	v_cvt_f32_i32_e32 v5, v5
	v_cvt_f32_i32_e32 v4, v4
	v_dot4c_i32_i8_e32 v67, v172, v2
	v_dot4c_i32_i8_e32 v67, v173, v3
	v_mul_lo_u32 v69, v253, v139
	v_pk_fma_f32 v[2:3], v[114:115], v[200:201], 0 op_sel_hi:[0,1,0]
	v_cvt_f32_i32_e32 v84, v69
	v_mul_lo_u32 v67, v67, v250
	v_pk_fma_f32 v[0:1], v[198:199], v[0:1], 0 op_sel_hi:[1,1,0]
	v_pk_fma_f32 v[2:3], v[112:113], v[196:197], v[2:3] op_sel_hi:[0,1,1]
	v_cvt_f32_i32_e32 v193, v67
	v_pk_fma_f32 v[0:1], v[194:195], v[4:5], v[0:1]
	v_pk_mul_f32 v[2:3], v[2:3], v[110:111]
	v_pk_fma_f32 v[0:1], v[0:1], v[108:109], v[2:3] neg_lo:[0,0,1] neg_hi:[0,0,1]
	v_pk_add_f32 v[40:41], v[40:41], v[0:1]
	v_or_b32_e32 v0, s5, v211
	v_pk_fma_f32 v[84:85], v[198:199], v[84:85], 0 op_sel_hi:[1,1,0]
	v_lshlrev_b32_e32 v1, 2, v0
	v_pk_fma_f32 v[84:85], v[194:195], v[192:193], v[84:85]
	v_lshrrev_b32_e32 v51, 1, v0
	ds_read_b128 v[12:15], v1 offset:33280
	ds_read_b128 v[8:11], v1 offset:33296
	;; [unrolled: 1-line block ×4, first 2 shown]
	ds_read_b64 v[192:193], v51 offset:43584
	v_mov_b32_e32 v51, 0
	v_mov_b32_e32 v53, 0
	;; [unrolled: 1-line block ×8, first 2 shown]
	s_waitcnt lgkmcnt(4)
	v_dot4c_i32_i8_e32 v51, v176, v12
	s_waitcnt lgkmcnt(2)
	v_dot4c_i32_i8_e32 v53, v158, v4
	v_dot4c_i32_i8_e32 v65, v128, v12
	;; [unrolled: 1-line block ×15, first 2 shown]
	v_pk_fma_f32 v[86:87], v[130:131], v[200:201], 0 op_sel_hi:[0,1,0]
	v_dot4c_i32_i8_e32 v51, v178, v14
	v_dot4c_i32_i8_e32 v53, v186, v6
	v_dot4c_i32_i8_e32 v65, v146, v14
	v_dot4c_i32_i8_e32 v67, v166, v6
	v_dot4c_i32_i8_e32 v69, v142, v14
	v_dot4c_i32_i8_e32 v71, v164, v6
	v_dot4c_i32_i8_e32 v73, v140, v14
	v_dot4c_i32_i8_e32 v253, v116, v6
	v_pk_fma_f32 v[86:87], v[160:161], v[196:197], v[86:87] op_sel_hi:[0,1,1]
	v_dot4c_i32_i8_e32 v51, v179, v15
	v_dot4c_i32_i8_e32 v53, v187, v7
	;; [unrolled: 1-line block ×8, first 2 shown]
	v_pk_mul_f32 v[86:87], v[86:87], v[106:107]
	v_dot4c_i32_i8_e32 v51, v180, v8
	s_waitcnt lgkmcnt(1)
	v_dot4c_i32_i8_e32 v53, v188, v0
	v_dot4c_i32_i8_e32 v65, v152, v8
	v_dot4c_i32_i8_e32 v67, v170, v0
	v_dot4c_i32_i8_e32 v69, v148, v8
	v_dot4c_i32_i8_e32 v71, v168, v0
	v_dot4c_i32_i8_e32 v73, v144, v8
	v_dot4c_i32_i8_e32 v253, v118, v0
	v_pk_fma_f32 v[84:85], v[84:85], v[104:105], v[86:87] neg_lo:[0,0,1] neg_hi:[0,0,1]
	v_dot4c_i32_i8_e32 v51, v181, v9
	v_dot4c_i32_i8_e32 v53, v189, v1
	;; [unrolled: 1-line block ×8, first 2 shown]
	v_or_b32_e32 v0, s5, v214
	v_pk_add_f32 v[42:43], v[42:43], v[84:85]
	v_dot4c_i32_i8_e32 v51, v182, v10
	v_dot4c_i32_i8_e32 v53, v190, v2
	;; [unrolled: 1-line block ×8, first 2 shown]
	v_lshlrev_b32_e32 v1, 2, v0
	v_lshrrev_b32_e32 v84, 1, v0
	v_dot4c_i32_i8_e32 v51, v183, v11
	v_dot4c_i32_i8_e32 v53, v191, v3
	;; [unrolled: 1-line block ×8, first 2 shown]
	ds_read_b128 v[12:15], v1 offset:33280
	ds_read_b128 v[8:11], v1 offset:33296
	;; [unrolled: 1-line block ×4, first 2 shown]
	ds_read_b64 v[84:85], v84 offset:43584
	v_mov_b32_e32 v86, 0
	s_waitcnt lgkmcnt(4)
	v_dot4c_i32_i8_e32 v86, v176, v12
	v_dot4c_i32_i8_e32 v86, v177, v13
	;; [unrolled: 1-line block ×4, first 2 shown]
	s_waitcnt lgkmcnt(3)
	v_dot4c_i32_i8_e32 v86, v180, v8
	v_mov_b32_e32 v254, 0
	v_dot4c_i32_i8_e32 v86, v181, v9
	s_waitcnt lgkmcnt(2)
	v_dot4c_i32_i8_e32 v254, v158, v4
	v_dot4c_i32_i8_e32 v86, v182, v10
	;; [unrolled: 1-line block ×6, first 2 shown]
	s_waitcnt lgkmcnt(0)
	v_cvt_f32_f16_e32 v199, v84
	v_cvt_f32_f16_sdwa v201, v84 dst_sel:DWORD dst_unused:UNUSED_PAD src0_sel:WORD_1
	v_mul_lo_u32 v51, v51, v249
	v_mul_lo_u32 v84, v86, v249
	v_dot4c_i32_i8_e32 v254, v188, v0
	v_cvt_f32_f16_e32 v195, v85
	v_cvt_f32_f16_sdwa v197, v85 dst_sel:DWORD dst_unused:UNUSED_PAD src0_sel:WORD_1
	v_cvt_f32_i32_e32 v85, v84
	v_cvt_f32_i32_e32 v84, v51
	v_mul_lo_u32 v51, v53, v252
	v_dot4c_i32_i8_e32 v254, v189, v1
	v_cvt_f32_f16_e32 v198, v192
	v_cvt_f32_f16_sdwa v200, v192 dst_sel:DWORD dst_unused:UNUSED_PAD src0_sel:WORD_1
	v_cvt_f32_i32_e32 v192, v51
	v_mov_b32_e32 v51, 0
	v_dot4c_i32_i8_e32 v254, v190, v2
	v_dot4c_i32_i8_e32 v51, v128, v12
	;; [unrolled: 1-line block ×4, first 2 shown]
	v_cvt_f32_f16_sdwa v196, v193 dst_sel:DWORD dst_unused:UNUSED_PAD src0_sel:WORD_1
	v_dot4c_i32_i8_e32 v51, v146, v14
	v_mul_lo_u32 v53, v254, v252
	v_cvt_f32_f16_e32 v194, v193
	v_cvt_f32_i32_e32 v193, v53
	v_dot4c_i32_i8_e32 v51, v147, v15
	v_dot4c_i32_i8_e32 v51, v152, v8
	v_mov_b32_e32 v53, 0
	v_pk_fma_f32 v[86:87], v[138:139], v[200:201], 0 op_sel_hi:[0,1,0]
	v_dot4c_i32_i8_e32 v51, v153, v9
	v_dot4c_i32_i8_e32 v53, v136, v4
	v_pk_fma_f32 v[84:85], v[84:85], v[198:199], 0 op_sel_hi:[1,1,0]
	v_pk_fma_f32 v[86:87], v[184:185], v[196:197], v[86:87] op_sel_hi:[0,1,1]
	v_dot4c_i32_i8_e32 v51, v156, v10
	v_dot4c_i32_i8_e32 v53, v137, v5
	v_pk_fma_f32 v[84:85], v[192:193], v[194:195], v[84:85]
	v_pk_mul_f32 v[86:87], v[86:87], v[98:99]
	v_dot4c_i32_i8_e32 v51, v157, v11
	v_dot4c_i32_i8_e32 v53, v166, v6
	v_pk_fma_f32 v[84:85], v[84:85], v[96:97], v[86:87] neg_lo:[0,0,1] neg_hi:[0,0,1]
	v_dot4c_i32_i8_e32 v53, v167, v7
	v_mul_lo_u32 v51, v51, v163
	v_pk_add_f32 v[38:39], v[38:39], v[84:85]
	v_dot4c_i32_i8_e32 v53, v170, v0
	v_cvt_f32_i32_e32 v85, v51
	v_mul_lo_u32 v51, v67, v251
	v_dot4c_i32_i8_e32 v53, v171, v1
	v_cvt_f32_i32_e32 v192, v51
	v_mov_b32_e32 v51, 0
	v_dot4c_i32_i8_e32 v53, v174, v2
	v_dot4c_i32_i8_e32 v51, v126, v12
	;; [unrolled: 1-line block ×3, first 2 shown]
	v_mul_lo_u32 v65, v65, v163
	v_dot4c_i32_i8_e32 v51, v127, v13
	v_cvt_f32_i32_e32 v84, v65
	v_mul_lo_u32 v53, v53, v251
	v_dot4c_i32_i8_e32 v51, v142, v14
	v_cvt_f32_i32_e32 v193, v53
	v_dot4c_i32_i8_e32 v51, v143, v15
	v_dot4c_i32_i8_e32 v51, v148, v8
	v_pk_fma_f32 v[86:87], v[132:133], v[200:201], 0 op_sel_hi:[0,1,0]
	v_dot4c_i32_i8_e32 v51, v149, v9
	v_pk_fma_f32 v[84:85], v[84:85], v[198:199], 0 op_sel_hi:[1,1,0]
	v_pk_fma_f32 v[86:87], v[162:163], v[196:197], v[86:87] op_sel_hi:[0,1,1]
	v_dot4c_i32_i8_e32 v51, v154, v10
	v_pk_fma_f32 v[84:85], v[192:193], v[194:195], v[84:85]
	v_pk_mul_f32 v[86:87], v[86:87], v[102:103]
	v_dot4c_i32_i8_e32 v51, v155, v11
	v_pk_fma_f32 v[84:85], v[84:85], v[100:101], v[86:87] neg_lo:[0,0,1] neg_hi:[0,0,1]
	v_pk_add_f32 v[36:37], v[36:37], v[84:85]
	v_mov_b32_e32 v53, 0
	v_mul_lo_u32 v51, v51, v139
	v_cvt_f32_i32_e32 v85, v51
	v_mul_lo_u32 v51, v71, v250
	v_cvt_f32_i32_e32 v192, v51
	v_mov_b32_e32 v51, 0
	v_dot4c_i32_i8_e32 v51, v124, v12
	v_dot4c_i32_i8_e32 v51, v125, v13
	;; [unrolled: 1-line block ×5, first 2 shown]
	v_mov_b32_e32 v8, 0
	v_dot4c_i32_i8_e32 v8, v122, v4
	v_dot4c_i32_i8_e32 v8, v123, v5
	v_dot4c_i32_i8_e32 v53, v134, v4
	v_dot4c_i32_i8_e32 v8, v116, v6
	v_dot4c_i32_i8_e32 v53, v135, v5
	v_dot4c_i32_i8_e32 v8, v117, v7
	v_dot4c_i32_i8_e32 v53, v164, v6
	v_dot4c_i32_i8_e32 v51, v145, v9
	v_dot4c_i32_i8_e32 v8, v118, v0
	v_dot4c_i32_i8_e32 v53, v165, v7
	v_dot4c_i32_i8_e32 v51, v150, v10
	v_dot4c_i32_i8_e32 v8, v119, v1
	v_dot4c_i32_i8_e32 v53, v168, v0
	v_dot4c_i32_i8_e32 v51, v151, v11
	v_dot4c_i32_i8_e32 v8, v120, v2
	v_dot4c_i32_i8_e32 v53, v169, v1
	v_dot4c_i32_i8_e32 v8, v121, v3
	v_mul_lo_u32 v0, v73, v133
	v_mul_lo_u32 v1, v51, v133
	v_cvt_f32_i32_e32 v1, v1
	v_cvt_f32_i32_e32 v0, v0
	v_mul_lo_u32 v4, v253, v131
	v_mul_lo_u32 v5, v8, v131
	v_cvt_f32_i32_e32 v5, v5
	v_cvt_f32_i32_e32 v4, v4
	v_dot4c_i32_i8_e32 v53, v172, v2
	v_dot4c_i32_i8_e32 v53, v173, v3
	v_mul_lo_u32 v65, v69, v139
	v_pk_fma_f32 v[2:3], v[114:115], v[200:201], 0 op_sel_hi:[0,1,0]
	v_cvt_f32_i32_e32 v84, v65
	v_mul_lo_u32 v53, v53, v250
	v_pk_fma_f32 v[0:1], v[0:1], v[198:199], 0 op_sel_hi:[1,1,0]
	v_pk_fma_f32 v[2:3], v[112:113], v[196:197], v[2:3] op_sel_hi:[0,1,1]
	v_cvt_f32_i32_e32 v193, v53
	v_pk_fma_f32 v[0:1], v[4:5], v[194:195], v[0:1]
	v_pk_mul_f32 v[2:3], v[2:3], v[110:111]
	v_pk_fma_f32 v[0:1], v[0:1], v[108:109], v[2:3] neg_lo:[0,0,1] neg_hi:[0,0,1]
	v_pk_add_f32 v[32:33], v[32:33], v[0:1]
	v_or_b32_e32 v0, s5, v217
	v_pk_fma_f32 v[84:85], v[84:85], v[198:199], 0 op_sel_hi:[1,1,0]
	v_lshlrev_b32_e32 v1, 2, v0
	v_pk_fma_f32 v[84:85], v[192:193], v[194:195], v[84:85]
	v_lshrrev_b32_e32 v51, 1, v0
	ds_read_b128 v[12:15], v1 offset:33280
	ds_read_b128 v[8:11], v1 offset:33296
	;; [unrolled: 1-line block ×4, first 2 shown]
	ds_read_b64 v[192:193], v51 offset:43584
	v_mov_b32_e32 v51, 0
	v_mov_b32_e32 v53, 0
	;; [unrolled: 1-line block ×8, first 2 shown]
	s_waitcnt lgkmcnt(4)
	v_dot4c_i32_i8_e32 v51, v176, v12
	s_waitcnt lgkmcnt(2)
	v_dot4c_i32_i8_e32 v53, v158, v4
	v_dot4c_i32_i8_e32 v65, v128, v12
	;; [unrolled: 1-line block ×15, first 2 shown]
	v_pk_fma_f32 v[86:87], v[130:131], v[200:201], 0 op_sel_hi:[0,1,0]
	v_dot4c_i32_i8_e32 v51, v178, v14
	v_dot4c_i32_i8_e32 v53, v186, v6
	;; [unrolled: 1-line block ×8, first 2 shown]
	v_pk_fma_f32 v[86:87], v[160:161], v[196:197], v[86:87] op_sel_hi:[0,1,1]
	v_dot4c_i32_i8_e32 v51, v179, v15
	v_dot4c_i32_i8_e32 v53, v187, v7
	;; [unrolled: 1-line block ×8, first 2 shown]
	v_pk_mul_f32 v[86:87], v[86:87], v[106:107]
	v_dot4c_i32_i8_e32 v51, v180, v8
	s_waitcnt lgkmcnt(1)
	v_dot4c_i32_i8_e32 v53, v188, v0
	v_dot4c_i32_i8_e32 v65, v152, v8
	;; [unrolled: 1-line block ×7, first 2 shown]
	v_pk_fma_f32 v[84:85], v[84:85], v[104:105], v[86:87] neg_lo:[0,0,1] neg_hi:[0,0,1]
	v_dot4c_i32_i8_e32 v51, v181, v9
	v_dot4c_i32_i8_e32 v53, v189, v1
	;; [unrolled: 1-line block ×8, first 2 shown]
	v_or_b32_e32 v0, s5, v220
	v_pk_add_f32 v[34:35], v[34:35], v[84:85]
	v_dot4c_i32_i8_e32 v51, v182, v10
	v_dot4c_i32_i8_e32 v53, v190, v2
	;; [unrolled: 1-line block ×8, first 2 shown]
	v_lshlrev_b32_e32 v1, 2, v0
	v_lshrrev_b32_e32 v84, 1, v0
	v_dot4c_i32_i8_e32 v51, v183, v11
	v_dot4c_i32_i8_e32 v53, v191, v3
	v_dot4c_i32_i8_e32 v65, v157, v11
	v_dot4c_i32_i8_e32 v67, v175, v3
	v_dot4c_i32_i8_e32 v69, v155, v11
	v_dot4c_i32_i8_e32 v71, v173, v3
	v_dot4c_i32_i8_e32 v73, v151, v11
	v_dot4c_i32_i8_e32 v253, v121, v3
	ds_read_b128 v[12:15], v1 offset:33280
	ds_read_b128 v[8:11], v1 offset:33296
	;; [unrolled: 1-line block ×4, first 2 shown]
	ds_read_b64 v[84:85], v84 offset:43584
	v_mov_b32_e32 v86, 0
	s_waitcnt lgkmcnt(4)
	v_dot4c_i32_i8_e32 v86, v176, v12
	v_dot4c_i32_i8_e32 v86, v177, v13
	;; [unrolled: 1-line block ×4, first 2 shown]
	s_waitcnt lgkmcnt(3)
	v_dot4c_i32_i8_e32 v86, v180, v8
	v_mov_b32_e32 v254, 0
	v_dot4c_i32_i8_e32 v86, v181, v9
	s_waitcnt lgkmcnt(2)
	v_dot4c_i32_i8_e32 v254, v158, v4
	v_dot4c_i32_i8_e32 v86, v182, v10
	;; [unrolled: 1-line block ×6, first 2 shown]
	s_waitcnt lgkmcnt(0)
	v_cvt_f32_f16_e32 v199, v84
	v_cvt_f32_f16_sdwa v201, v84 dst_sel:DWORD dst_unused:UNUSED_PAD src0_sel:WORD_1
	v_mul_lo_u32 v51, v51, v249
	v_mul_lo_u32 v84, v86, v249
	v_dot4c_i32_i8_e32 v254, v188, v0
	v_cvt_f32_f16_e32 v195, v85
	v_cvt_f32_f16_sdwa v197, v85 dst_sel:DWORD dst_unused:UNUSED_PAD src0_sel:WORD_1
	v_cvt_f32_i32_e32 v85, v84
	v_cvt_f32_i32_e32 v84, v51
	v_mul_lo_u32 v51, v53, v252
	v_dot4c_i32_i8_e32 v254, v189, v1
	v_cvt_f32_f16_e32 v198, v192
	v_cvt_f32_f16_sdwa v200, v192 dst_sel:DWORD dst_unused:UNUSED_PAD src0_sel:WORD_1
	v_cvt_f32_i32_e32 v192, v51
	v_mov_b32_e32 v51, 0
	v_dot4c_i32_i8_e32 v254, v190, v2
	v_dot4c_i32_i8_e32 v51, v128, v12
	v_dot4c_i32_i8_e32 v254, v191, v3
	v_dot4c_i32_i8_e32 v51, v129, v13
	v_cvt_f32_f16_sdwa v196, v193 dst_sel:DWORD dst_unused:UNUSED_PAD src0_sel:WORD_1
	v_dot4c_i32_i8_e32 v51, v146, v14
	v_mul_lo_u32 v53, v254, v252
	v_cvt_f32_f16_e32 v194, v193
	v_cvt_f32_i32_e32 v193, v53
	v_dot4c_i32_i8_e32 v51, v147, v15
	v_dot4c_i32_i8_e32 v51, v152, v8
	v_mov_b32_e32 v53, 0
	v_pk_fma_f32 v[86:87], v[138:139], v[200:201], 0 op_sel_hi:[0,1,0]
	v_dot4c_i32_i8_e32 v51, v153, v9
	v_dot4c_i32_i8_e32 v53, v136, v4
	v_pk_fma_f32 v[84:85], v[84:85], v[198:199], 0 op_sel_hi:[1,1,0]
	v_pk_fma_f32 v[86:87], v[184:185], v[196:197], v[86:87] op_sel_hi:[0,1,1]
	v_dot4c_i32_i8_e32 v51, v156, v10
	v_dot4c_i32_i8_e32 v53, v137, v5
	v_pk_fma_f32 v[84:85], v[192:193], v[194:195], v[84:85]
	v_pk_mul_f32 v[86:87], v[86:87], v[98:99]
	v_dot4c_i32_i8_e32 v51, v157, v11
	v_dot4c_i32_i8_e32 v53, v166, v6
	v_pk_fma_f32 v[84:85], v[84:85], v[96:97], v[86:87] neg_lo:[0,0,1] neg_hi:[0,0,1]
	v_dot4c_i32_i8_e32 v53, v167, v7
	v_mul_lo_u32 v51, v51, v163
	v_pk_add_f32 v[30:31], v[30:31], v[84:85]
	v_dot4c_i32_i8_e32 v53, v170, v0
	v_cvt_f32_i32_e32 v85, v51
	v_mul_lo_u32 v51, v67, v251
	v_dot4c_i32_i8_e32 v53, v171, v1
	v_cvt_f32_i32_e32 v192, v51
	v_mov_b32_e32 v51, 0
	v_dot4c_i32_i8_e32 v53, v174, v2
	v_dot4c_i32_i8_e32 v51, v126, v12
	;; [unrolled: 1-line block ×3, first 2 shown]
	v_mul_lo_u32 v65, v65, v163
	v_dot4c_i32_i8_e32 v51, v127, v13
	v_cvt_f32_i32_e32 v84, v65
	v_mul_lo_u32 v53, v53, v251
	v_dot4c_i32_i8_e32 v51, v142, v14
	v_cvt_f32_i32_e32 v193, v53
	v_dot4c_i32_i8_e32 v51, v143, v15
	v_dot4c_i32_i8_e32 v51, v148, v8
	v_pk_fma_f32 v[86:87], v[132:133], v[200:201], 0 op_sel_hi:[0,1,0]
	v_dot4c_i32_i8_e32 v51, v149, v9
	v_pk_fma_f32 v[84:85], v[84:85], v[198:199], 0 op_sel_hi:[1,1,0]
	v_pk_fma_f32 v[86:87], v[162:163], v[196:197], v[86:87] op_sel_hi:[0,1,1]
	v_dot4c_i32_i8_e32 v51, v154, v10
	v_pk_fma_f32 v[84:85], v[192:193], v[194:195], v[84:85]
	v_pk_mul_f32 v[86:87], v[86:87], v[102:103]
	v_dot4c_i32_i8_e32 v51, v155, v11
	v_pk_fma_f32 v[84:85], v[84:85], v[100:101], v[86:87] neg_lo:[0,0,1] neg_hi:[0,0,1]
	v_pk_add_f32 v[28:29], v[28:29], v[84:85]
	v_mov_b32_e32 v53, 0
	v_mul_lo_u32 v51, v51, v139
	v_cvt_f32_i32_e32 v85, v51
	v_mul_lo_u32 v51, v71, v250
	v_cvt_f32_i32_e32 v192, v51
	v_mov_b32_e32 v51, 0
	v_dot4c_i32_i8_e32 v51, v124, v12
	v_dot4c_i32_i8_e32 v51, v125, v13
	;; [unrolled: 1-line block ×5, first 2 shown]
	v_mov_b32_e32 v8, 0
	v_dot4c_i32_i8_e32 v8, v122, v4
	v_dot4c_i32_i8_e32 v8, v123, v5
	;; [unrolled: 1-line block ×17, first 2 shown]
	v_mul_lo_u32 v0, v73, v133
	v_mul_lo_u32 v1, v51, v133
	v_cvt_f32_i32_e32 v1, v1
	v_cvt_f32_i32_e32 v0, v0
	v_mul_lo_u32 v4, v253, v131
	v_mul_lo_u32 v5, v8, v131
	v_cvt_f32_i32_e32 v5, v5
	v_cvt_f32_i32_e32 v4, v4
	v_dot4c_i32_i8_e32 v53, v172, v2
	v_dot4c_i32_i8_e32 v53, v173, v3
	v_mul_lo_u32 v65, v69, v139
	v_pk_fma_f32 v[2:3], v[114:115], v[200:201], 0 op_sel_hi:[0,1,0]
	v_cvt_f32_i32_e32 v84, v65
	v_mul_lo_u32 v53, v53, v250
	v_pk_fma_f32 v[0:1], v[0:1], v[198:199], 0 op_sel_hi:[1,1,0]
	v_pk_fma_f32 v[2:3], v[112:113], v[196:197], v[2:3] op_sel_hi:[0,1,1]
	v_cvt_f32_i32_e32 v193, v53
	v_pk_fma_f32 v[0:1], v[4:5], v[194:195], v[0:1]
	v_pk_mul_f32 v[2:3], v[2:3], v[110:111]
	v_pk_fma_f32 v[0:1], v[0:1], v[108:109], v[2:3] neg_lo:[0,0,1] neg_hi:[0,0,1]
	v_pk_add_f32 v[24:25], v[24:25], v[0:1]
	v_or_b32_e32 v0, s5, v223
	v_pk_fma_f32 v[84:85], v[84:85], v[198:199], 0 op_sel_hi:[1,1,0]
	v_lshlrev_b32_e32 v1, 2, v0
	v_pk_fma_f32 v[84:85], v[192:193], v[194:195], v[84:85]
	v_lshrrev_b32_e32 v51, 1, v0
	ds_read_b128 v[12:15], v1 offset:33280
	ds_read_b128 v[8:11], v1 offset:33296
	ds_read_b128 v[4:7], v1 offset:33312
	ds_read_b128 v[0:3], v1 offset:33328
	ds_read_b64 v[192:193], v51 offset:43584
	v_mov_b32_e32 v51, 0
	v_mov_b32_e32 v53, 0
	;; [unrolled: 1-line block ×8, first 2 shown]
	s_waitcnt lgkmcnt(4)
	v_dot4c_i32_i8_e32 v51, v176, v12
	s_waitcnt lgkmcnt(2)
	v_dot4c_i32_i8_e32 v53, v158, v4
	v_dot4c_i32_i8_e32 v65, v128, v12
	;; [unrolled: 1-line block ×23, first 2 shown]
	v_pk_fma_f32 v[86:87], v[130:131], v[200:201], 0 op_sel_hi:[0,1,0]
	v_dot4c_i32_i8_e32 v51, v179, v15
	v_dot4c_i32_i8_e32 v53, v187, v7
	;; [unrolled: 1-line block ×8, first 2 shown]
	v_pk_fma_f32 v[86:87], v[160:161], v[196:197], v[86:87] op_sel_hi:[0,1,1]
	v_dot4c_i32_i8_e32 v51, v180, v8
	s_waitcnt lgkmcnt(1)
	v_dot4c_i32_i8_e32 v53, v188, v0
	v_dot4c_i32_i8_e32 v65, v152, v8
	;; [unrolled: 1-line block ×7, first 2 shown]
	v_pk_mul_f32 v[86:87], v[86:87], v[106:107]
	v_dot4c_i32_i8_e32 v51, v181, v9
	v_dot4c_i32_i8_e32 v53, v189, v1
	;; [unrolled: 1-line block ×8, first 2 shown]
	v_or_b32_e32 v0, s5, v226
	v_pk_fma_f32 v[84:85], v[84:85], v[104:105], v[86:87] neg_lo:[0,0,1] neg_hi:[0,0,1]
	v_dot4c_i32_i8_e32 v51, v182, v10
	v_dot4c_i32_i8_e32 v53, v190, v2
	;; [unrolled: 1-line block ×8, first 2 shown]
	v_lshlrev_b32_e32 v1, 2, v0
	v_lshrrev_b32_e32 v73, 1, v0
	v_pk_add_f32 v[26:27], v[26:27], v[84:85]
	v_dot4c_i32_i8_e32 v51, v183, v11
	v_dot4c_i32_i8_e32 v53, v191, v3
	;; [unrolled: 1-line block ×8, first 2 shown]
	ds_read_b128 v[12:15], v1 offset:33280
	ds_read_b128 v[8:11], v1 offset:33296
	;; [unrolled: 1-line block ×4, first 2 shown]
	ds_read_b64 v[84:85], v73 offset:43584
	v_mov_b32_e32 v73, 0
	s_waitcnt lgkmcnt(4)
	v_dot4c_i32_i8_e32 v73, v176, v12
	v_dot4c_i32_i8_e32 v73, v177, v13
	;; [unrolled: 1-line block ×4, first 2 shown]
	s_waitcnt lgkmcnt(3)
	v_dot4c_i32_i8_e32 v73, v180, v8
	v_dot4c_i32_i8_e32 v73, v181, v9
	;; [unrolled: 1-line block ×3, first 2 shown]
	v_mov_b32_e32 v182, 0
	s_waitcnt lgkmcnt(2)
	v_dot4c_i32_i8_e32 v182, v158, v4
	v_dot4c_i32_i8_e32 v182, v159, v5
	;; [unrolled: 1-line block ×4, first 2 shown]
	s_waitcnt lgkmcnt(1)
	v_dot4c_i32_i8_e32 v182, v188, v0
	v_dot4c_i32_i8_e32 v182, v189, v1
	;; [unrolled: 1-line block ×3, first 2 shown]
	v_mul_lo_u32 v51, v51, v249
	v_dot4c_i32_i8_e32 v182, v191, v3
	s_waitcnt lgkmcnt(0)
	v_cvt_f32_f16_e32 v181, v84
	v_cvt_f32_f16_sdwa v179, v84 dst_sel:DWORD dst_unused:UNUSED_PAD src0_sel:WORD_1
	v_cvt_f32_i32_e32 v84, v51
	v_mul_lo_u32 v51, v53, v252
	v_mul_lo_u32 v53, v182, v252
	v_cvt_f32_i32_e32 v182, v51
	v_mov_b32_e32 v51, 0
	v_dot4c_i32_i8_e32 v73, v183, v11
	v_dot4c_i32_i8_e32 v51, v128, v12
	v_cvt_f32_f16_sdwa v178, v192 dst_sel:DWORD dst_unused:UNUSED_PAD src0_sel:WORD_1
	v_cvt_f32_i32_e32 v183, v53
	v_mul_lo_u32 v73, v73, v249
	v_dot4c_i32_i8_e32 v51, v129, v13
	v_mov_b32_e32 v53, 0
	v_cvt_f32_f16_e32 v180, v192
	v_cvt_f32_f16_e32 v177, v85
	v_cvt_f32_f16_sdwa v159, v85 dst_sel:DWORD dst_unused:UNUSED_PAD src0_sel:WORD_1
	v_cvt_f32_f16_sdwa v158, v193 dst_sel:DWORD dst_unused:UNUSED_PAD src0_sel:WORD_1
	v_cvt_f32_i32_e32 v85, v73
	v_dot4c_i32_i8_e32 v51, v146, v14
	v_dot4c_i32_i8_e32 v53, v136, v4
	v_cvt_f32_f16_e32 v176, v193
	v_dot4c_i32_i8_e32 v51, v147, v15
	v_dot4c_i32_i8_e32 v53, v137, v5
	;; [unrolled: 1-line block ×4, first 2 shown]
	v_pk_fma_f32 v[86:87], v[138:139], v[178:179], 0 op_sel_hi:[0,1,0]
	v_dot4c_i32_i8_e32 v51, v153, v9
	v_dot4c_i32_i8_e32 v53, v167, v7
	v_pk_fma_f32 v[84:85], v[84:85], v[180:181], 0 op_sel_hi:[1,1,0]
	v_pk_fma_f32 v[86:87], v[184:185], v[158:159], v[86:87] op_sel_hi:[0,1,1]
	v_dot4c_i32_i8_e32 v51, v156, v10
	v_dot4c_i32_i8_e32 v53, v170, v0
	v_pk_fma_f32 v[84:85], v[182:183], v[176:177], v[84:85]
	v_pk_mul_f32 v[86:87], v[86:87], v[98:99]
	v_dot4c_i32_i8_e32 v51, v157, v11
	v_dot4c_i32_i8_e32 v53, v171, v1
	v_pk_fma_f32 v[84:85], v[84:85], v[96:97], v[86:87] neg_lo:[0,0,1] neg_hi:[0,0,1]
	v_dot4c_i32_i8_e32 v53, v174, v2
	v_mul_lo_u32 v51, v51, v163
	v_pk_add_f32 v[22:23], v[22:23], v[84:85]
	v_dot4c_i32_i8_e32 v53, v175, v3
	v_cvt_f32_i32_e32 v85, v51
	v_mul_lo_u32 v51, v67, v251
	v_cvt_f32_i32_e32 v128, v51
	v_mul_lo_u32 v53, v53, v251
	v_mov_b32_e32 v51, 0
	v_cvt_f32_i32_e32 v129, v53
	v_dot4c_i32_i8_e32 v51, v126, v12
	v_mov_b32_e32 v53, 0
	v_mul_lo_u32 v65, v65, v163
	v_dot4c_i32_i8_e32 v51, v127, v13
	v_dot4c_i32_i8_e32 v53, v134, v4
	v_cvt_f32_i32_e32 v84, v65
	v_dot4c_i32_i8_e32 v51, v142, v14
	v_dot4c_i32_i8_e32 v53, v135, v5
	;; [unrolled: 1-line block ×6, first 2 shown]
	v_pk_fma_f32 v[86:87], v[132:133], v[178:179], 0 op_sel_hi:[0,1,0]
	v_dot4c_i32_i8_e32 v51, v149, v9
	v_dot4c_i32_i8_e32 v53, v168, v0
	v_pk_fma_f32 v[84:85], v[84:85], v[180:181], 0 op_sel_hi:[1,1,0]
	v_pk_fma_f32 v[86:87], v[162:163], v[158:159], v[86:87] op_sel_hi:[0,1,1]
	v_dot4c_i32_i8_e32 v51, v154, v10
	v_dot4c_i32_i8_e32 v53, v169, v1
	v_pk_fma_f32 v[84:85], v[128:129], v[176:177], v[84:85]
	v_pk_mul_f32 v[86:87], v[86:87], v[102:103]
	v_dot4c_i32_i8_e32 v51, v155, v11
	v_dot4c_i32_i8_e32 v53, v172, v2
	v_pk_fma_f32 v[84:85], v[84:85], v[100:101], v[86:87] neg_lo:[0,0,1] neg_hi:[0,0,1]
	v_dot4c_i32_i8_e32 v53, v173, v3
	v_mul_lo_u32 v65, v69, v139
	v_mul_lo_u32 v51, v51, v139
	v_pk_add_f32 v[20:21], v[20:21], v[84:85]
	v_cvt_f32_i32_e32 v85, v51
	v_cvt_f32_i32_e32 v84, v65
	v_mul_lo_u32 v51, v71, v250
	v_mul_lo_u32 v53, v53, v250
	v_cvt_f32_i32_e32 v127, v53
	v_cvt_f32_i32_e32 v126, v51
	v_pk_fma_f32 v[84:85], v[84:85], v[180:181], 0 op_sel_hi:[1,1,0]
	v_pk_fma_f32 v[86:87], v[130:131], v[178:179], 0 op_sel_hi:[0,1,0]
	;; [unrolled: 1-line block ×3, first 2 shown]
	v_pk_fma_f32 v[84:85], v[126:127], v[176:177], v[84:85]
	v_mov_b32_e32 v126, 0
	v_dot4c_i32_i8_e32 v126, v124, v12
	v_dot4c_i32_i8_e32 v126, v125, v13
	;; [unrolled: 1-line block ×5, first 2 shown]
	v_mov_b32_e32 v8, 0
	v_dot4c_i32_i8_e32 v8, v122, v4
	v_dot4c_i32_i8_e32 v8, v123, v5
	;; [unrolled: 1-line block ×11, first 2 shown]
	v_mul_lo_u32 v0, v195, v133
	v_mul_lo_u32 v1, v126, v133
	v_cvt_f32_i32_e32 v1, v1
	v_cvt_f32_i32_e32 v0, v0
	v_mul_lo_u32 v4, v194, v131
	v_mul_lo_u32 v5, v8, v131
	v_cvt_f32_i32_e32 v5, v5
	v_cvt_f32_i32_e32 v4, v4
	v_pk_fma_f32 v[2:3], v[114:115], v[178:179], 0 op_sel_hi:[0,1,0]
	v_pk_fma_f32 v[0:1], v[0:1], v[180:181], 0 op_sel_hi:[1,1,0]
	;; [unrolled: 1-line block ×3, first 2 shown]
	v_pk_mul_f32 v[86:87], v[86:87], v[106:107]
	v_pk_fma_f32 v[0:1], v[4:5], v[176:177], v[0:1]
	v_pk_mul_f32 v[2:3], v[2:3], v[110:111]
	v_pk_fma_f32 v[84:85], v[84:85], v[104:105], v[86:87] neg_lo:[0,0,1] neg_hi:[0,0,1]
	v_pk_fma_f32 v[0:1], v[0:1], v[108:109], v[2:3] neg_lo:[0,0,1] neg_hi:[0,0,1]
	s_add_i32 s5, s4, 8
	v_pk_add_f32 v[18:19], v[18:19], v[84:85]
	v_pk_add_f32 v[16:17], v[16:17], v[0:1]
	s_cmp_lt_u32 s4, 24
	s_mov_b32 s4, s5
	s_cbranch_scc1 .LBB153_8
; %bb.9:                                ;   in Loop: Header=BB153_5 Depth=1
	s_add_i32 s0, s0, 1
	s_cmp_eq_u32 s0, s7
	s_barrier
	s_cbranch_scc0 .LBB153_5
; %bb.10:
	buffer_load_dword v1, off, s[24:27], 0 offset:24 ; 4-byte Folded Reload
	buffer_load_dword v2, off, s[24:27], 0 offset:28 ; 4-byte Folded Reload
.LBB153_11:
	s_waitcnt vmcnt(0)
	v_cmp_gt_u32_e32 vcc, s8, v2
	s_and_saveexec_b64 s[0:1], vcc
	s_cbranch_execz .LBB153_62
; %bb.12:
	v_add_u32_e32 v0, s6, v49
	v_mul_lo_u32 v5, v2, s10
	v_cmp_gt_u32_e32 vcc, s10, v0
	s_and_saveexec_b64 s[2:3], vcc
	s_cbranch_execz .LBB153_14
; %bb.13:
	v_add_u32_e32 v2, v0, v5
	v_mov_b32_e32 v3, 0
	v_cvt_f16_f32_e32 v6, v46
	v_lshlrev_b64 v[2:3], 1, v[2:3]
	s_waitcnt lgkmcnt(0)
	v_mov_b32_e32 v4, s13
	v_add_co_u32_e64 v2, s[0:1], s12, v2
	v_addc_co_u32_e64 v3, s[0:1], v4, v3, s[0:1]
	global_store_short v[2:3], v6, off
.LBB153_14:
	s_or_b64 exec, exec, s[2:3]
	v_add_u32_e32 v2, 32, v0
	v_cmp_gt_u32_e64 s[0:1], s10, v2
	s_and_saveexec_b64 s[4:5], s[0:1]
	s_cbranch_execz .LBB153_16
; %bb.15:
	v_add_u32_e32 v6, v2, v5
	v_mov_b32_e32 v7, 0
	v_cvt_f16_f32_e32 v4, v44
	v_lshlrev_b64 v[6:7], 1, v[6:7]
	s_waitcnt lgkmcnt(0)
	v_mov_b32_e32 v3, s13
	v_add_co_u32_e64 v6, s[2:3], s12, v6
	v_addc_co_u32_e64 v7, s[2:3], v3, v7, s[2:3]
	global_store_short v[6:7], v4, off
.LBB153_16:
	s_or_b64 exec, exec, s[4:5]
	v_add_u32_e32 v3, 64, v0
	v_cmp_gt_u32_e64 s[2:3], s10, v3
	s_and_saveexec_b64 s[6:7], s[2:3]
	;; [unrolled: 16-line block ×3, first 2 shown]
	s_cbranch_execz .LBB153_20
; %bb.19:
	v_add_u32_e32 v6, v4, v5
	v_mov_b32_e32 v7, 0
	v_cvt_f16_f32_e32 v8, v40
	v_lshlrev_b64 v[6:7], 1, v[6:7]
	s_waitcnt lgkmcnt(0)
	v_mov_b32_e32 v5, s13
	v_add_co_u32_e64 v6, s[6:7], s12, v6
	v_addc_co_u32_e64 v7, s[6:7], v5, v7, s[6:7]
	global_store_short v[6:7], v8, off
.LBB153_20:
	s_or_b64 exec, exec, s[14:15]
	v_add3_u32 v5, v1, s11, 8
	v_cmp_gt_u32_e64 s[6:7], s8, v5
	s_and_b64 exec, exec, s[6:7]
	s_cbranch_execz .LBB153_62
; %bb.21:
	v_mul_lo_u32 v5, v5, s10
	s_and_saveexec_b64 s[14:15], vcc
	s_cbranch_execnz .LBB153_63
; %bb.22:
	s_or_b64 exec, exec, s[14:15]
	s_and_saveexec_b64 s[14:15], s[0:1]
	s_cbranch_execnz .LBB153_64
.LBB153_23:
	s_or_b64 exec, exec, s[14:15]
	s_and_saveexec_b64 s[14:15], s[2:3]
	s_cbranch_execnz .LBB153_65
.LBB153_24:
	s_or_b64 exec, exec, s[14:15]
	s_and_saveexec_b64 s[14:15], s[4:5]
	s_cbranch_execz .LBB153_26
.LBB153_25:
	v_add_u32_e32 v6, v5, v4
	v_mov_b32_e32 v7, 0
	v_cvt_f16_f32_e32 v8, v41
	v_lshlrev_b64 v[6:7], 1, v[6:7]
	s_waitcnt lgkmcnt(0)
	v_mov_b32_e32 v5, s13
	v_add_co_u32_e64 v6, s[6:7], s12, v6
	v_addc_co_u32_e64 v7, s[6:7], v5, v7, s[6:7]
	global_store_short v[6:7], v8, off
.LBB153_26:
	s_or_b64 exec, exec, s[14:15]
	v_add3_u32 v5, v1, s11, 16
	v_cmp_gt_u32_e64 s[6:7], s8, v5
	s_and_b64 exec, exec, s[6:7]
	s_cbranch_execz .LBB153_62
; %bb.27:
	v_mul_lo_u32 v5, v5, s10
	s_and_saveexec_b64 s[14:15], vcc
	s_cbranch_execnz .LBB153_66
; %bb.28:
	s_or_b64 exec, exec, s[14:15]
	s_and_saveexec_b64 s[14:15], s[0:1]
	s_cbranch_execnz .LBB153_67
.LBB153_29:
	s_or_b64 exec, exec, s[14:15]
	s_and_saveexec_b64 s[14:15], s[2:3]
	s_cbranch_execnz .LBB153_68
.LBB153_30:
	s_or_b64 exec, exec, s[14:15]
	s_and_saveexec_b64 s[14:15], s[4:5]
	s_cbranch_execz .LBB153_32
.LBB153_31:
	v_add_u32_e32 v6, v5, v4
	v_mov_b32_e32 v7, 0
	v_cvt_f16_f32_e32 v8, v32
	v_lshlrev_b64 v[6:7], 1, v[6:7]
	s_waitcnt lgkmcnt(0)
	v_mov_b32_e32 v5, s13
	v_add_co_u32_e64 v6, s[6:7], s12, v6
	v_addc_co_u32_e64 v7, s[6:7], v5, v7, s[6:7]
	global_store_short v[6:7], v8, off
.LBB153_32:
	s_or_b64 exec, exec, s[14:15]
	v_add3_u32 v5, v1, s11, 24
	v_cmp_gt_u32_e64 s[6:7], s8, v5
	s_and_b64 exec, exec, s[6:7]
	s_cbranch_execz .LBB153_62
; %bb.33:
	v_mul_lo_u32 v5, v5, s10
	s_and_saveexec_b64 s[14:15], vcc
	s_cbranch_execnz .LBB153_69
; %bb.34:
	s_or_b64 exec, exec, s[14:15]
	s_and_saveexec_b64 s[14:15], s[0:1]
	s_cbranch_execnz .LBB153_70
.LBB153_35:
	s_or_b64 exec, exec, s[14:15]
	s_and_saveexec_b64 s[14:15], s[2:3]
	s_cbranch_execnz .LBB153_71
.LBB153_36:
	s_or_b64 exec, exec, s[14:15]
	s_and_saveexec_b64 s[14:15], s[4:5]
	s_cbranch_execz .LBB153_38
.LBB153_37:
	v_add_u32_e32 v6, v5, v4
	v_mov_b32_e32 v7, 0
	v_cvt_f16_f32_e32 v8, v33
	v_lshlrev_b64 v[6:7], 1, v[6:7]
	s_waitcnt lgkmcnt(0)
	v_mov_b32_e32 v5, s13
	v_add_co_u32_e64 v6, s[6:7], s12, v6
	v_addc_co_u32_e64 v7, s[6:7], v5, v7, s[6:7]
	global_store_short v[6:7], v8, off
.LBB153_38:
	s_or_b64 exec, exec, s[14:15]
	v_add3_u32 v5, v1, s11, 32
	v_cmp_gt_u32_e64 s[6:7], s8, v5
	s_and_b64 exec, exec, s[6:7]
	s_cbranch_execz .LBB153_62
; %bb.39:
	v_mul_lo_u32 v5, v5, s10
	s_and_saveexec_b64 s[14:15], vcc
	s_cbranch_execnz .LBB153_72
; %bb.40:
	s_or_b64 exec, exec, s[14:15]
	s_and_saveexec_b64 s[14:15], s[0:1]
	s_cbranch_execnz .LBB153_73
.LBB153_41:
	s_or_b64 exec, exec, s[14:15]
	s_and_saveexec_b64 s[14:15], s[2:3]
	s_cbranch_execnz .LBB153_74
.LBB153_42:
	s_or_b64 exec, exec, s[14:15]
	s_and_saveexec_b64 s[14:15], s[4:5]
	s_cbranch_execz .LBB153_44
.LBB153_43:
	v_add_u32_e32 v6, v5, v4
	v_mov_b32_e32 v7, 0
	v_cvt_f16_f32_e32 v8, v24
	v_lshlrev_b64 v[6:7], 1, v[6:7]
	s_waitcnt lgkmcnt(0)
	v_mov_b32_e32 v5, s13
	v_add_co_u32_e64 v6, s[6:7], s12, v6
	v_addc_co_u32_e64 v7, s[6:7], v5, v7, s[6:7]
	global_store_short v[6:7], v8, off
.LBB153_44:
	s_or_b64 exec, exec, s[14:15]
	v_add3_u32 v5, v1, s11, 40
	v_cmp_gt_u32_e64 s[6:7], s8, v5
	s_and_b64 exec, exec, s[6:7]
	s_cbranch_execz .LBB153_62
; %bb.45:
	v_mul_lo_u32 v5, v5, s10
	s_and_saveexec_b64 s[14:15], vcc
	s_cbranch_execnz .LBB153_75
; %bb.46:
	s_or_b64 exec, exec, s[14:15]
	s_and_saveexec_b64 s[14:15], s[0:1]
	s_cbranch_execnz .LBB153_76
.LBB153_47:
	s_or_b64 exec, exec, s[14:15]
	s_and_saveexec_b64 s[14:15], s[2:3]
	s_cbranch_execnz .LBB153_77
.LBB153_48:
	s_or_b64 exec, exec, s[14:15]
	s_and_saveexec_b64 s[14:15], s[4:5]
	s_cbranch_execz .LBB153_50
.LBB153_49:
	v_add_u32_e32 v6, v5, v4
	v_mov_b32_e32 v7, 0
	v_cvt_f16_f32_e32 v8, v25
	v_lshlrev_b64 v[6:7], 1, v[6:7]
	s_waitcnt lgkmcnt(0)
	v_mov_b32_e32 v5, s13
	v_add_co_u32_e64 v6, s[6:7], s12, v6
	v_addc_co_u32_e64 v7, s[6:7], v5, v7, s[6:7]
	global_store_short v[6:7], v8, off
.LBB153_50:
	s_or_b64 exec, exec, s[14:15]
	v_add3_u32 v5, v1, s11, 48
	v_cmp_gt_u32_e64 s[6:7], s8, v5
	s_and_b64 exec, exec, s[6:7]
	s_cbranch_execz .LBB153_62
; %bb.51:
	v_mul_lo_u32 v5, v5, s10
	s_and_saveexec_b64 s[14:15], vcc
	s_cbranch_execnz .LBB153_78
; %bb.52:
	s_or_b64 exec, exec, s[14:15]
	s_and_saveexec_b64 s[14:15], s[0:1]
	s_cbranch_execnz .LBB153_79
.LBB153_53:
	s_or_b64 exec, exec, s[14:15]
	s_and_saveexec_b64 s[14:15], s[2:3]
	s_cbranch_execnz .LBB153_80
.LBB153_54:
	s_or_b64 exec, exec, s[14:15]
	s_and_saveexec_b64 s[14:15], s[4:5]
	s_cbranch_execz .LBB153_56
.LBB153_55:
	v_add_u32_e32 v6, v5, v4
	v_mov_b32_e32 v7, 0
	v_cvt_f16_f32_e32 v8, v16
	v_lshlrev_b64 v[6:7], 1, v[6:7]
	s_waitcnt lgkmcnt(0)
	v_mov_b32_e32 v5, s13
	v_add_co_u32_e64 v6, s[6:7], s12, v6
	v_addc_co_u32_e64 v7, s[6:7], v5, v7, s[6:7]
	global_store_short v[6:7], v8, off
.LBB153_56:
	s_or_b64 exec, exec, s[14:15]
	v_add3_u32 v1, v1, s11, 56
	v_cmp_gt_u32_e64 s[6:7], s8, v1
	s_and_b64 exec, exec, s[6:7]
	s_cbranch_execz .LBB153_62
; %bb.57:
	v_mul_lo_u32 v1, v1, s10
	s_and_saveexec_b64 s[6:7], vcc
	s_cbranch_execnz .LBB153_81
; %bb.58:
	s_or_b64 exec, exec, s[6:7]
	s_and_saveexec_b64 s[6:7], s[0:1]
	s_cbranch_execnz .LBB153_82
.LBB153_59:
	s_or_b64 exec, exec, s[6:7]
	s_and_saveexec_b64 s[0:1], s[2:3]
	s_cbranch_execnz .LBB153_83
.LBB153_60:
	s_or_b64 exec, exec, s[0:1]
	s_and_b64 exec, exec, s[4:5]
	s_cbranch_execz .LBB153_62
.LBB153_61:
	v_add_u32_e32 v0, v1, v4
	v_mov_b32_e32 v1, 0
	v_cvt_f16_f32_e32 v3, v17
	v_lshlrev_b64 v[0:1], 1, v[0:1]
	s_waitcnt lgkmcnt(0)
	v_mov_b32_e32 v2, s13
	v_add_co_u32_e32 v0, vcc, s12, v0
	v_addc_co_u32_e32 v1, vcc, v2, v1, vcc
	global_store_short v[0:1], v3, off
.LBB153_62:
	s_endpgm
.LBB153_63:
	v_add_u32_e32 v6, v5, v0
	v_mov_b32_e32 v7, 0
	v_cvt_f16_f32_e32 v9, v47
	v_lshlrev_b64 v[6:7], 1, v[6:7]
	s_waitcnt lgkmcnt(0)
	v_mov_b32_e32 v8, s13
	v_add_co_u32_e64 v6, s[6:7], s12, v6
	v_addc_co_u32_e64 v7, s[6:7], v8, v7, s[6:7]
	global_store_short v[6:7], v9, off
	s_or_b64 exec, exec, s[14:15]
	s_and_saveexec_b64 s[14:15], s[0:1]
	s_cbranch_execz .LBB153_23
.LBB153_64:
	v_add_u32_e32 v6, v5, v2
	v_mov_b32_e32 v7, 0
	v_cvt_f16_f32_e32 v9, v45
	v_lshlrev_b64 v[6:7], 1, v[6:7]
	s_waitcnt lgkmcnt(0)
	v_mov_b32_e32 v8, s13
	v_add_co_u32_e64 v6, s[6:7], s12, v6
	v_addc_co_u32_e64 v7, s[6:7], v8, v7, s[6:7]
	global_store_short v[6:7], v9, off
	s_or_b64 exec, exec, s[14:15]
	s_and_saveexec_b64 s[14:15], s[2:3]
	s_cbranch_execz .LBB153_24
.LBB153_65:
	v_add_u32_e32 v6, v5, v3
	v_mov_b32_e32 v7, 0
	v_cvt_f16_f32_e32 v9, v43
	v_lshlrev_b64 v[6:7], 1, v[6:7]
	s_waitcnt lgkmcnt(0)
	v_mov_b32_e32 v8, s13
	v_add_co_u32_e64 v6, s[6:7], s12, v6
	v_addc_co_u32_e64 v7, s[6:7], v8, v7, s[6:7]
	global_store_short v[6:7], v9, off
	s_or_b64 exec, exec, s[14:15]
	s_and_saveexec_b64 s[14:15], s[4:5]
	s_cbranch_execnz .LBB153_25
	s_branch .LBB153_26
.LBB153_66:
	v_add_u32_e32 v6, v5, v0
	v_mov_b32_e32 v7, 0
	v_cvt_f16_f32_e32 v9, v38
	v_lshlrev_b64 v[6:7], 1, v[6:7]
	s_waitcnt lgkmcnt(0)
	v_mov_b32_e32 v8, s13
	v_add_co_u32_e64 v6, s[6:7], s12, v6
	v_addc_co_u32_e64 v7, s[6:7], v8, v7, s[6:7]
	global_store_short v[6:7], v9, off
	s_or_b64 exec, exec, s[14:15]
	s_and_saveexec_b64 s[14:15], s[0:1]
	s_cbranch_execz .LBB153_29
.LBB153_67:
	v_add_u32_e32 v6, v5, v2
	v_mov_b32_e32 v7, 0
	v_cvt_f16_f32_e32 v9, v36
	v_lshlrev_b64 v[6:7], 1, v[6:7]
	s_waitcnt lgkmcnt(0)
	v_mov_b32_e32 v8, s13
	v_add_co_u32_e64 v6, s[6:7], s12, v6
	v_addc_co_u32_e64 v7, s[6:7], v8, v7, s[6:7]
	global_store_short v[6:7], v9, off
	s_or_b64 exec, exec, s[14:15]
	s_and_saveexec_b64 s[14:15], s[2:3]
	s_cbranch_execz .LBB153_30
.LBB153_68:
	v_add_u32_e32 v6, v5, v3
	v_mov_b32_e32 v7, 0
	v_cvt_f16_f32_e32 v9, v34
	v_lshlrev_b64 v[6:7], 1, v[6:7]
	s_waitcnt lgkmcnt(0)
	v_mov_b32_e32 v8, s13
	v_add_co_u32_e64 v6, s[6:7], s12, v6
	v_addc_co_u32_e64 v7, s[6:7], v8, v7, s[6:7]
	global_store_short v[6:7], v9, off
	s_or_b64 exec, exec, s[14:15]
	s_and_saveexec_b64 s[14:15], s[4:5]
	s_cbranch_execnz .LBB153_31
	s_branch .LBB153_32
.LBB153_69:
	v_add_u32_e32 v6, v5, v0
	v_mov_b32_e32 v7, 0
	v_cvt_f16_f32_e32 v9, v39
	v_lshlrev_b64 v[6:7], 1, v[6:7]
	s_waitcnt lgkmcnt(0)
	v_mov_b32_e32 v8, s13
	v_add_co_u32_e64 v6, s[6:7], s12, v6
	v_addc_co_u32_e64 v7, s[6:7], v8, v7, s[6:7]
	global_store_short v[6:7], v9, off
	s_or_b64 exec, exec, s[14:15]
	s_and_saveexec_b64 s[14:15], s[0:1]
	s_cbranch_execz .LBB153_35
.LBB153_70:
	v_add_u32_e32 v6, v5, v2
	v_mov_b32_e32 v7, 0
	v_cvt_f16_f32_e32 v9, v37
	v_lshlrev_b64 v[6:7], 1, v[6:7]
	s_waitcnt lgkmcnt(0)
	v_mov_b32_e32 v8, s13
	v_add_co_u32_e64 v6, s[6:7], s12, v6
	v_addc_co_u32_e64 v7, s[6:7], v8, v7, s[6:7]
	global_store_short v[6:7], v9, off
	s_or_b64 exec, exec, s[14:15]
	s_and_saveexec_b64 s[14:15], s[2:3]
	s_cbranch_execz .LBB153_36
.LBB153_71:
	v_add_u32_e32 v6, v5, v3
	v_mov_b32_e32 v7, 0
	v_cvt_f16_f32_e32 v9, v35
	v_lshlrev_b64 v[6:7], 1, v[6:7]
	s_waitcnt lgkmcnt(0)
	v_mov_b32_e32 v8, s13
	v_add_co_u32_e64 v6, s[6:7], s12, v6
	v_addc_co_u32_e64 v7, s[6:7], v8, v7, s[6:7]
	global_store_short v[6:7], v9, off
	s_or_b64 exec, exec, s[14:15]
	s_and_saveexec_b64 s[14:15], s[4:5]
	s_cbranch_execnz .LBB153_37
	s_branch .LBB153_38
.LBB153_72:
	v_add_u32_e32 v6, v5, v0
	v_mov_b32_e32 v7, 0
	v_cvt_f16_f32_e32 v9, v30
	v_lshlrev_b64 v[6:7], 1, v[6:7]
	s_waitcnt lgkmcnt(0)
	v_mov_b32_e32 v8, s13
	v_add_co_u32_e64 v6, s[6:7], s12, v6
	v_addc_co_u32_e64 v7, s[6:7], v8, v7, s[6:7]
	global_store_short v[6:7], v9, off
	s_or_b64 exec, exec, s[14:15]
	s_and_saveexec_b64 s[14:15], s[0:1]
	s_cbranch_execz .LBB153_41
.LBB153_73:
	v_add_u32_e32 v6, v5, v2
	v_mov_b32_e32 v7, 0
	v_cvt_f16_f32_e32 v9, v28
	v_lshlrev_b64 v[6:7], 1, v[6:7]
	s_waitcnt lgkmcnt(0)
	v_mov_b32_e32 v8, s13
	v_add_co_u32_e64 v6, s[6:7], s12, v6
	v_addc_co_u32_e64 v7, s[6:7], v8, v7, s[6:7]
	global_store_short v[6:7], v9, off
	s_or_b64 exec, exec, s[14:15]
	s_and_saveexec_b64 s[14:15], s[2:3]
	s_cbranch_execz .LBB153_42
.LBB153_74:
	v_add_u32_e32 v6, v5, v3
	v_mov_b32_e32 v7, 0
	v_cvt_f16_f32_e32 v9, v26
	v_lshlrev_b64 v[6:7], 1, v[6:7]
	s_waitcnt lgkmcnt(0)
	v_mov_b32_e32 v8, s13
	v_add_co_u32_e64 v6, s[6:7], s12, v6
	v_addc_co_u32_e64 v7, s[6:7], v8, v7, s[6:7]
	global_store_short v[6:7], v9, off
	s_or_b64 exec, exec, s[14:15]
	s_and_saveexec_b64 s[14:15], s[4:5]
	s_cbranch_execnz .LBB153_43
	s_branch .LBB153_44
.LBB153_75:
	v_add_u32_e32 v6, v5, v0
	v_mov_b32_e32 v7, 0
	v_cvt_f16_f32_e32 v9, v31
	v_lshlrev_b64 v[6:7], 1, v[6:7]
	s_waitcnt lgkmcnt(0)
	v_mov_b32_e32 v8, s13
	v_add_co_u32_e64 v6, s[6:7], s12, v6
	v_addc_co_u32_e64 v7, s[6:7], v8, v7, s[6:7]
	global_store_short v[6:7], v9, off
	s_or_b64 exec, exec, s[14:15]
	s_and_saveexec_b64 s[14:15], s[0:1]
	s_cbranch_execz .LBB153_47
.LBB153_76:
	v_add_u32_e32 v6, v5, v2
	v_mov_b32_e32 v7, 0
	v_cvt_f16_f32_e32 v9, v29
	v_lshlrev_b64 v[6:7], 1, v[6:7]
	s_waitcnt lgkmcnt(0)
	v_mov_b32_e32 v8, s13
	v_add_co_u32_e64 v6, s[6:7], s12, v6
	v_addc_co_u32_e64 v7, s[6:7], v8, v7, s[6:7]
	global_store_short v[6:7], v9, off
	s_or_b64 exec, exec, s[14:15]
	s_and_saveexec_b64 s[14:15], s[2:3]
	s_cbranch_execz .LBB153_48
.LBB153_77:
	v_add_u32_e32 v6, v5, v3
	v_mov_b32_e32 v7, 0
	v_cvt_f16_f32_e32 v9, v27
	v_lshlrev_b64 v[6:7], 1, v[6:7]
	s_waitcnt lgkmcnt(0)
	v_mov_b32_e32 v8, s13
	v_add_co_u32_e64 v6, s[6:7], s12, v6
	v_addc_co_u32_e64 v7, s[6:7], v8, v7, s[6:7]
	global_store_short v[6:7], v9, off
	s_or_b64 exec, exec, s[14:15]
	s_and_saveexec_b64 s[14:15], s[4:5]
	s_cbranch_execnz .LBB153_49
	s_branch .LBB153_50
.LBB153_78:
	v_add_u32_e32 v6, v5, v0
	v_mov_b32_e32 v7, 0
	v_cvt_f16_f32_e32 v9, v22
	v_lshlrev_b64 v[6:7], 1, v[6:7]
	s_waitcnt lgkmcnt(0)
	v_mov_b32_e32 v8, s13
	v_add_co_u32_e64 v6, s[6:7], s12, v6
	v_addc_co_u32_e64 v7, s[6:7], v8, v7, s[6:7]
	global_store_short v[6:7], v9, off
	s_or_b64 exec, exec, s[14:15]
	s_and_saveexec_b64 s[14:15], s[0:1]
	s_cbranch_execz .LBB153_53
.LBB153_79:
	v_add_u32_e32 v6, v5, v2
	v_mov_b32_e32 v7, 0
	v_cvt_f16_f32_e32 v9, v20
	v_lshlrev_b64 v[6:7], 1, v[6:7]
	s_waitcnt lgkmcnt(0)
	v_mov_b32_e32 v8, s13
	v_add_co_u32_e64 v6, s[6:7], s12, v6
	v_addc_co_u32_e64 v7, s[6:7], v8, v7, s[6:7]
	global_store_short v[6:7], v9, off
	s_or_b64 exec, exec, s[14:15]
	s_and_saveexec_b64 s[14:15], s[2:3]
	s_cbranch_execz .LBB153_54
.LBB153_80:
	v_add_u32_e32 v6, v5, v3
	v_mov_b32_e32 v7, 0
	v_cvt_f16_f32_e32 v9, v18
	v_lshlrev_b64 v[6:7], 1, v[6:7]
	s_waitcnt lgkmcnt(0)
	v_mov_b32_e32 v8, s13
	v_add_co_u32_e64 v6, s[6:7], s12, v6
	v_addc_co_u32_e64 v7, s[6:7], v8, v7, s[6:7]
	global_store_short v[6:7], v9, off
	s_or_b64 exec, exec, s[14:15]
	s_and_saveexec_b64 s[14:15], s[4:5]
	s_cbranch_execnz .LBB153_55
	s_branch .LBB153_56
.LBB153_81:
	v_add_u32_e32 v6, v1, v0
	v_mov_b32_e32 v7, 0
	v_cvt_f16_f32_e32 v5, v23
	v_lshlrev_b64 v[6:7], 1, v[6:7]
	s_waitcnt lgkmcnt(0)
	v_mov_b32_e32 v0, s13
	v_add_co_u32_e32 v6, vcc, s12, v6
	v_addc_co_u32_e32 v7, vcc, v0, v7, vcc
	global_store_short v[6:7], v5, off
	s_or_b64 exec, exec, s[6:7]
	s_and_saveexec_b64 s[6:7], s[0:1]
	s_cbranch_execz .LBB153_59
.LBB153_82:
	v_add_u32_e32 v6, v1, v2
	v_mov_b32_e32 v7, 0
	v_cvt_f16_f32_e32 v2, v21
	v_lshlrev_b64 v[6:7], 1, v[6:7]
	s_waitcnt lgkmcnt(0)
	v_mov_b32_e32 v0, s13
	v_add_co_u32_e32 v6, vcc, s12, v6
	v_addc_co_u32_e32 v7, vcc, v0, v7, vcc
	global_store_short v[6:7], v2, off
	s_or_b64 exec, exec, s[6:7]
	s_and_saveexec_b64 s[0:1], s[2:3]
	s_cbranch_execz .LBB153_60
.LBB153_83:
	v_add_u32_e32 v2, v1, v3
	v_mov_b32_e32 v3, 0
	v_cvt_f16_f32_e32 v5, v19
	v_lshlrev_b64 v[2:3], 1, v[2:3]
	s_waitcnt lgkmcnt(0)
	v_mov_b32_e32 v0, s13
	v_add_co_u32_e32 v2, vcc, s12, v2
	v_addc_co_u32_e32 v3, vcc, v0, v3, vcc
	global_store_short v[2:3], v5, off
	s_or_b64 exec, exec, s[0:1]
	s_and_b64 exec, exec, s[4:5]
	s_cbranch_execnz .LBB153_61
	s_branch .LBB153_62
	.section	.rodata,"a",@progbits
	.p2align	6, 0x0
	.amdhsa_kernel _ZL12mul_mat_q5_KIN3c104HalfELb0EEvPKvS3_PT_iiiii
		.amdhsa_group_segment_fixed_size 45136
		.amdhsa_private_segment_fixed_size 36
		.amdhsa_kernarg_size 44
		.amdhsa_user_sgpr_count 6
		.amdhsa_user_sgpr_private_segment_buffer 1
		.amdhsa_user_sgpr_dispatch_ptr 0
		.amdhsa_user_sgpr_queue_ptr 0
		.amdhsa_user_sgpr_kernarg_segment_ptr 1
		.amdhsa_user_sgpr_dispatch_id 0
		.amdhsa_user_sgpr_flat_scratch_init 0
		.amdhsa_user_sgpr_kernarg_preload_length 0
		.amdhsa_user_sgpr_kernarg_preload_offset 0
		.amdhsa_user_sgpr_private_segment_size 0
		.amdhsa_uses_dynamic_stack 0
		.amdhsa_system_sgpr_private_segment_wavefront_offset 1
		.amdhsa_system_sgpr_workgroup_id_x 1
		.amdhsa_system_sgpr_workgroup_id_y 1
		.amdhsa_system_sgpr_workgroup_id_z 0
		.amdhsa_system_sgpr_workgroup_info 0
		.amdhsa_system_vgpr_workitem_id 1
		.amdhsa_next_free_vgpr 256
		.amdhsa_next_free_sgpr 28
		.amdhsa_accum_offset 256
		.amdhsa_reserve_vcc 1
		.amdhsa_reserve_flat_scratch 0
		.amdhsa_float_round_mode_32 0
		.amdhsa_float_round_mode_16_64 0
		.amdhsa_float_denorm_mode_32 3
		.amdhsa_float_denorm_mode_16_64 3
		.amdhsa_dx10_clamp 1
		.amdhsa_ieee_mode 1
		.amdhsa_fp16_overflow 0
		.amdhsa_tg_split 0
		.amdhsa_exception_fp_ieee_invalid_op 0
		.amdhsa_exception_fp_denorm_src 0
		.amdhsa_exception_fp_ieee_div_zero 0
		.amdhsa_exception_fp_ieee_overflow 0
		.amdhsa_exception_fp_ieee_underflow 0
		.amdhsa_exception_fp_ieee_inexact 0
		.amdhsa_exception_int_div_zero 0
	.end_amdhsa_kernel
	.section	.text._ZL12mul_mat_q5_KIN3c104HalfELb0EEvPKvS3_PT_iiiii,"axG",@progbits,_ZL12mul_mat_q5_KIN3c104HalfELb0EEvPKvS3_PT_iiiii,comdat
.Lfunc_end153:
	.size	_ZL12mul_mat_q5_KIN3c104HalfELb0EEvPKvS3_PT_iiiii, .Lfunc_end153-_ZL12mul_mat_q5_KIN3c104HalfELb0EEvPKvS3_PT_iiiii
                                        ; -- End function
	.section	.AMDGPU.csdata,"",@progbits
; Kernel info:
; codeLenInByte = 17644
; NumSgprs: 32
; NumVgprs: 256
; NumAgprs: 0
; TotalNumVgprs: 256
; ScratchSize: 36
; MemoryBound: 0
; FloatMode: 240
; IeeeMode: 1
; LDSByteSize: 45136 bytes/workgroup (compile time only)
; SGPRBlocks: 3
; VGPRBlocks: 31
; NumSGPRsForWavesPerEU: 32
; NumVGPRsForWavesPerEU: 256
; AccumOffset: 256
; Occupancy: 1
; WaveLimiterHint : 0
; COMPUTE_PGM_RSRC2:SCRATCH_EN: 1
; COMPUTE_PGM_RSRC2:USER_SGPR: 6
; COMPUTE_PGM_RSRC2:TRAP_HANDLER: 0
; COMPUTE_PGM_RSRC2:TGID_X_EN: 1
; COMPUTE_PGM_RSRC2:TGID_Y_EN: 1
; COMPUTE_PGM_RSRC2:TGID_Z_EN: 0
; COMPUTE_PGM_RSRC2:TIDIG_COMP_CNT: 1
; COMPUTE_PGM_RSRC3_GFX90A:ACCUM_OFFSET: 63
; COMPUTE_PGM_RSRC3_GFX90A:TG_SPLIT: 0
	.section	.text._ZL12mul_mat_q5_KIN3c104HalfELb1EEvPKvS3_PT_iiiii,"axG",@progbits,_ZL12mul_mat_q5_KIN3c104HalfELb1EEvPKvS3_PT_iiiii,comdat
	.globl	_ZL12mul_mat_q5_KIN3c104HalfELb1EEvPKvS3_PT_iiiii ; -- Begin function _ZL12mul_mat_q5_KIN3c104HalfELb1EEvPKvS3_PT_iiiii
	.p2align	8
	.type	_ZL12mul_mat_q5_KIN3c104HalfELb1EEvPKvS3_PT_iiiii,@function
_ZL12mul_mat_q5_KIN3c104HalfELb1EEvPKvS3_PT_iiiii: ; @_ZL12mul_mat_q5_KIN3c104HalfELb1EEvPKvS3_PT_iiiii
; %bb.0:
	s_mov_b64 s[26:27], s[2:3]
	s_mov_b64 s[24:25], s[0:1]
	s_add_u32 s24, s24, s8
	s_load_dwordx4 s[8:11], s[4:5], 0x18
	s_load_dword s14, s[4:5], 0x28
	s_addc_u32 s25, s25, 0
	s_lshl_b32 s15, s7, 6
	v_bfe_u32 v46, v0, 10, 10
	s_waitcnt lgkmcnt(0)
	s_cmpk_gt_i32 s8, 0xff
	s_cbranch_scc1 .LBB154_2
; %bb.1:
	v_bfe_u32 v1, v0, 10, 10
	v_and_b32_e32 v54, 0x3ff, v0
	v_add_u32_e32 v2, s15, v1
	s_mov_b64 s[0:1], 0
	s_mov_b32 s2, 0
	s_branch .LBB154_3
.LBB154_2:
	s_mov_b64 s[0:1], -1
                                        ; implicit-def: $sgpr2
                                        ; implicit-def: $vgpr1
                                        ; implicit-def: $vgpr54
                                        ; implicit-def: $vgpr2
.LBB154_3:
	s_load_dwordx2 s[12:13], s[4:5], 0x10
	s_lshl_b32 s6, s6, 7
	s_andn2_b64 vcc, exec, s[0:1]
	v_mov_b32_e32 v17, s2
	v_mov_b32_e32 v16, s2
	;; [unrolled: 1-line block ×32, first 2 shown]
	s_cbranch_vccnz .LBB154_11
; %bb.4:
	s_load_dwordx4 s[0:3], s[4:5], 0x0
	s_ashr_i32 s4, s8, 31
	s_lshr_b32 s4, s4, 24
	s_add_i32 s4, s8, s4
	s_ashr_i32 s7, s4, 8
	s_ashr_i32 s4, s11, 31
	s_lshr_b32 s4, s4, 27
	s_add_i32 s4, s11, s4
	s_mul_i32 s5, s7, s6
	s_ashr_i32 s4, s4, 5
	s_mul_hi_i32 s16, s5, 0xb0
	s_mulk_i32 s5, 0xb0
	s_waitcnt lgkmcnt(0)
	s_add_u32 s11, s0, s5
	s_addc_u32 s16, s1, s16
	s_not_b32 s0, s6
	v_and_b32_e32 v54, 0x3ff, v0
	s_add_i32 s5, s0, s9
	v_lshlrev_b32_e32 v0, 1, v54
	v_and_b32_e32 v2, 7, v54
	v_and_or_b32 v0, v0, 48, v2
	v_min_i32_e32 v2, s5, v46
	v_mul_lo_u32 v4, v2, s7
	buffer_store_dword v4, off, s[24:27], 0 ; 4-byte Folded Spill
	s_nop 0
	buffer_store_dword v5, off, s[24:27], 0 offset:4 ; 4-byte Folded Spill
	v_lshrrev_b32_e32 v1, 2, v54
	v_lshlrev_b32_e32 v0, 2, v0
	s_movk_i32 s1, 0x104
	v_add_u32_e32 v3, 8, v46
	v_mad_u64_u32 v[56:57], s[18:19], v2, s1, v[0:1]
	v_min_i32_e32 v2, s5, v3
	v_mul_lo_u32 v4, v2, s7
	v_mad_u64_u32 v[60:61], s[18:19], v2, s1, v[0:1]
	v_add_u32_e32 v8, 24, v46
	v_add_u32_e32 v9, 32, v46
	;; [unrolled: 1-line block ×5, first 2 shown]
	v_lshlrev_b32_e32 v57, 5, v46
	s_mov_b32 s9, 0xae40
	v_and_b32_e32 v59, 6, v1
	v_lshlrev_b32_e32 v55, 2, v54
	v_and_b32_e32 v50, 28, v55
	v_mov_b32_e32 v19, s3
	s_mov_b32 s17, 0xa200
	v_add_u32_e32 v21, s15, v46
	v_and_b32_e32 v18, 31, v54
	v_lshlrev_b32_e32 v79, 5, v3
	v_lshlrev_b32_e32 v91, 5, v8
	;; [unrolled: 1-line block ×4, first 2 shown]
	v_lshrrev_b32_e32 v22, 5, v54
	s_mov_b32 s0, 0
	s_movk_i32 s8, 0xb0
	v_and_b32_e32 v48, 0x7c, v55
	v_or_b32_e32 v63, 1, v59
	v_lshrrev_b32_e32 v71, 3, v54
	v_mov_b32_e32 v86, v22
	v_mul_u32_u24_e32 v217, 0x104, v54
	buffer_store_dword v4, off, s[24:27], 0 offset:8 ; 4-byte Folded Spill
	s_nop 0
	buffer_store_dword v5, off, s[24:27], 0 offset:12 ; 4-byte Folded Spill
	v_add_u32_e32 v5, 16, v46
	v_min_i32_e32 v2, s5, v5
	v_mul_lo_u32 v4, v2, s7
	buffer_store_dword v4, off, s[24:27], 0 offset:16 ; 4-byte Folded Spill
	s_nop 0
	buffer_store_dword v5, off, s[24:27], 0 offset:20 ; 4-byte Folded Spill
	v_mad_u64_u32 v[64:65], s[18:19], v2, s1, v[0:1]
	v_min_i32_e32 v2, s5, v8
	v_mul_lo_u32 v4, v2, s7
	v_mad_u64_u32 v[68:69], s[18:19], v2, s1, v[0:1]
	v_min_i32_e32 v2, s5, v9
	v_mad_u64_u32 v[72:73], s[18:19], v2, s1, v[0:1]
	buffer_store_dword v4, off, s[24:27], 0 offset:24 ; 4-byte Folded Spill
	s_nop 0
	buffer_store_dword v5, off, s[24:27], 0 offset:28 ; 4-byte Folded Spill
	v_mul_lo_u32 v4, v2, s7
	v_min_i32_e32 v2, s5, v10
	v_mad_u64_u32 v[76:77], s[18:19], v2, s1, v[0:1]
	buffer_store_dword v4, off, s[24:27], 0 offset:32 ; 4-byte Folded Spill
	s_nop 0
	buffer_store_dword v5, off, s[24:27], 0 offset:36 ; 4-byte Folded Spill
	v_mul_lo_u32 v4, v2, s7
	;; [unrolled: 6-line block ×4, first 2 shown]
	v_add_u32_e32 v2, 64, v46
	v_min_i32_e32 v2, s5, v2
	v_mad_u64_u32 v[88:89], s[18:19], v2, s1, v[0:1]
	buffer_store_dword v4, off, s[24:27], 0 offset:56 ; 4-byte Folded Spill
	s_nop 0
	buffer_store_dword v5, off, s[24:27], 0 offset:60 ; 4-byte Folded Spill
	v_mul_lo_u32 v4, v2, s7
	v_add_u32_e32 v2, 0x48, v46
	v_min_i32_e32 v2, s5, v2
	v_mul_lo_u32 v90, v2, s7
	v_mad_u64_u32 v[92:93], s[18:19], v2, s1, v[0:1]
	v_add_u32_e32 v2, 0x50, v46
	v_min_i32_e32 v2, s5, v2
	v_mul_lo_u32 v94, v2, s7
	v_mad_u64_u32 v[96:97], s[18:19], v2, s1, v[0:1]
	;; [unrolled: 4-line block ×6, first 2 shown]
	v_add_u32_e32 v2, 0x78, v46
	v_min_i32_e32 v2, s5, v2
	v_mad_u64_u32 v[116:117], s[18:19], v2, s1, v[0:1]
	v_add_u32_e32 v0, v57, v54
	v_and_b32_e32 v0, 0x7f, v0
	v_min_i32_e32 v0, s5, v0
	v_mul_lo_u32 v114, v2, s7
	v_ashrrev_i32_e32 v2, 31, v0
	v_lshrrev_b32_e32 v2, 27, v2
	v_add_u32_e32 v2, v0, v2
	v_ashrrev_i32_e32 v2, 5, v2
	v_mul_lo_u32 v118, v0, s7
	v_lshlrev_b32_e32 v2, 2, v2
	v_lshlrev_b32_e32 v0, 2, v0
	v_add3_u32 v61, v2, v0, s9
	v_and_b32_e32 v0, 3, v54
	v_add_u32_e32 v2, 0xfe, v0
	v_cmp_gt_u32_e32 vcc, 2, v0
	v_cndmask_b32_e32 v2, v2, v0, vcc
	v_lshl_add_u32 v1, v46, 3, v1
	v_and_b32_e32 v6, 0xff, v2
	v_cmp_ne_u32_e32 vcc, 0, v0
	v_addc_co_u32_e32 v2, vcc, 0, v6, vcc
	v_lshlrev_b32_e32 v58, 1, v6
	v_and_b32_e32 v6, 0x7f, v1
	v_min_i32_e32 v7, s5, v6
	v_ashrrev_i32_e32 v13, 31, v7
	v_xor_b32_e32 v6, 64, v6
	v_lshrrev_b32_e32 v13, 29, v13
	v_min_i32_e32 v6, s5, v6
	v_cmp_lt_u32_e32 vcc, 1, v0
	v_mul_lo_u32 v120, v7, s7
	v_add_u32_e32 v13, v7, v13
	v_lshlrev_b32_e32 v15, 4, v7
	v_ashrrev_i32_e32 v7, 31, v6
	buffer_store_dword v4, off, s[24:27], 0 offset:64 ; 4-byte Folded Spill
	s_nop 0
	buffer_store_dword v5, off, s[24:27], 0 offset:68 ; 4-byte Folded Spill
	v_and_b32_e32 v4, 4, v55
	v_cndmask_b32_e32 v65, 0, v4, vcc
	v_cndmask_b32_e64 v4, 0, 1, vcc
	v_lshrrev_b32_e32 v7, 29, v7
	v_add_co_u32_e32 v124, vcc, s2, v50
	v_and_b32_e32 v1, 63, v1
	v_add_u32_e32 v7, v6, v7
	s_add_i32 s5, s10, -1
	v_addc_co_u32_e32 v125, vcc, 0, v19, vcc
	v_or_b32_e32 v19, s15, v1
	v_lshlrev_b32_e32 v14, 2, v0
	v_ashrrev_i32_e32 v7, 3, v7
	v_min_i32_e32 v19, s5, v19
	v_lshlrev_b32_e32 v7, 2, v7
	v_mad_u64_u32 v[126:127], s[18:19], v19, s4, v[0:1]
	v_lshl_or_b32 v0, v1, 4, v14
	v_mul_lo_u32 v122, v6, s7
	v_add3_u32 v16, v7, v14, s17
	v_lshlrev_b32_e32 v17, 4, v6
	v_cvt_f64_i32_e32 v[6:7], s5
	v_add_u32_e32 v69, 0xaa40, v0
	v_cvt_f64_u32_e32 v[0:1], v21
	v_ashrrev_i32_e32 v13, 3, v13
	v_min_f64 v[0:1], v[0:1], v[6:7]
	v_lshlrev_b32_e32 v13, 2, v13
	v_cvt_i32_f64_e32 v0, v[0:1]
	v_add3_u32 v13, v13, v14, s17
	v_mul_lo_u32 v73, s4, v0
	v_or_b32_e32 v0, v57, v18
	v_mov_b32_e32 v14, 0x8200
	v_lshl_add_u32 v75, v0, 2, v14
	v_add_u32_e32 v0, 8, v21
	v_cvt_f64_u32_e32 v[0:1], v0
	v_min_f64 v[0:1], v[0:1], v[6:7]
	v_cvt_i32_f64_e32 v0, v[0:1]
	v_mul_lo_u32 v77, s4, v0
	v_or_b32_e32 v0, v79, v18
	v_lshl_add_u32 v81, v0, 2, v14
	v_add_u32_e32 v0, 16, v21
	v_cvt_f64_u32_e32 v[0:1], v0
	v_min_f64 v[0:1], v[0:1], v[6:7]
	v_cvt_i32_f64_e32 v0, v[0:1]
	v_mul_lo_u32 v83, s4, v0
	v_lshlrev_b32_e32 v97, 5, v9
	v_lshlrev_b32_e32 v109, 5, v11
	buffer_store_dword v21, off, s[24:27], 0 offset:76 ; 4-byte Folded Spill
	v_lshlrev_b32_e32 v237, 2, v2
	v_lshlrev_b32_e32 v238, 2, v4
	v_add_u32_e32 v239, v13, v15
	v_add_u32_e32 v240, v16, v17
	buffer_store_dword v46, off, s[24:27], 0 offset:72 ; 4-byte Folded Spill
	v_lshlrev_b32_e32 v85, 5, v5
	v_or_b32_e32 v0, v85, v18
	v_lshl_add_u32 v87, v0, 2, v14
	v_add_u32_e32 v0, 24, v21
	v_cvt_f64_u32_e32 v[0:1], v0
	v_min_f64 v[0:1], v[0:1], v[6:7]
	v_cvt_i32_f64_e32 v0, v[0:1]
	v_mul_lo_u32 v89, s4, v0
	v_or_b32_e32 v0, v91, v18
	v_lshl_add_u32 v93, v0, 2, v14
	v_add_u32_e32 v0, 32, v21
	v_cvt_f64_u32_e32 v[0:1], v0
	v_min_f64 v[0:1], v[0:1], v[6:7]
	v_cvt_i32_f64_e32 v0, v[0:1]
	v_mul_lo_u32 v95, s4, v0
	;; [unrolled: 7-line block ×5, first 2 shown]
	v_or_b32_e32 v0, v115, v18
	v_lshl_add_u32 v117, v0, 2, v14
	v_lshlrev_b32_e32 v0, 2, v22
	v_add3_u32 v119, v0, v55, s9
	v_add_u32_e32 v0, 32, v54
	v_lshrrev_b32_e32 v121, 3, v0
	v_lshlrev_b32_e32 v1, 2, v0
	v_and_b32_e32 v0, 60, v121
	v_add3_u32 v123, v55, v0, s9
	v_add_u32_e32 v0, 64, v54
	v_lshrrev_b32_e32 v127, 3, v0
	v_lshlrev_b32_e32 v3, 2, v0
	v_and_b32_e32 v0, 60, v127
	;; [unrolled: 5-line block ×3, first 2 shown]
	v_add3_u32 v193, v55, v0, s9
	v_mov_b32_e32 v0, 0x2080
	v_mad_u32_u24 v234, v54, s1, v0
	v_mov_b32_e32 v0, 0x4100
	v_mad_u32_u24 v235, v54, s1, v0
	;; [unrolled: 2-line block ×3, first 2 shown]
	s_mov_b32 s1, s0
	v_pk_mov_b32 v[52:53], s[0:1], s[0:1] op_sel:[0,1]
	s_mov_b32 s1, 0x10101010
	s_mov_b32 s9, 0x30303030
	v_lshlrev_b32_e32 v241, 2, v1
	v_lshlrev_b32_e32 v242, 2, v3
	;; [unrolled: 1-line block ×3, first 2 shown]
	v_pk_mov_b32 v[38:39], v[52:53], v[52:53] op_sel:[0,1]
	v_pk_mov_b32 v[30:31], v[52:53], v[52:53] op_sel:[0,1]
	v_pk_mov_b32 v[22:23], v[52:53], v[52:53] op_sel:[0,1]
	v_pk_mov_b32 v[44:45], v[52:53], v[52:53] op_sel:[0,1]
	v_pk_mov_b32 v[36:37], v[52:53], v[52:53] op_sel:[0,1]
	v_pk_mov_b32 v[28:29], v[52:53], v[52:53] op_sel:[0,1]
	v_pk_mov_b32 v[20:21], v[52:53], v[52:53] op_sel:[0,1]
	v_pk_mov_b32 v[42:43], v[52:53], v[52:53] op_sel:[0,1]
	v_pk_mov_b32 v[34:35], v[52:53], v[52:53] op_sel:[0,1]
	v_pk_mov_b32 v[26:27], v[52:53], v[52:53] op_sel:[0,1]
	v_pk_mov_b32 v[18:19], v[52:53], v[52:53] op_sel:[0,1]
	v_pk_mov_b32 v[40:41], v[52:53], v[52:53] op_sel:[0,1]
	v_pk_mov_b32 v[32:33], v[52:53], v[52:53] op_sel:[0,1]
	v_pk_mov_b32 v[24:25], v[52:53], v[52:53] op_sel:[0,1]
	v_pk_mov_b32 v[16:17], v[52:53], v[52:53] op_sel:[0,1]
.LBB154_5:                              ; =>This Loop Header: Depth=1
                                        ;     Child Loop BB154_6 Depth 2
                                        ;     Child Loop BB154_8 Depth 2
	buffer_load_dword v4, off, s[24:27], 0  ; 4-byte Folded Reload
	buffer_load_dword v5, off, s[24:27], 0 offset:4 ; 4-byte Folded Reload
	buffer_load_dword v8, off, s[24:27], 0 offset:8 ; 4-byte Folded Reload
	;; [unrolled: 1-line block ×3, first 2 shown]
	s_mul_i32 s4, s0, 0xb0
	s_mul_hi_u32 s5, s0, 0xb0
	s_add_u32 s4, s11, s4
	s_addc_u32 s5, s16, s5
	v_pk_mov_b32 v[0:1], s[4:5], s[4:5] op_sel:[0,1]
	v_mad_u64_u32 v[2:3], s[4:5], v86, s8, v[0:1]
	s_lshl_b32 s17, s0, 3
	v_add_u32_e32 v157, s17, v126
	s_mov_b32 s19, 0
	s_waitcnt vmcnt(2)
	v_mad_i64_i32 v[4:5], s[4:5], v4, s8, v[2:3]
	v_add_co_u32_e32 v6, vcc, v4, v48
	v_addc_co_u32_e32 v7, vcc, 0, v5, vcc
	v_add_co_u32_e32 v4, vcc, v4, v50
	v_addc_co_u32_e32 v5, vcc, 0, v5, vcc
	s_waitcnt vmcnt(0)
	v_mad_i64_i32 v[8:9], s[4:5], v8, s8, v[2:3]
	v_add_co_u32_e32 v10, vcc, v8, v48
	v_addc_co_u32_e32 v11, vcc, 0, v9, vcc
	global_load_dword v12, v[6:7], off offset:48
	global_load_dword v13, v[4:5], off offset:16
	;; [unrolled: 1-line block ×3, first 2 shown]
	v_add_co_u32_e32 v4, vcc, v8, v50
	v_addc_co_u32_e32 v5, vcc, 0, v9, vcc
	global_load_dword v15, v[4:5], off offset:16
	s_nop 0
	buffer_load_dword v4, off, s[24:27], 0 offset:16 ; 4-byte Folded Reload
	buffer_load_dword v5, off, s[24:27], 0 offset:20 ; 4-byte Folded Reload
	;; [unrolled: 1-line block ×6, first 2 shown]
	s_waitcnt vmcnt(6)
	v_ashrrev_i32_e32 v67, v59, v15
	s_waitcnt vmcnt(4)
	v_mad_i64_i32 v[4:5], s[4:5], v4, s8, v[2:3]
	v_add_co_u32_e32 v10, vcc, v4, v48
	v_addc_co_u32_e32 v11, vcc, 0, v5, vcc
	v_add_co_u32_e32 v4, vcc, v4, v50
	s_waitcnt vmcnt(2)
	v_mad_i64_i32 v[6:7], s[4:5], v6, s8, v[2:3]
	v_addc_co_u32_e32 v5, vcc, 0, v5, vcc
	global_load_dword v46, v[10:11], off offset:48
	global_load_dword v47, v[4:5], off offset:16
	v_add_co_u32_e32 v4, vcc, v6, v48
	v_addc_co_u32_e32 v5, vcc, 0, v7, vcc
	global_load_dword v49, v[4:5], off offset:48
	v_add_co_u32_e32 v4, vcc, v6, v50
	v_addc_co_u32_e32 v5, vcc, 0, v7, vcc
	global_load_dword v51, v[4:5], off offset:16
	s_nop 0
	buffer_load_dword v4, off, s[24:27], 0 offset:40 ; 4-byte Folded Reload
	buffer_load_dword v5, off, s[24:27], 0 offset:44 ; 4-byte Folded Reload
	s_waitcnt vmcnt(6)
	v_mad_i64_i32 v[8:9], s[4:5], v8, s8, v[2:3]
	v_add_co_u32_e32 v6, vcc, v8, v48
	v_addc_co_u32_e32 v7, vcc, 0, v9, vcc
	v_add_co_u32_e32 v8, vcc, v8, v50
	v_addc_co_u32_e32 v9, vcc, 0, v9, vcc
	global_load_dword v66, v[6:7], off offset:48
	s_nop 0
	global_load_dword v8, v[8:9], off offset:16
	v_and_b32_e32 v6, 0xf0f0f0f, v12
	v_lshrrev_b32_e32 v7, 4, v12
	v_ashrrev_i32_e32 v9, v59, v13
	v_ashrrev_i32_e32 v12, v63, v13
	v_and_b32_e32 v7, 0xf0f0f0f, v7
	v_lshlrev_b32_e32 v9, 4, v9
	v_lshlrev_b32_e32 v12, 4, v12
	v_and_or_b32 v6, v9, s1, v6
	v_and_or_b32 v7, v12, s1, v7
	ds_write2_b32 v56, v6, v7 offset1:8
	v_and_b32_e32 v13, 0xf0f0f0f, v14
	v_lshlrev_b32_e32 v67, 4, v67
	v_and_or_b32 v9, v67, s1, v13
	v_lshrrev_b32_e32 v14, 4, v14
	v_ashrrev_i32_e32 v15, v63, v15
	v_and_b32_e32 v14, 0xf0f0f0f, v14
	v_lshlrev_b32_e32 v15, 4, v15
	s_waitcnt vmcnt(2)
	v_mad_i64_i32 v[4:5], s[4:5], v4, s8, v[2:3]
	v_add_co_u32_e32 v10, vcc, v4, v48
	v_addc_co_u32_e32 v11, vcc, 0, v5, vcc
	v_add_co_u32_e32 v4, vcc, v4, v50
	v_addc_co_u32_e32 v5, vcc, 0, v5, vcc
	global_load_dword v10, v[10:11], off offset:48
	s_nop 0
	global_load_dword v11, v[4:5], off offset:16
	s_nop 0
	buffer_load_dword v4, off, s[24:27], 0 offset:48 ; 4-byte Folded Reload
	buffer_load_dword v5, off, s[24:27], 0 offset:52 ; 4-byte Folded Reload
	s_waitcnt vmcnt(0)
	v_mad_i64_i32 v[4:5], s[4:5], v4, s8, v[2:3]
	v_add_co_u32_e32 v6, vcc, v4, v48
	v_addc_co_u32_e32 v7, vcc, 0, v5, vcc
	v_add_co_u32_e32 v4, vcc, v4, v50
	v_addc_co_u32_e32 v5, vcc, 0, v5, vcc
	global_load_dword v12, v[6:7], off offset:48
	global_load_dword v13, v[4:5], off offset:16
	s_nop 0
	buffer_load_dword v4, off, s[24:27], 0 offset:56 ; 4-byte Folded Reload
	buffer_load_dword v5, off, s[24:27], 0 offset:60 ; 4-byte Folded Reload
	s_waitcnt vmcnt(0)
	v_mad_i64_i32 v[4:5], s[4:5], v4, s8, v[2:3]
	v_add_co_u32_e32 v6, vcc, v4, v48
	v_addc_co_u32_e32 v7, vcc, 0, v5, vcc
	v_add_co_u32_e32 v4, vcc, v4, v50
	v_addc_co_u32_e32 v5, vcc, 0, v5, vcc
	global_load_dword v67, v[6:7], off offset:48
	global_load_dword v128, v[4:5], off offset:16
	v_and_or_b32 v4, v15, s1, v14
	v_lshrrev_b32_e32 v5, 4, v46
	v_ashrrev_i32_e32 v6, v59, v47
	v_ashrrev_i32_e32 v7, v63, v47
	ds_write2_b32 v60, v9, v4 offset1:8
	v_and_b32_e32 v4, 0xf0f0f0f, v46
	v_and_b32_e32 v5, 0xf0f0f0f, v5
	v_lshlrev_b32_e32 v6, 4, v6
	v_lshlrev_b32_e32 v7, 4, v7
	v_and_or_b32 v4, v6, s1, v4
	v_and_or_b32 v5, v7, s1, v5
	ds_write2_b32 v64, v4, v5 offset1:8
	v_lshrrev_b32_e32 v5, 4, v49
	v_and_b32_e32 v9, 0xf0f0f0f, v5
	v_ashrrev_i32_e32 v5, v59, v51
	v_and_b32_e32 v4, 0xf0f0f0f, v49
	v_lshlrev_b32_e32 v5, 4, v5
	v_and_or_b32 v15, v5, s1, v4
	buffer_load_dword v4, off, s[24:27], 0 offset:64 ; 4-byte Folded Reload
	buffer_load_dword v5, off, s[24:27], 0 offset:68 ; 4-byte Folded Reload
	v_ashrrev_i32_e32 v6, v63, v51
	v_lshlrev_b32_e32 v14, 4, v6
	s_waitcnt vmcnt(0)
	v_mad_i64_i32 v[4:5], s[4:5], v4, s8, v[2:3]
	v_add_co_u32_e32 v6, vcc, v4, v48
	v_addc_co_u32_e32 v7, vcc, 0, v5, vcc
	v_add_co_u32_e32 v4, vcc, v4, v50
	v_addc_co_u32_e32 v5, vcc, 0, v5, vcc
	global_load_dword v46, v[6:7], off offset:48
	global_load_dword v47, v[4:5], off offset:16
	v_mad_i64_i32 v[4:5], s[4:5], v90, s8, v[2:3]
	v_add_co_u32_e32 v6, vcc, v4, v48
	v_addc_co_u32_e32 v7, vcc, 0, v5, vcc
	v_add_co_u32_e32 v4, vcc, v4, v50
	v_addc_co_u32_e32 v5, vcc, 0, v5, vcc
	global_load_dword v49, v[6:7], off offset:48
	global_load_dword v51, v[4:5], off offset:16
	v_and_or_b32 v4, v14, s1, v9
	v_lshrrev_b32_e32 v5, 4, v66
	v_ashrrev_i32_e32 v6, v59, v8
	v_ashrrev_i32_e32 v7, v63, v8
	ds_write2_b32 v68, v15, v4 offset1:8
	v_and_b32_e32 v4, 0xf0f0f0f, v66
	v_and_b32_e32 v5, 0xf0f0f0f, v5
	v_lshlrev_b32_e32 v6, 4, v6
	v_lshlrev_b32_e32 v7, 4, v7
	v_and_or_b32 v4, v6, s1, v4
	v_and_or_b32 v5, v7, s1, v5
	ds_write2_b32 v72, v4, v5 offset1:8
	v_lshrrev_b32_e32 v5, 4, v10
	v_ashrrev_i32_e32 v6, v59, v11
	v_ashrrev_i32_e32 v7, v63, v11
	v_and_b32_e32 v4, 0xf0f0f0f, v10
	v_and_b32_e32 v5, 0xf0f0f0f, v5
	v_lshlrev_b32_e32 v6, 4, v6
	v_lshlrev_b32_e32 v7, 4, v7
	v_and_or_b32 v4, v6, s1, v4
	v_and_or_b32 v5, v7, s1, v5
	ds_write2_b32 v76, v4, v5 offset1:8
	v_lshrrev_b32_e32 v5, 4, v12
	v_ashrrev_i32_e32 v6, v59, v13
	v_ashrrev_i32_e32 v7, v63, v13
	;; [unrolled: 10-line block ×3, first 2 shown]
	v_and_b32_e32 v4, 0xf0f0f0f, v67
	v_and_b32_e32 v5, 0xf0f0f0f, v5
	v_lshlrev_b32_e32 v6, 4, v6
	v_lshlrev_b32_e32 v7, 4, v7
	v_and_or_b32 v4, v6, s1, v4
	v_and_or_b32 v5, v7, s1, v5
	ds_write2_b32 v84, v4, v5 offset1:8
	v_mad_i64_i32 v[4:5], s[4:5], v94, s8, v[2:3]
	v_add_co_u32_e32 v6, vcc, v4, v48
	v_addc_co_u32_e32 v7, vcc, 0, v5, vcc
	v_add_co_u32_e32 v4, vcc, v4, v50
	v_addc_co_u32_e32 v5, vcc, 0, v5, vcc
	v_mad_i64_i32 v[8:9], s[4:5], v98, s8, v[2:3]
	v_add_co_u32_e32 v10, vcc, v8, v48
	v_addc_co_u32_e32 v11, vcc, 0, v9, vcc
	v_add_co_u32_e32 v8, vcc, v8, v50
	v_addc_co_u32_e32 v9, vcc, 0, v9, vcc
	global_load_dword v66, v[6:7], off offset:48
	global_load_dword v67, v[4:5], off offset:16
	;; [unrolled: 1-line block ×4, first 2 shown]
	v_mad_i64_i32 v[8:9], s[4:5], v106, s8, v[2:3]
	v_mad_i64_i32 v[12:13], s[4:5], v110, s8, v[2:3]
	s_waitcnt vmcnt(7)
	v_lshrrev_b32_e32 v5, 4, v46
	s_waitcnt vmcnt(6)
	v_ashrrev_i32_e32 v6, v59, v47
	v_ashrrev_i32_e32 v7, v63, v47
	v_and_b32_e32 v4, 0xf0f0f0f, v46
	v_and_b32_e32 v5, 0xf0f0f0f, v5
	v_lshlrev_b32_e32 v6, 4, v6
	v_lshlrev_b32_e32 v7, 4, v7
	v_and_or_b32 v4, v6, s1, v4
	v_and_or_b32 v5, v7, s1, v5
	ds_write2_b32 v88, v4, v5 offset1:8
	s_waitcnt vmcnt(5)
	v_lshrrev_b32_e32 v5, 4, v49
	s_waitcnt vmcnt(4)
	v_ashrrev_i32_e32 v6, v59, v51
	v_ashrrev_i32_e32 v7, v63, v51
	v_and_b32_e32 v4, 0xf0f0f0f, v49
	v_and_b32_e32 v5, 0xf0f0f0f, v5
	v_lshlrev_b32_e32 v6, 4, v6
	v_lshlrev_b32_e32 v7, 4, v7
	v_and_or_b32 v4, v6, s1, v4
	v_and_or_b32 v5, v7, s1, v5
	ds_write2_b32 v92, v4, v5 offset1:8
	v_mad_i64_i32 v[4:5], s[4:5], v102, s8, v[2:3]
	v_add_co_u32_e32 v6, vcc, v4, v48
	v_addc_co_u32_e32 v7, vcc, 0, v5, vcc
	v_add_co_u32_e32 v4, vcc, v4, v50
	v_addc_co_u32_e32 v5, vcc, 0, v5, vcc
	;; [unrolled: 2-line block ×6, first 2 shown]
	v_mad_i64_i32 v[2:3], s[4:5], v114, s8, v[2:3]
	v_add_co_u32_e32 v128, vcc, v2, v48
	v_addc_co_u32_e32 v129, vcc, 0, v3, vcc
	v_add_co_u32_e32 v2, vcc, v2, v50
	v_addc_co_u32_e32 v3, vcc, 0, v3, vcc
	global_load_dword v46, v[6:7], off offset:48
	global_load_dword v47, v[4:5], off offset:16
	;; [unrolled: 1-line block ×6, first 2 shown]
	s_nop 0
	global_load_dword v128, v[128:129], off offset:48
	s_nop 0
	global_load_dword v129, v[2:3], off offset:16
	v_mad_i64_i32 v[4:5], s[4:5], v120, s8, v[0:1]
	v_add_co_u32_e32 v6, vcc, 4, v4
	v_addc_co_u32_e32 v7, vcc, 0, v5, vcc
	v_add_co_u32_e32 v4, vcc, v6, v237
	v_addc_co_u32_e32 v5, vcc, 0, v7, vcc
	v_add_co_u32_e32 v6, vcc, v6, v238
	v_mad_i64_i32 v[2:3], s[4:5], v118, s8, v[0:1]
	v_addc_co_u32_e32 v7, vcc, 0, v7, vcc
	v_mad_i64_i32 v[0:1], s[4:5], v122, s8, v[0:1]
	v_add_co_u32_e32 v8, vcc, 4, v0
	v_addc_co_u32_e32 v9, vcc, 0, v1, vcc
	v_add_co_u32_e32 v0, vcc, v8, v237
	v_addc_co_u32_e32 v1, vcc, 0, v9, vcc
	;; [unrolled: 2-line block ×3, first 2 shown]
	global_load_dword v134, v[2:3], off
	global_load_dword v135, v[4:5], off
	;; [unrolled: 1-line block ×5, first 2 shown]
	v_add_u32_e32 v14, s17, v71
	v_add_u32_e32 v0, v14, v73
	;; [unrolled: 1-line block ×6, first 2 shown]
	v_mad_i64_i32 v[0:1], s[4:5], v0, 36, v[124:125]
	v_mad_i64_i32 v[2:3], s[4:5], v2, 36, v[124:125]
	v_mad_i64_i32 v[4:5], s[4:5], v4, 36, v[124:125]
	v_mad_i64_i32 v[6:7], s[4:5], v6, 36, v[124:125]
	v_mad_i64_i32 v[8:9], s[4:5], v8, 36, v[124:125]
	v_add_u32_e32 v10, v14, v101
	v_add_u32_e32 v12, v14, v107
	;; [unrolled: 1-line block ×3, first 2 shown]
	v_mad_i64_i32 v[10:11], s[4:5], v10, 36, v[124:125]
	v_mad_i64_i32 v[12:13], s[4:5], v12, 36, v[124:125]
	;; [unrolled: 1-line block ×3, first 2 shown]
	global_load_dword v139, v[0:1], off offset:4
	s_nop 0
	global_load_dword v2, v[2:3], off offset:4
	s_nop 0
	;; [unrolled: 2-line block ×3, first 2 shown]
	global_load_dword v4, v[6:7], off offset:4
	global_load_dword v5, v[8:9], off offset:4
	s_nop 0
	global_load_dword v6, v[10:11], off offset:4
	global_load_dword v7, v[12:13], off offset:4
	;; [unrolled: 1-line block ×3, first 2 shown]
	v_mad_u64_u32 v[0:1], s[4:5], v157, 36, s[2:3]
	global_load_dword v0, v[0:1], off
	s_waitcnt vmcnt(25)
	v_lshrrev_b32_e32 v9, 4, v66
	s_waitcnt vmcnt(24)
	v_ashrrev_i32_e32 v10, v59, v67
	v_ashrrev_i32_e32 v11, v63, v67
	v_and_b32_e32 v1, 0xf0f0f0f, v66
	v_and_b32_e32 v9, 0xf0f0f0f, v9
	v_lshlrev_b32_e32 v10, 4, v10
	v_lshlrev_b32_e32 v11, 4, v11
	v_and_or_b32 v1, v10, s1, v1
	v_and_or_b32 v9, v11, s1, v9
	ds_write2_b32 v96, v1, v9 offset1:8
	s_waitcnt vmcnt(23)
	v_lshrrev_b32_e32 v9, 4, v130
	s_waitcnt vmcnt(22)
	v_ashrrev_i32_e32 v10, v59, v131
	v_ashrrev_i32_e32 v11, v63, v131
	v_and_b32_e32 v1, 0xf0f0f0f, v130
	v_and_b32_e32 v9, 0xf0f0f0f, v9
	v_lshlrev_b32_e32 v10, 4, v10
	v_lshlrev_b32_e32 v11, 4, v11
	v_and_or_b32 v1, v10, s1, v1
	v_and_or_b32 v9, v11, s1, v9
	ds_write2_b32 v100, v1, v9 offset1:8
	;; [unrolled: 12-line block ×6, first 2 shown]
	s_waitcnt vmcnt(13)
	ds_write_b32 v61, v134
	s_waitcnt vmcnt(12)
	v_ashrrev_i32_e32 v1, v65, v135
	v_and_b32_e32 v1, 0xf0f0f0f, v1
	s_waitcnt vmcnt(11)
	v_ashrrev_i32_e32 v9, v58, v136
	v_and_or_b32 v1, v9, s9, v1
	ds_write_b32 v239, v1
	s_waitcnt vmcnt(10)
	v_ashrrev_i32_e32 v1, v65, v137
	v_and_b32_e32 v1, 0xf0f0f0f, v1
	s_waitcnt vmcnt(9)
	v_ashrrev_i32_e32 v9, v58, v138
	v_and_or_b32 v1, v9, s9, v1
	ds_write_b32 v240, v1
	s_waitcnt vmcnt(8)
	ds_write_b32 v75, v139
	s_waitcnt vmcnt(7)
	;; [unrolled: 2-line block ×9, first 2 shown]
	ds_write_b32 v69, v0
	s_waitcnt lgkmcnt(0)
	s_barrier
	ds_read_b32 v0, v119
	ds_read_b32 v1, v123 offset:128
	ds_read_b32 v2, v145 offset:256
	;; [unrolled: 1-line block ×3, first 2 shown]
	s_mov_b64 s[4:5], -1
	s_waitcnt lgkmcnt(3)
	v_cvt_f32_f16_e32 v128, v0
	v_cvt_f32_f16_sdwa v130, v0 dst_sel:DWORD dst_unused:UNUSED_PAD src0_sel:WORD_1
	s_waitcnt lgkmcnt(2)
	v_cvt_f32_f16_e32 v132, v1
	v_cvt_f32_f16_sdwa v134, v1 dst_sel:DWORD dst_unused:UNUSED_PAD src0_sel:WORD_1
	;; [unrolled: 3-line block ×4, first 2 shown]
	v_mov_b32_e32 v129, v128
	v_mov_b32_e32 v131, v130
	;; [unrolled: 1-line block ×8, first 2 shown]
.LBB154_6:                              ;   Parent Loop BB154_5 Depth=1
                                        ; =>  This Inner Loop Header: Depth=2
	s_lshl_b32 s18, s19, 1
	s_lshr_b32 s20, s19, 2
	v_or_b32_e32 v0, s18, v57
	s_add_i32 s20, s20, 0xa200
	v_lshlrev_b32_e32 v1, 2, v0
	v_lshrrev_b32_e32 v46, 1, v0
	v_lshlrev_b32_e32 v244, 2, v71
	v_lshlrev_b32_e32 v245, 2, v55
	s_lshl_b32 s19, s19, 3
	ds_read_b128 v[12:15], v1 offset:33280
	ds_read_b128 v[8:11], v1 offset:33296
	;; [unrolled: 1-line block ×4, first 2 shown]
	ds_read_b64 v[224:225], v46 offset:43584
	v_add3_u32 v46, s20, v244, v245
	v_add_u32_e32 v47, s19, v217
	ds_read2_b32 v[194:195], v47 offset1:1
	ds_read2_b32 v[202:203], v47 offset0:2 offset1:3
	ds_read2_b32 v[206:207], v47 offset0:4 offset1:5
	;; [unrolled: 1-line block ×3, first 2 shown]
	ds_read_u16 v49, v46
	ds_read_u8 v66, v46 offset:8
	ds_read_u8 v46, v46 offset:9
	v_lshlrev_b32_e32 v246, 2, v121
	ds_read2_b32 v[190:191], v47 offset0:8 offset1:9
	ds_read2_b32 v[218:219], v47 offset0:10 offset1:11
	;; [unrolled: 1-line block ×4, first 2 shown]
	s_waitcnt lgkmcnt(4)
	v_cvt_f32_ubyte0_e32 v216, v46
	v_add3_u32 v46, s20, v246, v241
	v_add_u32_e32 v47, s19, v234
	v_and_b32_e32 v250, 0xff, v49
	v_lshrrev_b16_e32 v253, 8, v49
	ds_read2_b32 v[164:165], v47 offset1:1
	ds_read2_b32 v[172:173], v47 offset0:2 offset1:3
	ds_read2_b32 v[174:175], v47 offset0:4 offset1:5
	;; [unrolled: 1-line block ×3, first 2 shown]
	ds_read_u16 v49, v46
	ds_read_u8 v67, v46 offset:8
	ds_read_u8 v46, v46 offset:9
	v_lshlrev_b32_e32 v247, 2, v127
	ds_read2_b32 v[160:161], v47 offset0:8 offset1:9
	ds_read2_b32 v[198:199], v47 offset0:10 offset1:11
	;; [unrolled: 1-line block ×4, first 2 shown]
	s_waitcnt lgkmcnt(4)
	v_cvt_f32_ubyte0_e32 v192, v46
	v_add3_u32 v46, s20, v247, v242
	v_add_u32_e32 v47, s19, v235
	v_and_b32_e32 v197, 0xff, v49
	v_cvt_f32_ubyte0_e32 v156, v67
	v_lshrrev_b16_e32 v251, 8, v49
	ds_read2_b32 v[168:169], v47 offset1:1
	ds_read2_b32 v[178:179], v47 offset0:2 offset1:3
	ds_read2_b32 v[180:181], v47 offset0:4 offset1:5
	;; [unrolled: 1-line block ×3, first 2 shown]
	ds_read_u16 v49, v46
	ds_read_u8 v67, v46 offset:8
	ds_read_u8 v46, v46 offset:9
	ds_read2_b32 v[162:163], v47 offset0:8 offset1:9
	ds_read2_b32 v[208:209], v47 offset0:10 offset1:11
	ds_read2_b32 v[212:213], v47 offset0:12 offset1:13
	ds_read2_b32 v[214:215], v47 offset0:14 offset1:15
	v_add_u32_e32 v47, s19, v236
	ds_read2_b32 v[170:171], v47 offset1:1
	ds_read2_b32 v[184:185], v47 offset0:2 offset1:3
	ds_read2_b32 v[186:187], v47 offset0:4 offset1:5
	;; [unrolled: 1-line block ×3, first 2 shown]
	v_mov_b32_e32 v51, 0
	v_mov_b32_e32 v254, 0
	;; [unrolled: 1-line block ×3, first 2 shown]
	s_waitcnt lgkmcnt(10)
	v_and_b32_e32 v249, 0xff, v49
	v_lshrrev_b16_e32 v252, 8, v49
	v_mov_b32_e32 v49, 0
	v_dot4c_i32_i8_e32 v51, v194, v12
	v_dot4c_i32_i8_e32 v254, v164, v12
	;; [unrolled: 1-line block ×3, first 2 shown]
	s_waitcnt lgkmcnt(3)
	v_dot4c_i32_i8_e32 v49, v170, v12
	v_dot4c_i32_i8_e32 v51, v195, v13
	;; [unrolled: 1-line block ×8, first 2 shown]
	s_waitcnt lgkmcnt(2)
	v_dot4c_i32_i8_e32 v49, v184, v14
	v_dot4c_i32_i8_e32 v51, v203, v15
	;; [unrolled: 1-line block ×8, first 2 shown]
	v_lshlrev_b32_e32 v248, 2, v147
	s_waitcnt lgkmcnt(1)
	v_dot4c_i32_i8_e32 v49, v186, v8
	v_dot4c_i32_i8_e32 v51, v207, v9
	;; [unrolled: 1-line block ×4, first 2 shown]
	v_cvt_f32_ubyte0_e32 v196, v46
	v_add3_u32 v46, s20, v248, v243
	v_dot4c_i32_i8_e32 v49, v187, v9
	v_dot4c_i32_i8_e32 v51, v210, v10
	;; [unrolled: 1-line block ×4, first 2 shown]
	s_waitcnt lgkmcnt(0)
	v_dot4c_i32_i8_e32 v49, v188, v10
	ds_read_u16 v8, v46
	ds_read_u8 v9, v46 offset:8
	ds_read_u8 v10, v46 offset:9
	ds_read2_b32 v[154:155], v47 offset0:8 offset1:9
	ds_read2_b32 v[148:149], v47 offset0:10 offset1:11
	;; [unrolled: 1-line block ×4, first 2 shown]
	v_cvt_f32_ubyte0_e32 v166, v66
	v_mov_b32_e32 v66, 0
	v_mov_b32_e32 v62, 0
	;; [unrolled: 1-line block ×4, first 2 shown]
	v_dot4c_i32_i8_e32 v66, v190, v4
	v_dot4c_i32_i8_e32 v62, v160, v4
	v_dot4c_i32_i8_e32 v70, v162, v4
	s_waitcnt lgkmcnt(3)
	v_dot4c_i32_i8_e32 v74, v154, v4
	v_dot4c_i32_i8_e32 v66, v191, v5
	v_dot4c_i32_i8_e32 v62, v161, v5
	v_dot4c_i32_i8_e32 v70, v163, v5
	v_dot4c_i32_i8_e32 v74, v155, v5
	v_dot4c_i32_i8_e32 v66, v218, v6
	v_dot4c_i32_i8_e32 v62, v198, v6
	v_dot4c_i32_i8_e32 v70, v208, v6
	s_waitcnt lgkmcnt(2)
	v_dot4c_i32_i8_e32 v74, v148, v6
	v_dot4c_i32_i8_e32 v66, v219, v7
	v_dot4c_i32_i8_e32 v62, v199, v7
	v_dot4c_i32_i8_e32 v70, v209, v7
	v_dot4c_i32_i8_e32 v74, v149, v7
	;; [unrolled: 9-line block ×3, first 2 shown]
	v_or_b32_e32 v0, s18, v79
	v_dot4c_i32_i8_e32 v66, v222, v2
	v_dot4c_i32_i8_e32 v62, v204, v2
	;; [unrolled: 1-line block ×3, first 2 shown]
	s_waitcnt lgkmcnt(0)
	v_dot4c_i32_i8_e32 v74, v152, v2
	v_lshlrev_b32_e32 v1, 2, v0
	v_dot4c_i32_i8_e32 v51, v211, v11
	v_dot4c_i32_i8_e32 v66, v223, v3
	v_dot4c_i32_i8_e32 v254, v177, v11
	v_dot4c_i32_i8_e32 v62, v205, v3
	v_dot4c_i32_i8_e32 v255, v183, v11
	v_dot4c_i32_i8_e32 v70, v215, v3
	v_dot4c_i32_i8_e32 v49, v189, v11
	v_and_b32_e32 v167, 0xff, v8
	v_cvt_f32_ubyte0_e32 v146, v9
	v_dot4c_i32_i8_e32 v74, v153, v3
	v_lshrrev_b16_e32 v159, 8, v8
	v_cvt_f32_ubyte0_e32 v144, v10
	v_lshrrev_b32_e32 v46, 1, v0
	ds_read_b128 v[12:15], v1 offset:33280
	ds_read_b128 v[8:11], v1 offset:33296
	;; [unrolled: 1-line block ×4, first 2 shown]
	ds_read_b64 v[228:229], v46 offset:43584
	v_mov_b32_e32 v46, 0
	v_cvt_f32_ubyte0_e32 v158, v67
	s_waitcnt lgkmcnt(4)
	v_dot4c_i32_i8_e32 v46, v194, v12
	v_mov_b32_e32 v67, 0
	v_dot4c_i32_i8_e32 v46, v195, v13
	s_waitcnt lgkmcnt(2)
	v_dot4c_i32_i8_e32 v67, v190, v4
	v_dot4c_i32_i8_e32 v46, v202, v14
	;; [unrolled: 1-line block ×8, first 2 shown]
	s_waitcnt lgkmcnt(1)
	v_dot4c_i32_i8_e32 v67, v220, v0
	v_dot4c_i32_i8_e32 v46, v210, v10
	v_dot4c_i32_i8_e32 v67, v221, v1
	v_dot4c_i32_i8_e32 v46, v211, v11
	v_dot4c_i32_i8_e32 v67, v222, v2
	v_dot4c_i32_i8_e32 v67, v223, v3
	s_waitcnt lgkmcnt(0)
	v_cvt_f32_f16_sdwa v233, v228 dst_sel:DWORD dst_unused:UNUSED_PAD src0_sel:WORD_1
	v_cvt_f32_f16_sdwa v232, v224 dst_sel:DWORD dst_unused:UNUSED_PAD src0_sel:WORD_1
	v_mul_lo_u32 v47, v51, v250
	v_mul_lo_u32 v46, v46, v250
	v_cvt_f32_f16_e32 v231, v228
	v_cvt_f32_f16_e32 v230, v224
	v_cvt_f32_f16_e32 v227, v229
	v_cvt_f32_f16_e32 v226, v225
	v_cvt_f32_f16_sdwa v229, v229 dst_sel:DWORD dst_unused:UNUSED_PAD src0_sel:WORD_1
	v_cvt_f32_f16_sdwa v228, v225 dst_sel:DWORD dst_unused:UNUSED_PAD src0_sel:WORD_1
	v_cvt_f32_i32_e32 v225, v46
	v_cvt_f32_i32_e32 v224, v47
	v_mul_lo_u32 v51, v66, v253
	v_mul_lo_u32 v66, v67, v253
	v_cvt_f32_i32_e32 v67, v66
	v_cvt_f32_i32_e32 v66, v51
	v_pk_fma_f32 v[46:47], v[166:167], v[232:233], 0 op_sel_hi:[0,1,0]
	v_pk_fma_f32 v[224:225], v[230:231], v[224:225], 0 op_sel_hi:[1,1,0]
	;; [unrolled: 1-line block ×3, first 2 shown]
	v_pk_fma_f32 v[66:67], v[226:227], v[66:67], v[224:225]
	v_pk_mul_f32 v[46:47], v[46:47], v[130:131]
	v_pk_fma_f32 v[46:47], v[66:67], v[128:129], v[46:47] neg_lo:[0,0,1] neg_hi:[0,0,1]
	v_pk_add_f32 v[52:53], v[52:53], v[46:47]
	v_mov_b32_e32 v46, 0
	v_dot4c_i32_i8_e32 v46, v164, v12
	v_mov_b32_e32 v51, 0
	v_dot4c_i32_i8_e32 v46, v165, v13
	v_dot4c_i32_i8_e32 v51, v160, v4
	;; [unrolled: 1-line block ×15, first 2 shown]
	v_mul_lo_u32 v66, v254, v197
	v_mul_lo_u32 v46, v46, v197
	v_cvt_f32_i32_e32 v47, v46
	v_cvt_f32_i32_e32 v46, v66
	v_mul_lo_u32 v62, v62, v251
	v_mul_lo_u32 v51, v51, v251
	v_cvt_f32_i32_e32 v225, v51
	v_cvt_f32_i32_e32 v224, v62
	v_pk_fma_f32 v[66:67], v[156:157], v[232:233], 0 op_sel_hi:[0,1,0]
	v_pk_fma_f32 v[46:47], v[230:231], v[46:47], 0 op_sel_hi:[1,1,0]
	v_pk_fma_f32 v[66:67], v[192:193], v[228:229], v[66:67] op_sel_hi:[0,1,1]
	v_pk_fma_f32 v[46:47], v[226:227], v[224:225], v[46:47]
	v_pk_mul_f32 v[66:67], v[66:67], v[134:135]
	v_pk_fma_f32 v[46:47], v[46:47], v[132:133], v[66:67] neg_lo:[0,0,1] neg_hi:[0,0,1]
	v_pk_add_f32 v[44:45], v[44:45], v[46:47]
	v_mov_b32_e32 v46, 0
	v_dot4c_i32_i8_e32 v46, v168, v12
	v_mov_b32_e32 v51, 0
	v_dot4c_i32_i8_e32 v46, v169, v13
	v_dot4c_i32_i8_e32 v51, v162, v4
	;; [unrolled: 1-line block ×15, first 2 shown]
	v_mul_lo_u32 v62, v255, v249
	v_mul_lo_u32 v46, v46, v249
	v_cvt_f32_i32_e32 v47, v46
	v_cvt_f32_i32_e32 v46, v62
	v_mul_lo_u32 v62, v70, v252
	v_mul_lo_u32 v51, v51, v252
	v_cvt_f32_i32_e32 v225, v51
	v_cvt_f32_i32_e32 v224, v62
	v_pk_fma_f32 v[66:67], v[158:159], v[232:233], 0 op_sel_hi:[0,1,0]
	v_pk_fma_f32 v[46:47], v[230:231], v[46:47], 0 op_sel_hi:[1,1,0]
	;; [unrolled: 1-line block ×3, first 2 shown]
	v_pk_fma_f32 v[46:47], v[226:227], v[224:225], v[46:47]
	v_pk_mul_f32 v[66:67], v[66:67], v[138:139]
	v_pk_fma_f32 v[46:47], v[46:47], v[136:137], v[66:67] neg_lo:[0,0,1] neg_hi:[0,0,1]
	v_pk_add_f32 v[42:43], v[42:43], v[46:47]
	v_mov_b32_e32 v46, 0
	v_dot4c_i32_i8_e32 v46, v170, v12
	v_dot4c_i32_i8_e32 v46, v171, v13
	;; [unrolled: 1-line block ×5, first 2 shown]
	v_mov_b32_e32 v8, 0
	v_dot4c_i32_i8_e32 v8, v154, v4
	v_dot4c_i32_i8_e32 v8, v155, v5
	;; [unrolled: 1-line block ×11, first 2 shown]
	v_mul_lo_u32 v0, v49, v167
	v_mul_lo_u32 v1, v46, v167
	v_cvt_f32_i32_e32 v1, v1
	v_cvt_f32_i32_e32 v0, v0
	v_mul_lo_u32 v4, v74, v159
	v_mul_lo_u32 v5, v8, v159
	v_cvt_f32_i32_e32 v5, v5
	v_cvt_f32_i32_e32 v4, v4
	v_pk_fma_f32 v[2:3], v[146:147], v[232:233], 0 op_sel_hi:[0,1,0]
	v_pk_fma_f32 v[0:1], v[230:231], v[0:1], 0 op_sel_hi:[1,1,0]
	;; [unrolled: 1-line block ×3, first 2 shown]
	v_pk_fma_f32 v[0:1], v[226:227], v[4:5], v[0:1]
	v_pk_mul_f32 v[2:3], v[2:3], v[142:143]
	v_pk_fma_f32 v[0:1], v[0:1], v[140:141], v[2:3] neg_lo:[0,0,1] neg_hi:[0,0,1]
	v_pk_add_f32 v[40:41], v[40:41], v[0:1]
	v_or_b32_e32 v0, s18, v85
	v_lshlrev_b32_e32 v1, 2, v0
	v_lshrrev_b32_e32 v46, 1, v0
	ds_read_b128 v[12:15], v1 offset:33280
	ds_read_b128 v[8:11], v1 offset:33296
	;; [unrolled: 1-line block ×4, first 2 shown]
	ds_read_b64 v[224:225], v46 offset:43584
	v_mov_b32_e32 v49, 0
	v_mov_b32_e32 v51, 0
	;; [unrolled: 1-line block ×8, first 2 shown]
	s_waitcnt lgkmcnt(4)
	v_dot4c_i32_i8_e32 v49, v194, v12
	s_waitcnt lgkmcnt(2)
	v_dot4c_i32_i8_e32 v51, v190, v4
	v_dot4c_i32_i8_e32 v62, v164, v12
	;; [unrolled: 1-line block ×32, first 2 shown]
	s_waitcnt lgkmcnt(1)
	v_dot4c_i32_i8_e32 v51, v220, v0
	v_dot4c_i32_i8_e32 v62, v174, v8
	;; [unrolled: 1-line block ×15, first 2 shown]
	v_or_b32_e32 v0, s18, v91
	v_dot4c_i32_i8_e32 v49, v210, v10
	v_dot4c_i32_i8_e32 v51, v222, v2
	;; [unrolled: 1-line block ×8, first 2 shown]
	v_lshlrev_b32_e32 v1, 2, v0
	v_lshrrev_b32_e32 v46, 1, v0
	v_dot4c_i32_i8_e32 v49, v211, v11
	v_dot4c_i32_i8_e32 v51, v223, v3
	;; [unrolled: 1-line block ×8, first 2 shown]
	ds_read_b128 v[12:15], v1 offset:33280
	ds_read_b128 v[8:11], v1 offset:33296
	ds_read_b128 v[4:7], v1 offset:33312
	ds_read_b128 v[0:3], v1 offset:33328
	ds_read_b64 v[46:47], v46 offset:43584
	v_mov_b32_e32 v66, 0
	s_waitcnt lgkmcnt(4)
	v_dot4c_i32_i8_e32 v66, v194, v12
	v_mov_b32_e32 v82, 0
	v_dot4c_i32_i8_e32 v66, v195, v13
	s_waitcnt lgkmcnt(2)
	v_dot4c_i32_i8_e32 v82, v190, v4
	v_dot4c_i32_i8_e32 v66, v202, v14
	;; [unrolled: 1-line block ×8, first 2 shown]
	s_waitcnt lgkmcnt(1)
	v_dot4c_i32_i8_e32 v82, v220, v0
	v_dot4c_i32_i8_e32 v66, v210, v10
	v_dot4c_i32_i8_e32 v82, v221, v1
	v_dot4c_i32_i8_e32 v66, v211, v11
	v_dot4c_i32_i8_e32 v82, v222, v2
	v_dot4c_i32_i8_e32 v82, v223, v3
	s_waitcnt lgkmcnt(0)
	v_cvt_f32_f16_e32 v231, v46
	v_cvt_f32_f16_sdwa v233, v46 dst_sel:DWORD dst_unused:UNUSED_PAD src0_sel:WORD_1
	v_cvt_f32_f16_sdwa v232, v224 dst_sel:DWORD dst_unused:UNUSED_PAD src0_sel:WORD_1
	v_cvt_f32_f16_e32 v227, v47
	v_cvt_f32_f16_sdwa v229, v47 dst_sel:DWORD dst_unused:UNUSED_PAD src0_sel:WORD_1
	v_mul_lo_u32 v46, v49, v250
	v_mul_lo_u32 v47, v66, v250
	v_cvt_f32_f16_e32 v230, v224
	v_cvt_f32_f16_sdwa v228, v225 dst_sel:DWORD dst_unused:UNUSED_PAD src0_sel:WORD_1
	v_cvt_f32_i32_e32 v47, v47
	v_cvt_f32_i32_e32 v46, v46
	v_mul_lo_u32 v49, v51, v253
	v_mul_lo_u32 v51, v82, v253
	v_cvt_f32_f16_e32 v226, v225
	v_cvt_f32_i32_e32 v225, v51
	v_cvt_f32_i32_e32 v224, v49
	v_pk_fma_f32 v[66:67], v[166:167], v[232:233], 0 op_sel_hi:[0,1,0]
	v_pk_fma_f32 v[46:47], v[46:47], v[230:231], 0 op_sel_hi:[1,1,0]
	v_pk_fma_f32 v[66:67], v[216:217], v[228:229], v[66:67] op_sel_hi:[0,1,1]
	v_pk_fma_f32 v[46:47], v[224:225], v[226:227], v[46:47]
	v_pk_mul_f32 v[66:67], v[66:67], v[130:131]
	v_pk_fma_f32 v[46:47], v[46:47], v[128:129], v[66:67] neg_lo:[0,0,1] neg_hi:[0,0,1]
	v_pk_add_f32 v[38:39], v[38:39], v[46:47]
	v_mov_b32_e32 v46, 0
	v_dot4c_i32_i8_e32 v46, v164, v12
	v_mov_b32_e32 v49, 0
	v_dot4c_i32_i8_e32 v46, v165, v13
	v_dot4c_i32_i8_e32 v49, v160, v4
	;; [unrolled: 1-line block ×15, first 2 shown]
	v_mul_lo_u32 v51, v62, v197
	v_mul_lo_u32 v46, v46, v197
	v_cvt_f32_i32_e32 v47, v46
	v_cvt_f32_i32_e32 v46, v51
	v_mul_lo_u32 v51, v70, v251
	v_mul_lo_u32 v49, v49, v251
	v_cvt_f32_i32_e32 v225, v49
	v_cvt_f32_i32_e32 v224, v51
	v_pk_fma_f32 v[66:67], v[156:157], v[232:233], 0 op_sel_hi:[0,1,0]
	v_pk_fma_f32 v[46:47], v[46:47], v[230:231], 0 op_sel_hi:[1,1,0]
	;; [unrolled: 1-line block ×3, first 2 shown]
	v_pk_fma_f32 v[46:47], v[224:225], v[226:227], v[46:47]
	v_pk_mul_f32 v[66:67], v[66:67], v[134:135]
	v_pk_fma_f32 v[46:47], v[46:47], v[132:133], v[66:67] neg_lo:[0,0,1] neg_hi:[0,0,1]
	v_pk_add_f32 v[36:37], v[36:37], v[46:47]
	v_mov_b32_e32 v46, 0
	v_dot4c_i32_i8_e32 v46, v168, v12
	v_mov_b32_e32 v49, 0
	v_dot4c_i32_i8_e32 v46, v169, v13
	v_dot4c_i32_i8_e32 v49, v162, v4
	;; [unrolled: 1-line block ×15, first 2 shown]
	v_mul_lo_u32 v51, v74, v249
	v_mul_lo_u32 v46, v46, v249
	v_cvt_f32_i32_e32 v47, v46
	v_cvt_f32_i32_e32 v46, v51
	v_mul_lo_u32 v51, v254, v252
	v_mul_lo_u32 v49, v49, v252
	v_cvt_f32_i32_e32 v225, v49
	v_cvt_f32_i32_e32 v224, v51
	v_pk_fma_f32 v[66:67], v[158:159], v[232:233], 0 op_sel_hi:[0,1,0]
	v_pk_fma_f32 v[46:47], v[46:47], v[230:231], 0 op_sel_hi:[1,1,0]
	;; [unrolled: 1-line block ×3, first 2 shown]
	v_pk_fma_f32 v[46:47], v[224:225], v[226:227], v[46:47]
	v_pk_mul_f32 v[66:67], v[66:67], v[138:139]
	v_pk_fma_f32 v[46:47], v[46:47], v[136:137], v[66:67] neg_lo:[0,0,1] neg_hi:[0,0,1]
	v_pk_add_f32 v[34:35], v[34:35], v[46:47]
	v_mov_b32_e32 v46, 0
	v_dot4c_i32_i8_e32 v46, v170, v12
	v_dot4c_i32_i8_e32 v46, v171, v13
	;; [unrolled: 1-line block ×5, first 2 shown]
	v_mov_b32_e32 v8, 0
	v_dot4c_i32_i8_e32 v8, v154, v4
	v_dot4c_i32_i8_e32 v8, v155, v5
	;; [unrolled: 1-line block ×11, first 2 shown]
	v_mul_lo_u32 v0, v255, v167
	v_mul_lo_u32 v1, v46, v167
	v_cvt_f32_i32_e32 v1, v1
	v_cvt_f32_i32_e32 v0, v0
	v_mul_lo_u32 v4, v78, v159
	v_mul_lo_u32 v5, v8, v159
	v_cvt_f32_i32_e32 v5, v5
	v_cvt_f32_i32_e32 v4, v4
	v_pk_fma_f32 v[2:3], v[146:147], v[232:233], 0 op_sel_hi:[0,1,0]
	v_pk_fma_f32 v[0:1], v[0:1], v[230:231], 0 op_sel_hi:[1,1,0]
	;; [unrolled: 1-line block ×3, first 2 shown]
	v_pk_fma_f32 v[0:1], v[4:5], v[226:227], v[0:1]
	v_pk_mul_f32 v[2:3], v[2:3], v[142:143]
	v_pk_fma_f32 v[0:1], v[0:1], v[140:141], v[2:3] neg_lo:[0,0,1] neg_hi:[0,0,1]
	v_pk_add_f32 v[32:33], v[32:33], v[0:1]
	v_or_b32_e32 v0, s18, v97
	v_lshlrev_b32_e32 v1, 2, v0
	v_lshrrev_b32_e32 v46, 1, v0
	ds_read_b128 v[12:15], v1 offset:33280
	ds_read_b128 v[8:11], v1 offset:33296
	ds_read_b128 v[4:7], v1 offset:33312
	ds_read_b128 v[0:3], v1 offset:33328
	ds_read_b64 v[224:225], v46 offset:43584
	v_mov_b32_e32 v49, 0
	v_mov_b32_e32 v51, 0
	;; [unrolled: 1-line block ×8, first 2 shown]
	s_waitcnt lgkmcnt(4)
	v_dot4c_i32_i8_e32 v49, v194, v12
	s_waitcnt lgkmcnt(2)
	v_dot4c_i32_i8_e32 v51, v190, v4
	v_dot4c_i32_i8_e32 v62, v164, v12
	;; [unrolled: 1-line block ×32, first 2 shown]
	s_waitcnt lgkmcnt(1)
	v_dot4c_i32_i8_e32 v51, v220, v0
	v_dot4c_i32_i8_e32 v62, v174, v8
	;; [unrolled: 1-line block ×15, first 2 shown]
	v_or_b32_e32 v0, s18, v103
	v_dot4c_i32_i8_e32 v49, v210, v10
	v_dot4c_i32_i8_e32 v51, v222, v2
	;; [unrolled: 1-line block ×8, first 2 shown]
	v_lshlrev_b32_e32 v1, 2, v0
	v_lshrrev_b32_e32 v46, 1, v0
	v_dot4c_i32_i8_e32 v49, v211, v11
	v_dot4c_i32_i8_e32 v51, v223, v3
	;; [unrolled: 1-line block ×8, first 2 shown]
	ds_read_b128 v[12:15], v1 offset:33280
	ds_read_b128 v[8:11], v1 offset:33296
	;; [unrolled: 1-line block ×4, first 2 shown]
	ds_read_b64 v[46:47], v46 offset:43584
	v_mov_b32_e32 v66, 0
	s_waitcnt lgkmcnt(4)
	v_dot4c_i32_i8_e32 v66, v194, v12
	v_mov_b32_e32 v255, 0
	v_dot4c_i32_i8_e32 v66, v195, v13
	s_waitcnt lgkmcnt(2)
	v_dot4c_i32_i8_e32 v255, v190, v4
	v_dot4c_i32_i8_e32 v66, v202, v14
	v_dot4c_i32_i8_e32 v255, v191, v5
	v_dot4c_i32_i8_e32 v66, v203, v15
	v_dot4c_i32_i8_e32 v255, v218, v6
	v_dot4c_i32_i8_e32 v66, v206, v8
	v_dot4c_i32_i8_e32 v255, v219, v7
	v_dot4c_i32_i8_e32 v66, v207, v9
	s_waitcnt lgkmcnt(1)
	v_dot4c_i32_i8_e32 v255, v220, v0
	v_dot4c_i32_i8_e32 v66, v210, v10
	;; [unrolled: 1-line block ×6, first 2 shown]
	s_waitcnt lgkmcnt(0)
	v_cvt_f32_f16_e32 v231, v46
	v_cvt_f32_f16_sdwa v233, v46 dst_sel:DWORD dst_unused:UNUSED_PAD src0_sel:WORD_1
	v_cvt_f32_f16_sdwa v232, v224 dst_sel:DWORD dst_unused:UNUSED_PAD src0_sel:WORD_1
	v_cvt_f32_f16_e32 v227, v47
	v_cvt_f32_f16_sdwa v229, v47 dst_sel:DWORD dst_unused:UNUSED_PAD src0_sel:WORD_1
	v_mul_lo_u32 v46, v49, v250
	v_mul_lo_u32 v47, v66, v250
	v_cvt_f32_f16_e32 v230, v224
	v_cvt_f32_f16_sdwa v228, v225 dst_sel:DWORD dst_unused:UNUSED_PAD src0_sel:WORD_1
	v_cvt_f32_i32_e32 v47, v47
	v_cvt_f32_i32_e32 v46, v46
	v_mul_lo_u32 v49, v51, v253
	v_mul_lo_u32 v51, v255, v253
	v_cvt_f32_f16_e32 v226, v225
	v_cvt_f32_i32_e32 v225, v51
	v_cvt_f32_i32_e32 v224, v49
	v_pk_fma_f32 v[66:67], v[166:167], v[232:233], 0 op_sel_hi:[0,1,0]
	v_pk_fma_f32 v[46:47], v[46:47], v[230:231], 0 op_sel_hi:[1,1,0]
	;; [unrolled: 1-line block ×3, first 2 shown]
	v_pk_fma_f32 v[46:47], v[224:225], v[226:227], v[46:47]
	v_pk_mul_f32 v[66:67], v[66:67], v[130:131]
	v_pk_fma_f32 v[46:47], v[46:47], v[128:129], v[66:67] neg_lo:[0,0,1] neg_hi:[0,0,1]
	v_pk_add_f32 v[30:31], v[30:31], v[46:47]
	v_mov_b32_e32 v46, 0
	v_dot4c_i32_i8_e32 v46, v164, v12
	v_mov_b32_e32 v49, 0
	v_dot4c_i32_i8_e32 v46, v165, v13
	v_dot4c_i32_i8_e32 v49, v160, v4
	;; [unrolled: 1-line block ×15, first 2 shown]
	v_mul_lo_u32 v51, v62, v197
	v_mul_lo_u32 v46, v46, v197
	v_cvt_f32_i32_e32 v47, v46
	v_cvt_f32_i32_e32 v46, v51
	v_mul_lo_u32 v51, v70, v251
	v_mul_lo_u32 v49, v49, v251
	v_cvt_f32_i32_e32 v225, v49
	v_cvt_f32_i32_e32 v224, v51
	v_pk_fma_f32 v[66:67], v[156:157], v[232:233], 0 op_sel_hi:[0,1,0]
	v_pk_fma_f32 v[46:47], v[46:47], v[230:231], 0 op_sel_hi:[1,1,0]
	;; [unrolled: 1-line block ×3, first 2 shown]
	v_pk_fma_f32 v[46:47], v[224:225], v[226:227], v[46:47]
	v_pk_mul_f32 v[66:67], v[66:67], v[134:135]
	v_pk_fma_f32 v[46:47], v[46:47], v[132:133], v[66:67] neg_lo:[0,0,1] neg_hi:[0,0,1]
	v_pk_add_f32 v[28:29], v[28:29], v[46:47]
	v_mov_b32_e32 v46, 0
	v_dot4c_i32_i8_e32 v46, v168, v12
	v_mov_b32_e32 v49, 0
	v_dot4c_i32_i8_e32 v46, v169, v13
	v_dot4c_i32_i8_e32 v49, v162, v4
	;; [unrolled: 1-line block ×15, first 2 shown]
	v_mul_lo_u32 v51, v74, v249
	v_mul_lo_u32 v46, v46, v249
	v_cvt_f32_i32_e32 v47, v46
	v_cvt_f32_i32_e32 v46, v51
	v_mul_lo_u32 v51, v78, v252
	v_mul_lo_u32 v49, v49, v252
	v_cvt_f32_i32_e32 v225, v49
	v_cvt_f32_i32_e32 v224, v51
	v_pk_fma_f32 v[66:67], v[158:159], v[232:233], 0 op_sel_hi:[0,1,0]
	v_pk_fma_f32 v[46:47], v[46:47], v[230:231], 0 op_sel_hi:[1,1,0]
	;; [unrolled: 1-line block ×3, first 2 shown]
	v_pk_fma_f32 v[46:47], v[224:225], v[226:227], v[46:47]
	v_pk_mul_f32 v[66:67], v[66:67], v[138:139]
	v_pk_fma_f32 v[46:47], v[46:47], v[136:137], v[66:67] neg_lo:[0,0,1] neg_hi:[0,0,1]
	v_pk_add_f32 v[26:27], v[26:27], v[46:47]
	v_mov_b32_e32 v46, 0
	v_dot4c_i32_i8_e32 v46, v170, v12
	v_dot4c_i32_i8_e32 v46, v171, v13
	v_dot4c_i32_i8_e32 v46, v184, v14
	v_dot4c_i32_i8_e32 v46, v185, v15
	v_dot4c_i32_i8_e32 v46, v186, v8
	v_mov_b32_e32 v8, 0
	v_dot4c_i32_i8_e32 v8, v154, v4
	v_dot4c_i32_i8_e32 v8, v155, v5
	;; [unrolled: 1-line block ×11, first 2 shown]
	v_mul_lo_u32 v0, v82, v167
	v_mul_lo_u32 v1, v46, v167
	v_cvt_f32_i32_e32 v1, v1
	v_cvt_f32_i32_e32 v0, v0
	v_mul_lo_u32 v4, v254, v159
	v_mul_lo_u32 v5, v8, v159
	v_cvt_f32_i32_e32 v5, v5
	v_cvt_f32_i32_e32 v4, v4
	v_pk_fma_f32 v[2:3], v[146:147], v[232:233], 0 op_sel_hi:[0,1,0]
	v_pk_fma_f32 v[0:1], v[0:1], v[230:231], 0 op_sel_hi:[1,1,0]
	;; [unrolled: 1-line block ×3, first 2 shown]
	v_pk_fma_f32 v[0:1], v[4:5], v[226:227], v[0:1]
	v_pk_mul_f32 v[2:3], v[2:3], v[142:143]
	v_pk_fma_f32 v[0:1], v[0:1], v[140:141], v[2:3] neg_lo:[0,0,1] neg_hi:[0,0,1]
	v_pk_add_f32 v[24:25], v[24:25], v[0:1]
	v_or_b32_e32 v0, s18, v109
	v_lshlrev_b32_e32 v1, 2, v0
	v_lshrrev_b32_e32 v46, 1, v0
	ds_read_b128 v[12:15], v1 offset:33280
	ds_read_b128 v[8:11], v1 offset:33296
	ds_read_b128 v[4:7], v1 offset:33312
	ds_read_b128 v[0:3], v1 offset:33328
	ds_read_b64 v[224:225], v46 offset:43584
	v_mov_b32_e32 v49, 0
	v_mov_b32_e32 v51, 0
	;; [unrolled: 1-line block ×8, first 2 shown]
	s_waitcnt lgkmcnt(4)
	v_dot4c_i32_i8_e32 v49, v194, v12
	s_waitcnt lgkmcnt(2)
	v_dot4c_i32_i8_e32 v51, v190, v4
	v_dot4c_i32_i8_e32 v62, v164, v12
	;; [unrolled: 1-line block ×32, first 2 shown]
	s_waitcnt lgkmcnt(1)
	v_dot4c_i32_i8_e32 v51, v220, v0
	v_dot4c_i32_i8_e32 v62, v174, v8
	;; [unrolled: 1-line block ×15, first 2 shown]
	v_or_b32_e32 v0, s18, v115
	v_dot4c_i32_i8_e32 v49, v210, v10
	v_dot4c_i32_i8_e32 v51, v222, v2
	;; [unrolled: 1-line block ×8, first 2 shown]
	v_lshlrev_b32_e32 v1, 2, v0
	v_lshrrev_b32_e32 v46, 1, v0
	v_dot4c_i32_i8_e32 v49, v211, v11
	v_dot4c_i32_i8_e32 v51, v223, v3
	;; [unrolled: 1-line block ×8, first 2 shown]
	ds_read_b128 v[12:15], v1 offset:33280
	ds_read_b128 v[8:11], v1 offset:33296
	;; [unrolled: 1-line block ×4, first 2 shown]
	ds_read_b64 v[46:47], v46 offset:43584
	v_mov_b32_e32 v66, 0
	s_waitcnt lgkmcnt(4)
	v_dot4c_i32_i8_e32 v66, v194, v12
	v_mov_b32_e32 v82, 0
	v_dot4c_i32_i8_e32 v66, v195, v13
	s_waitcnt lgkmcnt(2)
	v_dot4c_i32_i8_e32 v82, v190, v4
	v_dot4c_i32_i8_e32 v66, v202, v14
	;; [unrolled: 1-line block ×8, first 2 shown]
	s_waitcnt lgkmcnt(1)
	v_dot4c_i32_i8_e32 v82, v220, v0
	v_dot4c_i32_i8_e32 v66, v210, v10
	;; [unrolled: 1-line block ×6, first 2 shown]
	s_waitcnt lgkmcnt(0)
	v_cvt_f32_f16_e32 v207, v46
	v_cvt_f32_f16_sdwa v203, v46 dst_sel:DWORD dst_unused:UNUSED_PAD src0_sel:WORD_1
	v_cvt_f32_f16_sdwa v202, v224 dst_sel:DWORD dst_unused:UNUSED_PAD src0_sel:WORD_1
	v_cvt_f32_f16_e32 v195, v47
	v_cvt_f32_f16_sdwa v191, v47 dst_sel:DWORD dst_unused:UNUSED_PAD src0_sel:WORD_1
	v_mul_lo_u32 v46, v49, v250
	v_mul_lo_u32 v47, v66, v250
	v_cvt_f32_f16_e32 v206, v224
	v_cvt_f32_f16_sdwa v190, v225 dst_sel:DWORD dst_unused:UNUSED_PAD src0_sel:WORD_1
	v_cvt_f32_i32_e32 v47, v47
	v_cvt_f32_i32_e32 v46, v46
	v_mul_lo_u32 v49, v51, v253
	v_mul_lo_u32 v51, v82, v253
	v_cvt_f32_f16_e32 v194, v225
	v_cvt_f32_i32_e32 v211, v51
	v_cvt_f32_i32_e32 v210, v49
	v_pk_fma_f32 v[66:67], v[166:167], v[202:203], 0 op_sel_hi:[0,1,0]
	v_pk_fma_f32 v[46:47], v[46:47], v[206:207], 0 op_sel_hi:[1,1,0]
	;; [unrolled: 1-line block ×3, first 2 shown]
	v_pk_fma_f32 v[46:47], v[210:211], v[194:195], v[46:47]
	v_pk_mul_f32 v[66:67], v[66:67], v[130:131]
	v_pk_fma_f32 v[46:47], v[46:47], v[128:129], v[66:67] neg_lo:[0,0,1] neg_hi:[0,0,1]
	v_pk_add_f32 v[22:23], v[22:23], v[46:47]
	v_mov_b32_e32 v46, 0
	v_dot4c_i32_i8_e32 v46, v164, v12
	v_mov_b32_e32 v49, 0
	v_dot4c_i32_i8_e32 v46, v165, v13
	v_dot4c_i32_i8_e32 v49, v160, v4
	;; [unrolled: 1-line block ×15, first 2 shown]
	v_mul_lo_u32 v51, v62, v197
	v_mul_lo_u32 v46, v46, v197
	v_cvt_f32_i32_e32 v47, v46
	v_cvt_f32_i32_e32 v46, v51
	v_mul_lo_u32 v51, v70, v251
	v_mul_lo_u32 v49, v49, v251
	v_cvt_f32_i32_e32 v161, v49
	v_cvt_f32_i32_e32 v160, v51
	v_pk_fma_f32 v[66:67], v[156:157], v[202:203], 0 op_sel_hi:[0,1,0]
	v_pk_fma_f32 v[46:47], v[46:47], v[206:207], 0 op_sel_hi:[1,1,0]
	;; [unrolled: 1-line block ×3, first 2 shown]
	v_pk_fma_f32 v[46:47], v[160:161], v[194:195], v[46:47]
	v_pk_mul_f32 v[66:67], v[66:67], v[134:135]
	v_pk_fma_f32 v[46:47], v[46:47], v[132:133], v[66:67] neg_lo:[0,0,1] neg_hi:[0,0,1]
	v_pk_add_f32 v[20:21], v[20:21], v[46:47]
	v_mov_b32_e32 v46, 0
	v_mov_b32_e32 v156, 0
	v_dot4c_i32_i8_e32 v46, v168, v12
	v_dot4c_i32_i8_e32 v156, v170, v12
	;; [unrolled: 1-line block ×9, first 2 shown]
	v_mov_b32_e32 v49, 0
	v_dot4c_i32_i8_e32 v156, v186, v8
	v_mov_b32_e32 v8, 0
	v_dot4c_i32_i8_e32 v49, v162, v4
	v_dot4c_i32_i8_e32 v8, v154, v4
	;; [unrolled: 1-line block ×21, first 2 shown]
	v_mul_lo_u32 v51, v74, v249
	v_mul_lo_u32 v46, v46, v249
	v_dot4c_i32_i8_e32 v8, v153, v3
	v_mul_lo_u32 v0, v227, v167
	v_mul_lo_u32 v1, v156, v167
	v_cvt_f32_i32_e32 v47, v46
	v_cvt_f32_i32_e32 v46, v51
	v_mul_lo_u32 v51, v78, v252
	v_mul_lo_u32 v49, v49, v252
	v_cvt_f32_i32_e32 v1, v1
	v_cvt_f32_i32_e32 v0, v0
	;; [unrolled: 4-line block ×3, first 2 shown]
	v_cvt_f32_i32_e32 v5, v5
	v_cvt_f32_i32_e32 v4, v4
	v_pk_fma_f32 v[66:67], v[158:159], v[202:203], 0 op_sel_hi:[0,1,0]
	v_pk_fma_f32 v[2:3], v[146:147], v[202:203], 0 op_sel_hi:[0,1,0]
	;; [unrolled: 1-line block ×6, first 2 shown]
	v_pk_fma_f32 v[46:47], v[160:161], v[194:195], v[46:47]
	v_pk_mul_f32 v[66:67], v[66:67], v[138:139]
	v_pk_fma_f32 v[0:1], v[4:5], v[194:195], v[0:1]
	v_pk_mul_f32 v[2:3], v[2:3], v[142:143]
	v_pk_fma_f32 v[46:47], v[46:47], v[136:137], v[66:67] neg_lo:[0,0,1] neg_hi:[0,0,1]
	v_pk_fma_f32 v[0:1], v[0:1], v[140:141], v[2:3] neg_lo:[0,0,1] neg_hi:[0,0,1]
	v_pk_add_f32 v[18:19], v[18:19], v[46:47]
	v_pk_add_f32 v[16:17], v[16:17], v[0:1]
	s_mov_b32 s19, 8
	s_and_b64 vcc, exec, s[4:5]
	s_mov_b64 s[4:5], 0
	s_cbranch_vccnz .LBB154_6
; %bb.7:                                ;   in Loop: Header=BB154_5 Depth=1
	v_add_u32_e32 v14, s17, v121
	v_add_u32_e32 v0, v14, v73
	;; [unrolled: 1-line block ×6, first 2 shown]
	v_mad_i64_i32 v[0:1], s[4:5], v0, 36, v[124:125]
	v_mad_i64_i32 v[2:3], s[4:5], v2, 36, v[124:125]
	;; [unrolled: 1-line block ×5, first 2 shown]
	v_add_u32_e32 v10, v14, v101
	v_add_u32_e32 v12, v14, v107
	;; [unrolled: 1-line block ×3, first 2 shown]
	s_barrier
	v_mad_i64_i32 v[10:11], s[4:5], v10, 36, v[124:125]
	v_mad_i64_i32 v[12:13], s[4:5], v12, 36, v[124:125]
	;; [unrolled: 1-line block ×3, first 2 shown]
	global_load_dword v46, v[0:1], off offset:4
	s_nop 0
	global_load_dword v2, v[2:3], off offset:4
	s_nop 0
	;; [unrolled: 2-line block ×3, first 2 shown]
	global_load_dword v4, v[6:7], off offset:4
	global_load_dword v5, v[8:9], off offset:4
	s_nop 0
	global_load_dword v6, v[10:11], off offset:4
	global_load_dword v7, v[12:13], off offset:4
	;; [unrolled: 1-line block ×3, first 2 shown]
	v_add_u32_e32 v0, 4, v157
	v_mad_u64_u32 v[0:1], s[4:5], v0, 36, s[2:3]
	global_load_dword v0, v[0:1], off
	s_mov_b32 s4, 16
	s_waitcnt vmcnt(8)
	ds_write_b32 v75, v46
	s_waitcnt vmcnt(7)
	ds_write_b32 v81, v2
	;; [unrolled: 2-line block ×9, first 2 shown]
	s_waitcnt lgkmcnt(0)
	s_barrier
	ds_read_b32 v0, v119
	ds_read_b32 v1, v123 offset:128
	ds_read_b32 v2, v145 offset:256
	;; [unrolled: 1-line block ×3, first 2 shown]
	s_waitcnt lgkmcnt(2)
	v_cvt_f32_f16_e32 v132, v1
	v_cvt_f32_f16_e32 v128, v0
	v_cvt_f32_f16_sdwa v130, v0 dst_sel:DWORD dst_unused:UNUSED_PAD src0_sel:WORD_1
	v_cvt_f32_f16_sdwa v134, v1 dst_sel:DWORD dst_unused:UNUSED_PAD src0_sel:WORD_1
	s_waitcnt lgkmcnt(1)
	v_cvt_f32_f16_e32 v136, v2
	v_cvt_f32_f16_sdwa v138, v2 dst_sel:DWORD dst_unused:UNUSED_PAD src0_sel:WORD_1
	s_waitcnt lgkmcnt(0)
	v_cvt_f32_f16_e32 v140, v3
	v_cvt_f32_f16_sdwa v142, v3 dst_sel:DWORD dst_unused:UNUSED_PAD src0_sel:WORD_1
	v_mov_b32_e32 v129, v128
	v_mov_b32_e32 v131, v130
	;; [unrolled: 1-line block ×8, first 2 shown]
.LBB154_8:                              ;   Parent Loop BB154_5 Depth=1
                                        ; =>  This Inner Loop Header: Depth=2
	s_lshr_b32 s5, s4, 2
	s_and_b32 s17, s5, 0x3ffffffe
	s_lshl_b32 s5, s4, 1
	s_and_b32 s5, s5, 16
	v_or_b32_e32 v0, s5, v57
	v_lshlrev_b32_e32 v1, 2, v0
	v_lshrrev_b32_e32 v46, 1, v0
	s_add_i32 s17, s17, 0xa200
	s_lshl_b32 s18, s4, 3
	ds_read_b128 v[12:15], v1 offset:33280
	ds_read_b128 v[8:11], v1 offset:33296
	ds_read_b128 v[4:7], v1 offset:33312
	ds_read_b128 v[0:3], v1 offset:33328
	ds_read_b64 v[224:225], v46 offset:43584
	v_add3_u32 v46, s17, v244, v245
	v_add_u32_e32 v47, s18, v217
	ds_read2_b32 v[208:209], v47 offset1:1
	ds_read2_b32 v[210:211], v47 offset0:2 offset1:3
	ds_read2_b32 v[212:213], v47 offset0:4 offset1:5
	;; [unrolled: 1-line block ×3, first 2 shown]
	ds_read_u16 v49, v46
	ds_read_u16 v46, v46 offset:8
	ds_read2_b32 v[190:191], v47 offset0:8 offset1:9
	ds_read2_b32 v[218:219], v47 offset0:10 offset1:11
	;; [unrolled: 1-line block ×4, first 2 shown]
	s_waitcnt lgkmcnt(4)
	v_cvt_f32_ubyte0_e32 v170, v46
	v_cvt_f32_ubyte1_e32 v216, v46
	v_add3_u32 v46, s17, v246, v241
	v_add_u32_e32 v47, s18, v234
	v_and_b32_e32 v249, 0xff, v49
	v_lshrrev_b16_e32 v252, 8, v49
	ds_read2_b32 v[160:161], v47 offset1:1
	ds_read2_b32 v[178:179], v47 offset0:2 offset1:3
	ds_read2_b32 v[184:185], v47 offset0:4 offset1:5
	;; [unrolled: 1-line block ×3, first 2 shown]
	ds_read_u16 v49, v46
	ds_read_u16 v46, v46 offset:8
	ds_read2_b32 v[168:169], v47 offset0:8 offset1:9
	ds_read2_b32 v[198:199], v47 offset0:10 offset1:11
	;; [unrolled: 1-line block ×4, first 2 shown]
	s_waitcnt lgkmcnt(4)
	v_cvt_f32_ubyte0_e32 v164, v46
	v_cvt_f32_ubyte1_e32 v194, v46
	v_add3_u32 v46, s17, v247, v242
	v_add_u32_e32 v47, s18, v235
	v_and_b32_e32 v195, 0xff, v49
	v_lshrrev_b16_e32 v251, 8, v49
	ds_read2_b32 v[158:159], v47 offset1:1
	ds_read2_b32 v[174:175], v47 offset0:2 offset1:3
	ds_read2_b32 v[180:181], v47 offset0:4 offset1:5
	;; [unrolled: 1-line block ×3, first 2 shown]
	ds_read_u16 v49, v46
	ds_read_u16 v46, v46 offset:8
	ds_read2_b32 v[166:167], v47 offset0:8 offset1:9
	ds_read2_b32 v[196:197], v47 offset0:10 offset1:11
	;; [unrolled: 1-line block ×4, first 2 shown]
	v_add_u32_e32 v47, s18, v236
	ds_read2_b32 v[156:157], v47 offset1:1
	ds_read2_b32 v[172:173], v47 offset0:2 offset1:3
	ds_read2_b32 v[176:177], v47 offset0:4 offset1:5
	;; [unrolled: 1-line block ×3, first 2 shown]
	v_mov_b32_e32 v51, 0
	v_mov_b32_e32 v254, 0
	;; [unrolled: 1-line block ×3, first 2 shown]
	s_waitcnt lgkmcnt(9)
	v_and_b32_e32 v171, 0xff, v49
	v_lshrrev_b16_e32 v250, 8, v49
	v_mov_b32_e32 v49, 0
	v_dot4c_i32_i8_e32 v51, v208, v12
	v_dot4c_i32_i8_e32 v254, v160, v12
	;; [unrolled: 1-line block ×3, first 2 shown]
	s_waitcnt lgkmcnt(3)
	v_dot4c_i32_i8_e32 v49, v156, v12
	v_dot4c_i32_i8_e32 v51, v209, v13
	;; [unrolled: 1-line block ×8, first 2 shown]
	s_waitcnt lgkmcnt(2)
	v_dot4c_i32_i8_e32 v49, v172, v14
	v_dot4c_i32_i8_e32 v51, v211, v15
	;; [unrolled: 1-line block ×8, first 2 shown]
	v_cvt_f32_ubyte0_e32 v162, v46
	v_cvt_f32_ubyte1_e32 v192, v46
	v_add3_u32 v46, s17, v248, v243
	s_waitcnt lgkmcnt(1)
	v_dot4c_i32_i8_e32 v49, v176, v8
	v_dot4c_i32_i8_e32 v51, v213, v9
	;; [unrolled: 1-line block ×5, first 2 shown]
	ds_read_u16 v8, v46
	ds_read_u16 v9, v46 offset:8
	ds_read2_b32 v[154:155], v47 offset0:8 offset1:9
	ds_read2_b32 v[148:149], v47 offset0:10 offset1:11
	;; [unrolled: 1-line block ×4, first 2 shown]
	v_mov_b32_e32 v62, 0
	v_mov_b32_e32 v70, 0
	;; [unrolled: 1-line block ×4, first 2 shown]
	v_dot4c_i32_i8_e32 v62, v190, v4
	v_dot4c_i32_i8_e32 v70, v168, v4
	v_dot4c_i32_i8_e32 v74, v166, v4
	s_waitcnt lgkmcnt(3)
	v_dot4c_i32_i8_e32 v78, v154, v4
	v_dot4c_i32_i8_e32 v62, v191, v5
	v_dot4c_i32_i8_e32 v70, v169, v5
	v_dot4c_i32_i8_e32 v74, v167, v5
	v_dot4c_i32_i8_e32 v78, v155, v5
	v_dot4c_i32_i8_e32 v62, v218, v6
	v_dot4c_i32_i8_e32 v70, v198, v6
	v_dot4c_i32_i8_e32 v74, v196, v6
	s_waitcnt lgkmcnt(2)
	v_dot4c_i32_i8_e32 v78, v148, v6
	v_dot4c_i32_i8_e32 v62, v219, v7
	v_dot4c_i32_i8_e32 v70, v199, v7
	v_dot4c_i32_i8_e32 v74, v197, v7
	v_dot4c_i32_i8_e32 v78, v149, v7
	;; [unrolled: 9-line block ×3, first 2 shown]
	v_or_b32_e32 v0, s5, v79
	v_dot4c_i32_i8_e32 v51, v214, v10
	v_dot4c_i32_i8_e32 v62, v222, v2
	v_dot4c_i32_i8_e32 v254, v188, v10
	v_dot4c_i32_i8_e32 v70, v206, v2
	v_dot4c_i32_i8_e32 v253, v186, v10
	v_dot4c_i32_i8_e32 v74, v204, v2
	v_dot4c_i32_i8_e32 v49, v182, v10
	s_waitcnt lgkmcnt(0)
	v_dot4c_i32_i8_e32 v78, v152, v2
	v_lshlrev_b32_e32 v1, 2, v0
	v_lshrrev_b32_e32 v46, 1, v0
	v_dot4c_i32_i8_e32 v51, v215, v11
	v_dot4c_i32_i8_e32 v62, v223, v3
	v_dot4c_i32_i8_e32 v254, v189, v11
	v_dot4c_i32_i8_e32 v70, v207, v3
	v_dot4c_i32_i8_e32 v253, v187, v11
	v_dot4c_i32_i8_e32 v74, v205, v3
	v_dot4c_i32_i8_e32 v49, v183, v11
	v_and_b32_e32 v165, 0xff, v8
	v_cvt_f32_ubyte0_e32 v146, v9
	v_dot4c_i32_i8_e32 v78, v153, v3
	v_lshrrev_b16_e32 v163, 8, v8
	v_cvt_f32_ubyte1_e32 v144, v9
	ds_read_b128 v[12:15], v1 offset:33280
	ds_read_b128 v[8:11], v1 offset:33296
	;; [unrolled: 1-line block ×4, first 2 shown]
	ds_read_b64 v[46:47], v46 offset:43584
	v_mov_b32_e32 v66, 0
	s_waitcnt lgkmcnt(4)
	v_dot4c_i32_i8_e32 v66, v208, v12
	v_mov_b32_e32 v82, 0
	v_dot4c_i32_i8_e32 v66, v209, v13
	s_waitcnt lgkmcnt(2)
	v_dot4c_i32_i8_e32 v82, v190, v4
	v_dot4c_i32_i8_e32 v66, v210, v14
	;; [unrolled: 1-line block ×8, first 2 shown]
	s_waitcnt lgkmcnt(1)
	v_dot4c_i32_i8_e32 v82, v220, v0
	v_dot4c_i32_i8_e32 v66, v214, v10
	;; [unrolled: 1-line block ×6, first 2 shown]
	s_waitcnt lgkmcnt(0)
	v_cvt_f32_f16_e32 v231, v46
	v_cvt_f32_f16_sdwa v233, v46 dst_sel:DWORD dst_unused:UNUSED_PAD src0_sel:WORD_1
	v_cvt_f32_f16_sdwa v232, v224 dst_sel:DWORD dst_unused:UNUSED_PAD src0_sel:WORD_1
	v_cvt_f32_f16_e32 v227, v47
	v_cvt_f32_f16_sdwa v229, v47 dst_sel:DWORD dst_unused:UNUSED_PAD src0_sel:WORD_1
	v_mul_lo_u32 v46, v51, v249
	v_mul_lo_u32 v47, v66, v249
	v_cvt_f32_f16_e32 v230, v224
	v_cvt_f32_f16_sdwa v228, v225 dst_sel:DWORD dst_unused:UNUSED_PAD src0_sel:WORD_1
	v_cvt_f32_i32_e32 v47, v47
	v_cvt_f32_i32_e32 v46, v46
	v_mul_lo_u32 v51, v62, v252
	v_mul_lo_u32 v62, v82, v252
	v_cvt_f32_f16_e32 v226, v225
	v_cvt_f32_i32_e32 v225, v62
	v_cvt_f32_i32_e32 v224, v51
	v_pk_fma_f32 v[66:67], v[170:171], v[232:233], 0 op_sel_hi:[0,1,0]
	v_pk_fma_f32 v[46:47], v[230:231], v[46:47], 0 op_sel_hi:[1,1,0]
	;; [unrolled: 1-line block ×3, first 2 shown]
	v_pk_fma_f32 v[46:47], v[226:227], v[224:225], v[46:47]
	v_pk_mul_f32 v[66:67], v[66:67], v[130:131]
	v_pk_fma_f32 v[46:47], v[46:47], v[128:129], v[66:67] neg_lo:[0,0,1] neg_hi:[0,0,1]
	v_pk_add_f32 v[52:53], v[52:53], v[46:47]
	v_mov_b32_e32 v46, 0
	v_dot4c_i32_i8_e32 v46, v160, v12
	v_mov_b32_e32 v51, 0
	v_dot4c_i32_i8_e32 v46, v161, v13
	v_dot4c_i32_i8_e32 v51, v168, v4
	;; [unrolled: 1-line block ×15, first 2 shown]
	v_mul_lo_u32 v62, v254, v195
	v_mul_lo_u32 v46, v46, v195
	v_cvt_f32_i32_e32 v47, v46
	v_cvt_f32_i32_e32 v46, v62
	v_mul_lo_u32 v62, v70, v251
	v_mul_lo_u32 v51, v51, v251
	v_cvt_f32_i32_e32 v225, v51
	v_cvt_f32_i32_e32 v224, v62
	v_pk_fma_f32 v[66:67], v[164:165], v[232:233], 0 op_sel_hi:[0,1,0]
	v_pk_fma_f32 v[46:47], v[230:231], v[46:47], 0 op_sel_hi:[1,1,0]
	;; [unrolled: 1-line block ×3, first 2 shown]
	v_pk_fma_f32 v[46:47], v[226:227], v[224:225], v[46:47]
	v_pk_mul_f32 v[66:67], v[66:67], v[134:135]
	v_pk_fma_f32 v[46:47], v[46:47], v[132:133], v[66:67] neg_lo:[0,0,1] neg_hi:[0,0,1]
	v_pk_add_f32 v[44:45], v[44:45], v[46:47]
	v_mov_b32_e32 v46, 0
	v_dot4c_i32_i8_e32 v46, v158, v12
	v_mov_b32_e32 v51, 0
	v_dot4c_i32_i8_e32 v46, v159, v13
	v_dot4c_i32_i8_e32 v51, v166, v4
	v_dot4c_i32_i8_e32 v46, v174, v14
	v_dot4c_i32_i8_e32 v51, v167, v5
	v_dot4c_i32_i8_e32 v46, v175, v15
	v_dot4c_i32_i8_e32 v51, v196, v6
	v_dot4c_i32_i8_e32 v46, v180, v8
	v_dot4c_i32_i8_e32 v51, v197, v7
	v_dot4c_i32_i8_e32 v46, v181, v9
	v_dot4c_i32_i8_e32 v51, v200, v0
	v_dot4c_i32_i8_e32 v46, v186, v10
	v_dot4c_i32_i8_e32 v51, v201, v1
	v_dot4c_i32_i8_e32 v46, v187, v11
	v_dot4c_i32_i8_e32 v51, v204, v2
	v_dot4c_i32_i8_e32 v51, v205, v3
	v_mul_lo_u32 v62, v253, v171
	v_mul_lo_u32 v46, v46, v171
	v_cvt_f32_i32_e32 v47, v46
	v_cvt_f32_i32_e32 v46, v62
	v_mul_lo_u32 v62, v74, v250
	v_mul_lo_u32 v51, v51, v250
	v_cvt_f32_i32_e32 v225, v51
	v_cvt_f32_i32_e32 v224, v62
	v_pk_fma_f32 v[66:67], v[162:163], v[232:233], 0 op_sel_hi:[0,1,0]
	v_pk_fma_f32 v[46:47], v[230:231], v[46:47], 0 op_sel_hi:[1,1,0]
	;; [unrolled: 1-line block ×3, first 2 shown]
	v_pk_fma_f32 v[46:47], v[226:227], v[224:225], v[46:47]
	v_pk_mul_f32 v[66:67], v[66:67], v[138:139]
	v_pk_fma_f32 v[46:47], v[46:47], v[136:137], v[66:67] neg_lo:[0,0,1] neg_hi:[0,0,1]
	v_pk_add_f32 v[42:43], v[42:43], v[46:47]
	v_mov_b32_e32 v46, 0
	v_dot4c_i32_i8_e32 v46, v156, v12
	v_dot4c_i32_i8_e32 v46, v157, v13
	;; [unrolled: 1-line block ×5, first 2 shown]
	v_mov_b32_e32 v8, 0
	v_dot4c_i32_i8_e32 v8, v154, v4
	v_dot4c_i32_i8_e32 v8, v155, v5
	;; [unrolled: 1-line block ×11, first 2 shown]
	v_mul_lo_u32 v0, v49, v165
	v_mul_lo_u32 v1, v46, v165
	v_cvt_f32_i32_e32 v1, v1
	v_cvt_f32_i32_e32 v0, v0
	v_mul_lo_u32 v4, v78, v163
	v_mul_lo_u32 v5, v8, v163
	v_cvt_f32_i32_e32 v5, v5
	v_cvt_f32_i32_e32 v4, v4
	v_pk_fma_f32 v[2:3], v[146:147], v[232:233], 0 op_sel_hi:[0,1,0]
	v_pk_fma_f32 v[0:1], v[230:231], v[0:1], 0 op_sel_hi:[1,1,0]
	;; [unrolled: 1-line block ×3, first 2 shown]
	v_pk_fma_f32 v[0:1], v[226:227], v[4:5], v[0:1]
	v_pk_mul_f32 v[2:3], v[2:3], v[142:143]
	v_pk_fma_f32 v[0:1], v[0:1], v[140:141], v[2:3] neg_lo:[0,0,1] neg_hi:[0,0,1]
	v_pk_add_f32 v[40:41], v[40:41], v[0:1]
	v_or_b32_e32 v0, s5, v85
	v_lshlrev_b32_e32 v1, 2, v0
	v_lshrrev_b32_e32 v46, 1, v0
	ds_read_b128 v[12:15], v1 offset:33280
	ds_read_b128 v[8:11], v1 offset:33296
	;; [unrolled: 1-line block ×4, first 2 shown]
	ds_read_b64 v[224:225], v46 offset:43584
	v_mov_b32_e32 v49, 0
	v_mov_b32_e32 v51, 0
	;; [unrolled: 1-line block ×8, first 2 shown]
	s_waitcnt lgkmcnt(4)
	v_dot4c_i32_i8_e32 v49, v208, v12
	s_waitcnt lgkmcnt(2)
	v_dot4c_i32_i8_e32 v51, v190, v4
	v_dot4c_i32_i8_e32 v62, v160, v12
	;; [unrolled: 1-line block ×32, first 2 shown]
	s_waitcnt lgkmcnt(1)
	v_dot4c_i32_i8_e32 v51, v220, v0
	v_dot4c_i32_i8_e32 v62, v184, v8
	;; [unrolled: 1-line block ×15, first 2 shown]
	v_or_b32_e32 v0, s5, v91
	v_dot4c_i32_i8_e32 v49, v214, v10
	v_dot4c_i32_i8_e32 v51, v222, v2
	;; [unrolled: 1-line block ×8, first 2 shown]
	v_lshlrev_b32_e32 v1, 2, v0
	v_lshrrev_b32_e32 v46, 1, v0
	v_dot4c_i32_i8_e32 v49, v215, v11
	v_dot4c_i32_i8_e32 v51, v223, v3
	;; [unrolled: 1-line block ×8, first 2 shown]
	ds_read_b128 v[12:15], v1 offset:33280
	ds_read_b128 v[8:11], v1 offset:33296
	;; [unrolled: 1-line block ×4, first 2 shown]
	ds_read_b64 v[46:47], v46 offset:43584
	v_mov_b32_e32 v66, 0
	s_waitcnt lgkmcnt(4)
	v_dot4c_i32_i8_e32 v66, v208, v12
	v_mov_b32_e32 v254, 0
	v_dot4c_i32_i8_e32 v66, v209, v13
	s_waitcnt lgkmcnt(2)
	v_dot4c_i32_i8_e32 v254, v190, v4
	v_dot4c_i32_i8_e32 v66, v210, v14
	;; [unrolled: 1-line block ×8, first 2 shown]
	s_waitcnt lgkmcnt(1)
	v_dot4c_i32_i8_e32 v254, v220, v0
	v_dot4c_i32_i8_e32 v66, v214, v10
	;; [unrolled: 1-line block ×6, first 2 shown]
	s_waitcnt lgkmcnt(0)
	v_cvt_f32_f16_e32 v231, v46
	v_cvt_f32_f16_sdwa v233, v46 dst_sel:DWORD dst_unused:UNUSED_PAD src0_sel:WORD_1
	v_cvt_f32_f16_sdwa v232, v224 dst_sel:DWORD dst_unused:UNUSED_PAD src0_sel:WORD_1
	v_cvt_f32_f16_e32 v227, v47
	v_cvt_f32_f16_sdwa v229, v47 dst_sel:DWORD dst_unused:UNUSED_PAD src0_sel:WORD_1
	v_mul_lo_u32 v46, v49, v249
	v_mul_lo_u32 v47, v66, v249
	v_cvt_f32_f16_e32 v230, v224
	v_cvt_f32_f16_sdwa v228, v225 dst_sel:DWORD dst_unused:UNUSED_PAD src0_sel:WORD_1
	v_cvt_f32_i32_e32 v47, v47
	v_cvt_f32_i32_e32 v46, v46
	v_mul_lo_u32 v49, v51, v252
	v_mul_lo_u32 v51, v254, v252
	v_cvt_f32_f16_e32 v226, v225
	v_cvt_f32_i32_e32 v225, v51
	v_cvt_f32_i32_e32 v224, v49
	v_pk_fma_f32 v[66:67], v[170:171], v[232:233], 0 op_sel_hi:[0,1,0]
	v_pk_fma_f32 v[46:47], v[46:47], v[230:231], 0 op_sel_hi:[1,1,0]
	;; [unrolled: 1-line block ×3, first 2 shown]
	v_pk_fma_f32 v[46:47], v[224:225], v[226:227], v[46:47]
	v_pk_mul_f32 v[66:67], v[66:67], v[130:131]
	v_pk_fma_f32 v[46:47], v[46:47], v[128:129], v[66:67] neg_lo:[0,0,1] neg_hi:[0,0,1]
	v_pk_add_f32 v[38:39], v[38:39], v[46:47]
	v_mov_b32_e32 v46, 0
	v_dot4c_i32_i8_e32 v46, v160, v12
	v_mov_b32_e32 v49, 0
	v_dot4c_i32_i8_e32 v46, v161, v13
	v_dot4c_i32_i8_e32 v49, v168, v4
	;; [unrolled: 1-line block ×15, first 2 shown]
	v_mul_lo_u32 v51, v62, v195
	v_mul_lo_u32 v46, v46, v195
	v_cvt_f32_i32_e32 v47, v46
	v_cvt_f32_i32_e32 v46, v51
	v_mul_lo_u32 v51, v70, v251
	v_mul_lo_u32 v49, v49, v251
	v_cvt_f32_i32_e32 v225, v49
	v_cvt_f32_i32_e32 v224, v51
	v_pk_fma_f32 v[66:67], v[164:165], v[232:233], 0 op_sel_hi:[0,1,0]
	v_pk_fma_f32 v[46:47], v[46:47], v[230:231], 0 op_sel_hi:[1,1,0]
	;; [unrolled: 1-line block ×3, first 2 shown]
	v_pk_fma_f32 v[46:47], v[224:225], v[226:227], v[46:47]
	v_pk_mul_f32 v[66:67], v[66:67], v[134:135]
	v_pk_fma_f32 v[46:47], v[46:47], v[132:133], v[66:67] neg_lo:[0,0,1] neg_hi:[0,0,1]
	v_pk_add_f32 v[36:37], v[36:37], v[46:47]
	v_mov_b32_e32 v46, 0
	v_dot4c_i32_i8_e32 v46, v158, v12
	v_mov_b32_e32 v49, 0
	v_dot4c_i32_i8_e32 v46, v159, v13
	v_dot4c_i32_i8_e32 v49, v166, v4
	;; [unrolled: 1-line block ×15, first 2 shown]
	v_mul_lo_u32 v51, v74, v171
	v_mul_lo_u32 v46, v46, v171
	v_cvt_f32_i32_e32 v47, v46
	v_cvt_f32_i32_e32 v46, v51
	v_mul_lo_u32 v51, v78, v250
	v_mul_lo_u32 v49, v49, v250
	v_cvt_f32_i32_e32 v225, v49
	v_cvt_f32_i32_e32 v224, v51
	v_pk_fma_f32 v[66:67], v[162:163], v[232:233], 0 op_sel_hi:[0,1,0]
	v_pk_fma_f32 v[46:47], v[46:47], v[230:231], 0 op_sel_hi:[1,1,0]
	v_pk_fma_f32 v[66:67], v[192:193], v[228:229], v[66:67] op_sel_hi:[0,1,1]
	v_pk_fma_f32 v[46:47], v[224:225], v[226:227], v[46:47]
	v_pk_mul_f32 v[66:67], v[66:67], v[138:139]
	v_pk_fma_f32 v[46:47], v[46:47], v[136:137], v[66:67] neg_lo:[0,0,1] neg_hi:[0,0,1]
	v_pk_add_f32 v[34:35], v[34:35], v[46:47]
	v_mov_b32_e32 v46, 0
	v_dot4c_i32_i8_e32 v46, v156, v12
	v_dot4c_i32_i8_e32 v46, v157, v13
	;; [unrolled: 1-line block ×5, first 2 shown]
	v_mov_b32_e32 v8, 0
	v_dot4c_i32_i8_e32 v8, v154, v4
	v_dot4c_i32_i8_e32 v8, v155, v5
	;; [unrolled: 1-line block ×11, first 2 shown]
	v_mul_lo_u32 v0, v82, v165
	v_mul_lo_u32 v1, v46, v165
	v_cvt_f32_i32_e32 v1, v1
	v_cvt_f32_i32_e32 v0, v0
	v_mul_lo_u32 v4, v253, v163
	v_mul_lo_u32 v5, v8, v163
	v_cvt_f32_i32_e32 v5, v5
	v_cvt_f32_i32_e32 v4, v4
	v_pk_fma_f32 v[2:3], v[146:147], v[232:233], 0 op_sel_hi:[0,1,0]
	v_pk_fma_f32 v[0:1], v[0:1], v[230:231], 0 op_sel_hi:[1,1,0]
	;; [unrolled: 1-line block ×3, first 2 shown]
	v_pk_fma_f32 v[0:1], v[4:5], v[226:227], v[0:1]
	v_pk_mul_f32 v[2:3], v[2:3], v[142:143]
	v_pk_fma_f32 v[0:1], v[0:1], v[140:141], v[2:3] neg_lo:[0,0,1] neg_hi:[0,0,1]
	v_pk_add_f32 v[32:33], v[32:33], v[0:1]
	v_or_b32_e32 v0, s5, v97
	v_lshlrev_b32_e32 v1, 2, v0
	v_lshrrev_b32_e32 v46, 1, v0
	ds_read_b128 v[12:15], v1 offset:33280
	ds_read_b128 v[8:11], v1 offset:33296
	;; [unrolled: 1-line block ×4, first 2 shown]
	ds_read_b64 v[224:225], v46 offset:43584
	v_mov_b32_e32 v49, 0
	v_mov_b32_e32 v51, 0
	;; [unrolled: 1-line block ×8, first 2 shown]
	s_waitcnt lgkmcnt(4)
	v_dot4c_i32_i8_e32 v49, v208, v12
	s_waitcnt lgkmcnt(2)
	v_dot4c_i32_i8_e32 v51, v190, v4
	v_dot4c_i32_i8_e32 v62, v160, v12
	;; [unrolled: 1-line block ×32, first 2 shown]
	s_waitcnt lgkmcnt(1)
	v_dot4c_i32_i8_e32 v51, v220, v0
	v_dot4c_i32_i8_e32 v62, v184, v8
	v_dot4c_i32_i8_e32 v70, v202, v0
	v_dot4c_i32_i8_e32 v74, v180, v8
	v_dot4c_i32_i8_e32 v78, v200, v0
	v_dot4c_i32_i8_e32 v82, v176, v8
	v_dot4c_i32_i8_e32 v253, v150, v0
	v_dot4c_i32_i8_e32 v49, v213, v9
	v_dot4c_i32_i8_e32 v51, v221, v1
	v_dot4c_i32_i8_e32 v62, v185, v9
	v_dot4c_i32_i8_e32 v70, v203, v1
	v_dot4c_i32_i8_e32 v74, v181, v9
	v_dot4c_i32_i8_e32 v78, v201, v1
	v_dot4c_i32_i8_e32 v82, v177, v9
	v_dot4c_i32_i8_e32 v253, v151, v1
	v_or_b32_e32 v0, s5, v103
	v_dot4c_i32_i8_e32 v49, v214, v10
	v_dot4c_i32_i8_e32 v51, v222, v2
	;; [unrolled: 1-line block ×8, first 2 shown]
	v_lshlrev_b32_e32 v1, 2, v0
	v_lshrrev_b32_e32 v46, 1, v0
	v_dot4c_i32_i8_e32 v49, v215, v11
	v_dot4c_i32_i8_e32 v51, v223, v3
	;; [unrolled: 1-line block ×8, first 2 shown]
	ds_read_b128 v[12:15], v1 offset:33280
	ds_read_b128 v[8:11], v1 offset:33296
	;; [unrolled: 1-line block ×4, first 2 shown]
	ds_read_b64 v[46:47], v46 offset:43584
	v_mov_b32_e32 v66, 0
	s_waitcnt lgkmcnt(4)
	v_dot4c_i32_i8_e32 v66, v208, v12
	v_mov_b32_e32 v254, 0
	v_dot4c_i32_i8_e32 v66, v209, v13
	s_waitcnt lgkmcnt(2)
	v_dot4c_i32_i8_e32 v254, v190, v4
	v_dot4c_i32_i8_e32 v66, v210, v14
	;; [unrolled: 1-line block ×8, first 2 shown]
	s_waitcnt lgkmcnt(1)
	v_dot4c_i32_i8_e32 v254, v220, v0
	v_dot4c_i32_i8_e32 v66, v214, v10
	v_dot4c_i32_i8_e32 v254, v221, v1
	v_dot4c_i32_i8_e32 v66, v215, v11
	v_dot4c_i32_i8_e32 v254, v222, v2
	v_dot4c_i32_i8_e32 v254, v223, v3
	s_waitcnt lgkmcnt(0)
	v_cvt_f32_f16_e32 v231, v46
	v_cvt_f32_f16_sdwa v233, v46 dst_sel:DWORD dst_unused:UNUSED_PAD src0_sel:WORD_1
	v_cvt_f32_f16_sdwa v232, v224 dst_sel:DWORD dst_unused:UNUSED_PAD src0_sel:WORD_1
	v_cvt_f32_f16_e32 v227, v47
	v_cvt_f32_f16_sdwa v229, v47 dst_sel:DWORD dst_unused:UNUSED_PAD src0_sel:WORD_1
	v_mul_lo_u32 v46, v49, v249
	v_mul_lo_u32 v47, v66, v249
	v_cvt_f32_f16_e32 v230, v224
	v_cvt_f32_f16_sdwa v228, v225 dst_sel:DWORD dst_unused:UNUSED_PAD src0_sel:WORD_1
	v_cvt_f32_i32_e32 v47, v47
	v_cvt_f32_i32_e32 v46, v46
	v_mul_lo_u32 v49, v51, v252
	v_mul_lo_u32 v51, v254, v252
	v_cvt_f32_f16_e32 v226, v225
	v_cvt_f32_i32_e32 v225, v51
	v_cvt_f32_i32_e32 v224, v49
	v_pk_fma_f32 v[66:67], v[170:171], v[232:233], 0 op_sel_hi:[0,1,0]
	v_pk_fma_f32 v[46:47], v[46:47], v[230:231], 0 op_sel_hi:[1,1,0]
	;; [unrolled: 1-line block ×3, first 2 shown]
	v_pk_fma_f32 v[46:47], v[224:225], v[226:227], v[46:47]
	v_pk_mul_f32 v[66:67], v[66:67], v[130:131]
	v_pk_fma_f32 v[46:47], v[46:47], v[128:129], v[66:67] neg_lo:[0,0,1] neg_hi:[0,0,1]
	v_pk_add_f32 v[30:31], v[30:31], v[46:47]
	v_mov_b32_e32 v46, 0
	v_dot4c_i32_i8_e32 v46, v160, v12
	v_mov_b32_e32 v49, 0
	v_dot4c_i32_i8_e32 v46, v161, v13
	v_dot4c_i32_i8_e32 v49, v168, v4
	;; [unrolled: 1-line block ×15, first 2 shown]
	v_mul_lo_u32 v51, v62, v195
	v_mul_lo_u32 v46, v46, v195
	v_cvt_f32_i32_e32 v47, v46
	v_cvt_f32_i32_e32 v46, v51
	v_mul_lo_u32 v51, v70, v251
	v_mul_lo_u32 v49, v49, v251
	v_cvt_f32_i32_e32 v225, v49
	v_cvt_f32_i32_e32 v224, v51
	v_pk_fma_f32 v[66:67], v[164:165], v[232:233], 0 op_sel_hi:[0,1,0]
	v_pk_fma_f32 v[46:47], v[46:47], v[230:231], 0 op_sel_hi:[1,1,0]
	;; [unrolled: 1-line block ×3, first 2 shown]
	v_pk_fma_f32 v[46:47], v[224:225], v[226:227], v[46:47]
	v_pk_mul_f32 v[66:67], v[66:67], v[134:135]
	v_pk_fma_f32 v[46:47], v[46:47], v[132:133], v[66:67] neg_lo:[0,0,1] neg_hi:[0,0,1]
	v_pk_add_f32 v[28:29], v[28:29], v[46:47]
	v_mov_b32_e32 v46, 0
	v_dot4c_i32_i8_e32 v46, v158, v12
	v_mov_b32_e32 v49, 0
	v_dot4c_i32_i8_e32 v46, v159, v13
	v_dot4c_i32_i8_e32 v49, v166, v4
	;; [unrolled: 1-line block ×15, first 2 shown]
	v_mul_lo_u32 v51, v74, v171
	v_mul_lo_u32 v46, v46, v171
	v_cvt_f32_i32_e32 v47, v46
	v_cvt_f32_i32_e32 v46, v51
	v_mul_lo_u32 v51, v78, v250
	v_mul_lo_u32 v49, v49, v250
	v_cvt_f32_i32_e32 v225, v49
	v_cvt_f32_i32_e32 v224, v51
	v_pk_fma_f32 v[66:67], v[162:163], v[232:233], 0 op_sel_hi:[0,1,0]
	v_pk_fma_f32 v[46:47], v[46:47], v[230:231], 0 op_sel_hi:[1,1,0]
	;; [unrolled: 1-line block ×3, first 2 shown]
	v_pk_fma_f32 v[46:47], v[224:225], v[226:227], v[46:47]
	v_pk_mul_f32 v[66:67], v[66:67], v[138:139]
	v_pk_fma_f32 v[46:47], v[46:47], v[136:137], v[66:67] neg_lo:[0,0,1] neg_hi:[0,0,1]
	v_pk_add_f32 v[26:27], v[26:27], v[46:47]
	v_mov_b32_e32 v46, 0
	v_dot4c_i32_i8_e32 v46, v156, v12
	v_dot4c_i32_i8_e32 v46, v157, v13
	;; [unrolled: 1-line block ×5, first 2 shown]
	v_mov_b32_e32 v8, 0
	v_dot4c_i32_i8_e32 v8, v154, v4
	v_dot4c_i32_i8_e32 v8, v155, v5
	;; [unrolled: 1-line block ×11, first 2 shown]
	v_mul_lo_u32 v0, v82, v165
	v_mul_lo_u32 v1, v46, v165
	v_cvt_f32_i32_e32 v1, v1
	v_cvt_f32_i32_e32 v0, v0
	v_mul_lo_u32 v4, v253, v163
	v_mul_lo_u32 v5, v8, v163
	v_cvt_f32_i32_e32 v5, v5
	v_cvt_f32_i32_e32 v4, v4
	v_pk_fma_f32 v[2:3], v[146:147], v[232:233], 0 op_sel_hi:[0,1,0]
	v_pk_fma_f32 v[0:1], v[0:1], v[230:231], 0 op_sel_hi:[1,1,0]
	;; [unrolled: 1-line block ×3, first 2 shown]
	v_pk_fma_f32 v[0:1], v[4:5], v[226:227], v[0:1]
	v_pk_mul_f32 v[2:3], v[2:3], v[142:143]
	v_pk_fma_f32 v[0:1], v[0:1], v[140:141], v[2:3] neg_lo:[0,0,1] neg_hi:[0,0,1]
	v_pk_add_f32 v[24:25], v[24:25], v[0:1]
	v_or_b32_e32 v0, s5, v109
	v_lshlrev_b32_e32 v1, 2, v0
	v_lshrrev_b32_e32 v46, 1, v0
	ds_read_b128 v[12:15], v1 offset:33280
	ds_read_b128 v[8:11], v1 offset:33296
	;; [unrolled: 1-line block ×4, first 2 shown]
	ds_read_b64 v[224:225], v46 offset:43584
	v_mov_b32_e32 v49, 0
	v_mov_b32_e32 v51, 0
	;; [unrolled: 1-line block ×8, first 2 shown]
	s_waitcnt lgkmcnt(4)
	v_dot4c_i32_i8_e32 v49, v208, v12
	s_waitcnt lgkmcnt(2)
	v_dot4c_i32_i8_e32 v51, v190, v4
	v_dot4c_i32_i8_e32 v62, v160, v12
	;; [unrolled: 1-line block ×32, first 2 shown]
	s_waitcnt lgkmcnt(1)
	v_dot4c_i32_i8_e32 v51, v220, v0
	v_dot4c_i32_i8_e32 v62, v184, v8
	;; [unrolled: 1-line block ×15, first 2 shown]
	v_or_b32_e32 v0, s5, v115
	v_dot4c_i32_i8_e32 v49, v214, v10
	v_dot4c_i32_i8_e32 v51, v222, v2
	;; [unrolled: 1-line block ×8, first 2 shown]
	v_lshlrev_b32_e32 v1, 2, v0
	v_lshrrev_b32_e32 v46, 1, v0
	v_dot4c_i32_i8_e32 v49, v215, v11
	v_dot4c_i32_i8_e32 v51, v223, v3
	;; [unrolled: 1-line block ×8, first 2 shown]
	ds_read_b128 v[12:15], v1 offset:33280
	ds_read_b128 v[8:11], v1 offset:33296
	;; [unrolled: 1-line block ×4, first 2 shown]
	ds_read_b64 v[46:47], v46 offset:43584
	v_mov_b32_e32 v66, 0
	s_waitcnt lgkmcnt(4)
	v_dot4c_i32_i8_e32 v66, v208, v12
	v_mov_b32_e32 v82, 0
	v_dot4c_i32_i8_e32 v66, v209, v13
	s_waitcnt lgkmcnt(2)
	v_dot4c_i32_i8_e32 v82, v190, v4
	v_dot4c_i32_i8_e32 v66, v210, v14
	;; [unrolled: 1-line block ×8, first 2 shown]
	s_waitcnt lgkmcnt(1)
	v_dot4c_i32_i8_e32 v82, v220, v0
	v_dot4c_i32_i8_e32 v66, v214, v10
	;; [unrolled: 1-line block ×6, first 2 shown]
	s_waitcnt lgkmcnt(0)
	v_cvt_f32_f16_e32 v213, v46
	v_cvt_f32_f16_sdwa v211, v46 dst_sel:DWORD dst_unused:UNUSED_PAD src0_sel:WORD_1
	v_cvt_f32_f16_sdwa v210, v224 dst_sel:DWORD dst_unused:UNUSED_PAD src0_sel:WORD_1
	v_cvt_f32_f16_e32 v209, v47
	v_cvt_f32_f16_sdwa v191, v47 dst_sel:DWORD dst_unused:UNUSED_PAD src0_sel:WORD_1
	v_mul_lo_u32 v46, v49, v249
	v_mul_lo_u32 v47, v66, v249
	v_cvt_f32_f16_e32 v212, v224
	v_cvt_f32_f16_sdwa v190, v225 dst_sel:DWORD dst_unused:UNUSED_PAD src0_sel:WORD_1
	v_cvt_f32_i32_e32 v47, v47
	v_cvt_f32_i32_e32 v46, v46
	v_mul_lo_u32 v49, v51, v252
	v_mul_lo_u32 v51, v82, v252
	v_cvt_f32_f16_e32 v208, v225
	v_cvt_f32_i32_e32 v215, v51
	v_cvt_f32_i32_e32 v214, v49
	v_pk_fma_f32 v[66:67], v[170:171], v[210:211], 0 op_sel_hi:[0,1,0]
	v_pk_fma_f32 v[46:47], v[46:47], v[212:213], 0 op_sel_hi:[1,1,0]
	;; [unrolled: 1-line block ×3, first 2 shown]
	v_pk_fma_f32 v[46:47], v[214:215], v[208:209], v[46:47]
	v_pk_mul_f32 v[66:67], v[66:67], v[130:131]
	v_pk_fma_f32 v[46:47], v[46:47], v[128:129], v[66:67] neg_lo:[0,0,1] neg_hi:[0,0,1]
	v_pk_add_f32 v[22:23], v[22:23], v[46:47]
	v_mov_b32_e32 v46, 0
	v_dot4c_i32_i8_e32 v46, v160, v12
	v_mov_b32_e32 v49, 0
	v_dot4c_i32_i8_e32 v46, v161, v13
	v_dot4c_i32_i8_e32 v49, v168, v4
	;; [unrolled: 1-line block ×15, first 2 shown]
	v_mul_lo_u32 v51, v62, v195
	v_mul_lo_u32 v46, v46, v195
	v_cvt_f32_i32_e32 v47, v46
	v_cvt_f32_i32_e32 v46, v51
	v_mul_lo_u32 v51, v70, v251
	v_mul_lo_u32 v49, v49, v251
	v_cvt_f32_i32_e32 v161, v49
	v_cvt_f32_i32_e32 v160, v51
	v_pk_fma_f32 v[66:67], v[164:165], v[210:211], 0 op_sel_hi:[0,1,0]
	v_pk_fma_f32 v[46:47], v[46:47], v[212:213], 0 op_sel_hi:[1,1,0]
	;; [unrolled: 1-line block ×3, first 2 shown]
	v_pk_fma_f32 v[46:47], v[160:161], v[208:209], v[46:47]
	v_pk_mul_f32 v[66:67], v[66:67], v[134:135]
	v_pk_fma_f32 v[46:47], v[46:47], v[132:133], v[66:67] neg_lo:[0,0,1] neg_hi:[0,0,1]
	v_pk_add_f32 v[20:21], v[20:21], v[46:47]
	v_mov_b32_e32 v46, 0
	v_dot4c_i32_i8_e32 v46, v158, v12
	v_mov_b32_e32 v49, 0
	v_dot4c_i32_i8_e32 v46, v159, v13
	v_dot4c_i32_i8_e32 v49, v166, v4
	v_dot4c_i32_i8_e32 v46, v174, v14
	v_dot4c_i32_i8_e32 v49, v167, v5
	v_dot4c_i32_i8_e32 v46, v175, v15
	v_dot4c_i32_i8_e32 v49, v196, v6
	v_dot4c_i32_i8_e32 v46, v180, v8
	v_dot4c_i32_i8_e32 v49, v197, v7
	v_dot4c_i32_i8_e32 v46, v181, v9
	v_dot4c_i32_i8_e32 v49, v200, v0
	v_dot4c_i32_i8_e32 v46, v186, v10
	v_dot4c_i32_i8_e32 v49, v201, v1
	v_dot4c_i32_i8_e32 v46, v187, v11
	v_dot4c_i32_i8_e32 v49, v204, v2
	v_dot4c_i32_i8_e32 v49, v205, v3
	v_mul_lo_u32 v51, v74, v171
	v_mul_lo_u32 v46, v46, v171
	v_cvt_f32_i32_e32 v47, v46
	v_cvt_f32_i32_e32 v46, v51
	v_mul_lo_u32 v51, v78, v250
	v_mul_lo_u32 v49, v49, v250
	v_cvt_f32_i32_e32 v159, v49
	v_cvt_f32_i32_e32 v158, v51
	v_pk_fma_f32 v[46:47], v[46:47], v[212:213], 0 op_sel_hi:[1,1,0]
	v_pk_fma_f32 v[66:67], v[162:163], v[210:211], 0 op_sel_hi:[0,1,0]
	;; [unrolled: 1-line block ×3, first 2 shown]
	v_pk_fma_f32 v[46:47], v[158:159], v[208:209], v[46:47]
	v_mov_b32_e32 v158, 0
	v_dot4c_i32_i8_e32 v158, v156, v12
	v_dot4c_i32_i8_e32 v158, v157, v13
	;; [unrolled: 1-line block ×5, first 2 shown]
	v_mov_b32_e32 v8, 0
	v_dot4c_i32_i8_e32 v8, v154, v4
	v_dot4c_i32_i8_e32 v8, v155, v5
	v_dot4c_i32_i8_e32 v8, v148, v6
	v_dot4c_i32_i8_e32 v8, v149, v7
	v_dot4c_i32_i8_e32 v158, v177, v9
	v_dot4c_i32_i8_e32 v8, v150, v0
	v_dot4c_i32_i8_e32 v158, v182, v10
	v_dot4c_i32_i8_e32 v8, v151, v1
	v_dot4c_i32_i8_e32 v158, v183, v11
	v_dot4c_i32_i8_e32 v8, v152, v2
	v_dot4c_i32_i8_e32 v8, v153, v3
	v_mul_lo_u32 v0, v227, v165
	v_mul_lo_u32 v1, v158, v165
	v_cvt_f32_i32_e32 v1, v1
	v_cvt_f32_i32_e32 v0, v0
	v_mul_lo_u32 v4, v226, v163
	v_mul_lo_u32 v5, v8, v163
	v_cvt_f32_i32_e32 v5, v5
	v_cvt_f32_i32_e32 v4, v4
	v_pk_fma_f32 v[2:3], v[146:147], v[210:211], 0 op_sel_hi:[0,1,0]
	v_pk_fma_f32 v[0:1], v[0:1], v[212:213], 0 op_sel_hi:[1,1,0]
	;; [unrolled: 1-line block ×3, first 2 shown]
	v_pk_mul_f32 v[66:67], v[66:67], v[138:139]
	v_pk_fma_f32 v[0:1], v[4:5], v[208:209], v[0:1]
	v_pk_mul_f32 v[2:3], v[2:3], v[142:143]
	v_pk_fma_f32 v[46:47], v[46:47], v[136:137], v[66:67] neg_lo:[0,0,1] neg_hi:[0,0,1]
	v_pk_fma_f32 v[0:1], v[0:1], v[140:141], v[2:3] neg_lo:[0,0,1] neg_hi:[0,0,1]
	s_add_i32 s5, s4, 8
	v_pk_add_f32 v[18:19], v[18:19], v[46:47]
	v_pk_add_f32 v[16:17], v[16:17], v[0:1]
	s_cmp_lt_u32 s4, 24
	s_mov_b32 s4, s5
	s_cbranch_scc1 .LBB154_8
; %bb.9:                                ;   in Loop: Header=BB154_5 Depth=1
	s_add_i32 s0, s0, 1
	s_cmp_eq_u32 s0, s7
	s_barrier
	s_cbranch_scc0 .LBB154_5
; %bb.10:
	buffer_load_dword v1, off, s[24:27], 0 offset:72 ; 4-byte Folded Reload
	buffer_load_dword v2, off, s[24:27], 0 offset:76 ; 4-byte Folded Reload
.LBB154_11:
	s_waitcnt vmcnt(0)
	v_cmp_gt_u32_e32 vcc, s10, v2
	s_and_saveexec_b64 s[0:1], vcc
	s_cbranch_execz .LBB154_62
; %bb.12:
	v_add_u32_e32 v0, s6, v54
	v_mul_lo_u32 v5, v2, s14
	v_cmp_gt_u32_e32 vcc, s14, v0
	s_and_saveexec_b64 s[2:3], vcc
	s_cbranch_execz .LBB154_14
; %bb.13:
	v_add_u32_e32 v2, v0, v5
	v_mov_b32_e32 v3, 0
	v_cvt_f16_f32_e32 v6, v52
	v_lshlrev_b64 v[2:3], 1, v[2:3]
	s_waitcnt lgkmcnt(0)
	v_mov_b32_e32 v4, s13
	v_add_co_u32_e64 v2, s[0:1], s12, v2
	v_addc_co_u32_e64 v3, s[0:1], v4, v3, s[0:1]
	global_store_short v[2:3], v6, off
.LBB154_14:
	s_or_b64 exec, exec, s[2:3]
	v_add_u32_e32 v2, 32, v0
	v_cmp_gt_u32_e64 s[0:1], s14, v2
	s_and_saveexec_b64 s[4:5], s[0:1]
	s_cbranch_execz .LBB154_16
; %bb.15:
	v_add_u32_e32 v6, v2, v5
	v_mov_b32_e32 v7, 0
	v_cvt_f16_f32_e32 v4, v44
	v_lshlrev_b64 v[6:7], 1, v[6:7]
	s_waitcnt lgkmcnt(0)
	v_mov_b32_e32 v3, s13
	v_add_co_u32_e64 v6, s[2:3], s12, v6
	v_addc_co_u32_e64 v7, s[2:3], v3, v7, s[2:3]
	global_store_short v[6:7], v4, off
.LBB154_16:
	s_or_b64 exec, exec, s[4:5]
	v_add_u32_e32 v3, 64, v0
	v_cmp_gt_u32_e64 s[2:3], s14, v3
	s_and_saveexec_b64 s[6:7], s[2:3]
	;; [unrolled: 16-line block ×3, first 2 shown]
	s_cbranch_execz .LBB154_20
; %bb.19:
	v_add_u32_e32 v6, v4, v5
	v_mov_b32_e32 v7, 0
	v_cvt_f16_f32_e32 v8, v40
	v_lshlrev_b64 v[6:7], 1, v[6:7]
	s_waitcnt lgkmcnt(0)
	v_mov_b32_e32 v5, s13
	v_add_co_u32_e64 v6, s[6:7], s12, v6
	v_addc_co_u32_e64 v7, s[6:7], v5, v7, s[6:7]
	global_store_short v[6:7], v8, off
.LBB154_20:
	s_or_b64 exec, exec, s[8:9]
	v_add3_u32 v5, v1, s15, 8
	v_cmp_gt_u32_e64 s[6:7], s10, v5
	s_and_b64 exec, exec, s[6:7]
	s_cbranch_execz .LBB154_62
; %bb.21:
	v_mul_lo_u32 v5, v5, s14
	s_and_saveexec_b64 s[8:9], vcc
	s_cbranch_execnz .LBB154_63
; %bb.22:
	s_or_b64 exec, exec, s[8:9]
	s_and_saveexec_b64 s[8:9], s[0:1]
	s_cbranch_execnz .LBB154_64
.LBB154_23:
	s_or_b64 exec, exec, s[8:9]
	s_and_saveexec_b64 s[8:9], s[2:3]
	s_cbranch_execnz .LBB154_65
.LBB154_24:
	s_or_b64 exec, exec, s[8:9]
	s_and_saveexec_b64 s[8:9], s[4:5]
	s_cbranch_execz .LBB154_26
.LBB154_25:
	v_add_u32_e32 v6, v5, v4
	v_mov_b32_e32 v7, 0
	v_cvt_f16_f32_e32 v8, v41
	v_lshlrev_b64 v[6:7], 1, v[6:7]
	s_waitcnt lgkmcnt(0)
	v_mov_b32_e32 v5, s13
	v_add_co_u32_e64 v6, s[6:7], s12, v6
	v_addc_co_u32_e64 v7, s[6:7], v5, v7, s[6:7]
	global_store_short v[6:7], v8, off
.LBB154_26:
	s_or_b64 exec, exec, s[8:9]
	v_add3_u32 v5, v1, s15, 16
	v_cmp_gt_u32_e64 s[6:7], s10, v5
	s_and_b64 exec, exec, s[6:7]
	s_cbranch_execz .LBB154_62
; %bb.27:
	v_mul_lo_u32 v5, v5, s14
	s_and_saveexec_b64 s[8:9], vcc
	s_cbranch_execnz .LBB154_66
; %bb.28:
	s_or_b64 exec, exec, s[8:9]
	s_and_saveexec_b64 s[8:9], s[0:1]
	s_cbranch_execnz .LBB154_67
.LBB154_29:
	s_or_b64 exec, exec, s[8:9]
	s_and_saveexec_b64 s[8:9], s[2:3]
	s_cbranch_execnz .LBB154_68
.LBB154_30:
	s_or_b64 exec, exec, s[8:9]
	s_and_saveexec_b64 s[8:9], s[4:5]
	s_cbranch_execz .LBB154_32
.LBB154_31:
	v_add_u32_e32 v6, v5, v4
	v_mov_b32_e32 v7, 0
	v_cvt_f16_f32_e32 v8, v32
	v_lshlrev_b64 v[6:7], 1, v[6:7]
	s_waitcnt lgkmcnt(0)
	v_mov_b32_e32 v5, s13
	v_add_co_u32_e64 v6, s[6:7], s12, v6
	v_addc_co_u32_e64 v7, s[6:7], v5, v7, s[6:7]
	global_store_short v[6:7], v8, off
.LBB154_32:
	s_or_b64 exec, exec, s[8:9]
	v_add3_u32 v5, v1, s15, 24
	v_cmp_gt_u32_e64 s[6:7], s10, v5
	s_and_b64 exec, exec, s[6:7]
	s_cbranch_execz .LBB154_62
; %bb.33:
	v_mul_lo_u32 v5, v5, s14
	s_and_saveexec_b64 s[8:9], vcc
	s_cbranch_execnz .LBB154_69
; %bb.34:
	s_or_b64 exec, exec, s[8:9]
	s_and_saveexec_b64 s[8:9], s[0:1]
	s_cbranch_execnz .LBB154_70
.LBB154_35:
	s_or_b64 exec, exec, s[8:9]
	s_and_saveexec_b64 s[8:9], s[2:3]
	s_cbranch_execnz .LBB154_71
.LBB154_36:
	s_or_b64 exec, exec, s[8:9]
	s_and_saveexec_b64 s[8:9], s[4:5]
	s_cbranch_execz .LBB154_38
.LBB154_37:
	v_add_u32_e32 v6, v5, v4
	v_mov_b32_e32 v7, 0
	v_cvt_f16_f32_e32 v8, v33
	v_lshlrev_b64 v[6:7], 1, v[6:7]
	s_waitcnt lgkmcnt(0)
	v_mov_b32_e32 v5, s13
	v_add_co_u32_e64 v6, s[6:7], s12, v6
	v_addc_co_u32_e64 v7, s[6:7], v5, v7, s[6:7]
	global_store_short v[6:7], v8, off
.LBB154_38:
	s_or_b64 exec, exec, s[8:9]
	v_add3_u32 v5, v1, s15, 32
	v_cmp_gt_u32_e64 s[6:7], s10, v5
	s_and_b64 exec, exec, s[6:7]
	s_cbranch_execz .LBB154_62
; %bb.39:
	v_mul_lo_u32 v5, v5, s14
	s_and_saveexec_b64 s[8:9], vcc
	s_cbranch_execnz .LBB154_72
; %bb.40:
	s_or_b64 exec, exec, s[8:9]
	s_and_saveexec_b64 s[8:9], s[0:1]
	s_cbranch_execnz .LBB154_73
.LBB154_41:
	s_or_b64 exec, exec, s[8:9]
	s_and_saveexec_b64 s[8:9], s[2:3]
	s_cbranch_execnz .LBB154_74
.LBB154_42:
	s_or_b64 exec, exec, s[8:9]
	s_and_saveexec_b64 s[8:9], s[4:5]
	s_cbranch_execz .LBB154_44
.LBB154_43:
	v_add_u32_e32 v6, v5, v4
	v_mov_b32_e32 v7, 0
	v_cvt_f16_f32_e32 v8, v24
	v_lshlrev_b64 v[6:7], 1, v[6:7]
	s_waitcnt lgkmcnt(0)
	v_mov_b32_e32 v5, s13
	v_add_co_u32_e64 v6, s[6:7], s12, v6
	v_addc_co_u32_e64 v7, s[6:7], v5, v7, s[6:7]
	global_store_short v[6:7], v8, off
.LBB154_44:
	s_or_b64 exec, exec, s[8:9]
	v_add3_u32 v5, v1, s15, 40
	v_cmp_gt_u32_e64 s[6:7], s10, v5
	s_and_b64 exec, exec, s[6:7]
	s_cbranch_execz .LBB154_62
; %bb.45:
	v_mul_lo_u32 v5, v5, s14
	s_and_saveexec_b64 s[8:9], vcc
	s_cbranch_execnz .LBB154_75
; %bb.46:
	s_or_b64 exec, exec, s[8:9]
	s_and_saveexec_b64 s[8:9], s[0:1]
	s_cbranch_execnz .LBB154_76
.LBB154_47:
	s_or_b64 exec, exec, s[8:9]
	s_and_saveexec_b64 s[8:9], s[2:3]
	s_cbranch_execnz .LBB154_77
.LBB154_48:
	s_or_b64 exec, exec, s[8:9]
	s_and_saveexec_b64 s[8:9], s[4:5]
	s_cbranch_execz .LBB154_50
.LBB154_49:
	v_add_u32_e32 v6, v5, v4
	v_mov_b32_e32 v7, 0
	v_cvt_f16_f32_e32 v8, v25
	v_lshlrev_b64 v[6:7], 1, v[6:7]
	s_waitcnt lgkmcnt(0)
	v_mov_b32_e32 v5, s13
	v_add_co_u32_e64 v6, s[6:7], s12, v6
	v_addc_co_u32_e64 v7, s[6:7], v5, v7, s[6:7]
	global_store_short v[6:7], v8, off
.LBB154_50:
	s_or_b64 exec, exec, s[8:9]
	v_add3_u32 v5, v1, s15, 48
	v_cmp_gt_u32_e64 s[6:7], s10, v5
	s_and_b64 exec, exec, s[6:7]
	s_cbranch_execz .LBB154_62
; %bb.51:
	v_mul_lo_u32 v5, v5, s14
	s_and_saveexec_b64 s[8:9], vcc
	s_cbranch_execnz .LBB154_78
; %bb.52:
	s_or_b64 exec, exec, s[8:9]
	s_and_saveexec_b64 s[8:9], s[0:1]
	s_cbranch_execnz .LBB154_79
.LBB154_53:
	s_or_b64 exec, exec, s[8:9]
	s_and_saveexec_b64 s[8:9], s[2:3]
	s_cbranch_execnz .LBB154_80
.LBB154_54:
	s_or_b64 exec, exec, s[8:9]
	s_and_saveexec_b64 s[8:9], s[4:5]
	s_cbranch_execz .LBB154_56
.LBB154_55:
	v_add_u32_e32 v6, v5, v4
	v_mov_b32_e32 v7, 0
	v_cvt_f16_f32_e32 v8, v16
	v_lshlrev_b64 v[6:7], 1, v[6:7]
	s_waitcnt lgkmcnt(0)
	v_mov_b32_e32 v5, s13
	v_add_co_u32_e64 v6, s[6:7], s12, v6
	v_addc_co_u32_e64 v7, s[6:7], v5, v7, s[6:7]
	global_store_short v[6:7], v8, off
.LBB154_56:
	s_or_b64 exec, exec, s[8:9]
	v_add3_u32 v1, v1, s15, 56
	v_cmp_gt_u32_e64 s[6:7], s10, v1
	s_and_b64 exec, exec, s[6:7]
	s_cbranch_execz .LBB154_62
; %bb.57:
	v_mul_lo_u32 v1, v1, s14
	s_and_saveexec_b64 s[6:7], vcc
	s_cbranch_execnz .LBB154_81
; %bb.58:
	s_or_b64 exec, exec, s[6:7]
	s_and_saveexec_b64 s[6:7], s[0:1]
	s_cbranch_execnz .LBB154_82
.LBB154_59:
	s_or_b64 exec, exec, s[6:7]
	s_and_saveexec_b64 s[0:1], s[2:3]
	s_cbranch_execnz .LBB154_83
.LBB154_60:
	s_or_b64 exec, exec, s[0:1]
	s_and_b64 exec, exec, s[4:5]
	s_cbranch_execz .LBB154_62
.LBB154_61:
	v_add_u32_e32 v0, v1, v4
	v_mov_b32_e32 v1, 0
	v_cvt_f16_f32_e32 v3, v17
	v_lshlrev_b64 v[0:1], 1, v[0:1]
	s_waitcnt lgkmcnt(0)
	v_mov_b32_e32 v2, s13
	v_add_co_u32_e32 v0, vcc, s12, v0
	v_addc_co_u32_e32 v1, vcc, v2, v1, vcc
	global_store_short v[0:1], v3, off
.LBB154_62:
	s_endpgm
.LBB154_63:
	v_add_u32_e32 v6, v5, v0
	v_mov_b32_e32 v7, 0
	v_cvt_f16_f32_e32 v9, v53
	v_lshlrev_b64 v[6:7], 1, v[6:7]
	s_waitcnt lgkmcnt(0)
	v_mov_b32_e32 v8, s13
	v_add_co_u32_e64 v6, s[6:7], s12, v6
	v_addc_co_u32_e64 v7, s[6:7], v8, v7, s[6:7]
	global_store_short v[6:7], v9, off
	s_or_b64 exec, exec, s[8:9]
	s_and_saveexec_b64 s[8:9], s[0:1]
	s_cbranch_execz .LBB154_23
.LBB154_64:
	v_add_u32_e32 v6, v5, v2
	v_mov_b32_e32 v7, 0
	v_cvt_f16_f32_e32 v9, v45
	v_lshlrev_b64 v[6:7], 1, v[6:7]
	s_waitcnt lgkmcnt(0)
	v_mov_b32_e32 v8, s13
	v_add_co_u32_e64 v6, s[6:7], s12, v6
	v_addc_co_u32_e64 v7, s[6:7], v8, v7, s[6:7]
	global_store_short v[6:7], v9, off
	s_or_b64 exec, exec, s[8:9]
	s_and_saveexec_b64 s[8:9], s[2:3]
	s_cbranch_execz .LBB154_24
.LBB154_65:
	v_add_u32_e32 v6, v5, v3
	v_mov_b32_e32 v7, 0
	v_cvt_f16_f32_e32 v9, v43
	v_lshlrev_b64 v[6:7], 1, v[6:7]
	s_waitcnt lgkmcnt(0)
	v_mov_b32_e32 v8, s13
	v_add_co_u32_e64 v6, s[6:7], s12, v6
	v_addc_co_u32_e64 v7, s[6:7], v8, v7, s[6:7]
	global_store_short v[6:7], v9, off
	s_or_b64 exec, exec, s[8:9]
	s_and_saveexec_b64 s[8:9], s[4:5]
	s_cbranch_execnz .LBB154_25
	s_branch .LBB154_26
.LBB154_66:
	v_add_u32_e32 v6, v5, v0
	v_mov_b32_e32 v7, 0
	v_cvt_f16_f32_e32 v9, v38
	v_lshlrev_b64 v[6:7], 1, v[6:7]
	s_waitcnt lgkmcnt(0)
	v_mov_b32_e32 v8, s13
	v_add_co_u32_e64 v6, s[6:7], s12, v6
	v_addc_co_u32_e64 v7, s[6:7], v8, v7, s[6:7]
	global_store_short v[6:7], v9, off
	s_or_b64 exec, exec, s[8:9]
	s_and_saveexec_b64 s[8:9], s[0:1]
	s_cbranch_execz .LBB154_29
.LBB154_67:
	v_add_u32_e32 v6, v5, v2
	v_mov_b32_e32 v7, 0
	v_cvt_f16_f32_e32 v9, v36
	v_lshlrev_b64 v[6:7], 1, v[6:7]
	s_waitcnt lgkmcnt(0)
	v_mov_b32_e32 v8, s13
	v_add_co_u32_e64 v6, s[6:7], s12, v6
	v_addc_co_u32_e64 v7, s[6:7], v8, v7, s[6:7]
	global_store_short v[6:7], v9, off
	s_or_b64 exec, exec, s[8:9]
	s_and_saveexec_b64 s[8:9], s[2:3]
	s_cbranch_execz .LBB154_30
.LBB154_68:
	v_add_u32_e32 v6, v5, v3
	v_mov_b32_e32 v7, 0
	v_cvt_f16_f32_e32 v9, v34
	v_lshlrev_b64 v[6:7], 1, v[6:7]
	s_waitcnt lgkmcnt(0)
	v_mov_b32_e32 v8, s13
	v_add_co_u32_e64 v6, s[6:7], s12, v6
	v_addc_co_u32_e64 v7, s[6:7], v8, v7, s[6:7]
	global_store_short v[6:7], v9, off
	s_or_b64 exec, exec, s[8:9]
	s_and_saveexec_b64 s[8:9], s[4:5]
	s_cbranch_execnz .LBB154_31
	s_branch .LBB154_32
.LBB154_69:
	v_add_u32_e32 v6, v5, v0
	v_mov_b32_e32 v7, 0
	v_cvt_f16_f32_e32 v9, v39
	v_lshlrev_b64 v[6:7], 1, v[6:7]
	s_waitcnt lgkmcnt(0)
	v_mov_b32_e32 v8, s13
	v_add_co_u32_e64 v6, s[6:7], s12, v6
	v_addc_co_u32_e64 v7, s[6:7], v8, v7, s[6:7]
	global_store_short v[6:7], v9, off
	s_or_b64 exec, exec, s[8:9]
	s_and_saveexec_b64 s[8:9], s[0:1]
	s_cbranch_execz .LBB154_35
.LBB154_70:
	v_add_u32_e32 v6, v5, v2
	v_mov_b32_e32 v7, 0
	v_cvt_f16_f32_e32 v9, v37
	v_lshlrev_b64 v[6:7], 1, v[6:7]
	s_waitcnt lgkmcnt(0)
	v_mov_b32_e32 v8, s13
	v_add_co_u32_e64 v6, s[6:7], s12, v6
	v_addc_co_u32_e64 v7, s[6:7], v8, v7, s[6:7]
	global_store_short v[6:7], v9, off
	s_or_b64 exec, exec, s[8:9]
	s_and_saveexec_b64 s[8:9], s[2:3]
	s_cbranch_execz .LBB154_36
.LBB154_71:
	v_add_u32_e32 v6, v5, v3
	v_mov_b32_e32 v7, 0
	v_cvt_f16_f32_e32 v9, v35
	v_lshlrev_b64 v[6:7], 1, v[6:7]
	s_waitcnt lgkmcnt(0)
	v_mov_b32_e32 v8, s13
	v_add_co_u32_e64 v6, s[6:7], s12, v6
	v_addc_co_u32_e64 v7, s[6:7], v8, v7, s[6:7]
	global_store_short v[6:7], v9, off
	s_or_b64 exec, exec, s[8:9]
	s_and_saveexec_b64 s[8:9], s[4:5]
	s_cbranch_execnz .LBB154_37
	s_branch .LBB154_38
.LBB154_72:
	v_add_u32_e32 v6, v5, v0
	v_mov_b32_e32 v7, 0
	v_cvt_f16_f32_e32 v9, v30
	v_lshlrev_b64 v[6:7], 1, v[6:7]
	s_waitcnt lgkmcnt(0)
	v_mov_b32_e32 v8, s13
	v_add_co_u32_e64 v6, s[6:7], s12, v6
	v_addc_co_u32_e64 v7, s[6:7], v8, v7, s[6:7]
	global_store_short v[6:7], v9, off
	s_or_b64 exec, exec, s[8:9]
	s_and_saveexec_b64 s[8:9], s[0:1]
	s_cbranch_execz .LBB154_41
.LBB154_73:
	v_add_u32_e32 v6, v5, v2
	v_mov_b32_e32 v7, 0
	v_cvt_f16_f32_e32 v9, v28
	v_lshlrev_b64 v[6:7], 1, v[6:7]
	s_waitcnt lgkmcnt(0)
	v_mov_b32_e32 v8, s13
	v_add_co_u32_e64 v6, s[6:7], s12, v6
	v_addc_co_u32_e64 v7, s[6:7], v8, v7, s[6:7]
	global_store_short v[6:7], v9, off
	s_or_b64 exec, exec, s[8:9]
	s_and_saveexec_b64 s[8:9], s[2:3]
	s_cbranch_execz .LBB154_42
.LBB154_74:
	v_add_u32_e32 v6, v5, v3
	v_mov_b32_e32 v7, 0
	v_cvt_f16_f32_e32 v9, v26
	v_lshlrev_b64 v[6:7], 1, v[6:7]
	s_waitcnt lgkmcnt(0)
	v_mov_b32_e32 v8, s13
	v_add_co_u32_e64 v6, s[6:7], s12, v6
	v_addc_co_u32_e64 v7, s[6:7], v8, v7, s[6:7]
	global_store_short v[6:7], v9, off
	s_or_b64 exec, exec, s[8:9]
	s_and_saveexec_b64 s[8:9], s[4:5]
	s_cbranch_execnz .LBB154_43
	s_branch .LBB154_44
.LBB154_75:
	v_add_u32_e32 v6, v5, v0
	v_mov_b32_e32 v7, 0
	v_cvt_f16_f32_e32 v9, v31
	v_lshlrev_b64 v[6:7], 1, v[6:7]
	s_waitcnt lgkmcnt(0)
	v_mov_b32_e32 v8, s13
	v_add_co_u32_e64 v6, s[6:7], s12, v6
	v_addc_co_u32_e64 v7, s[6:7], v8, v7, s[6:7]
	global_store_short v[6:7], v9, off
	s_or_b64 exec, exec, s[8:9]
	s_and_saveexec_b64 s[8:9], s[0:1]
	s_cbranch_execz .LBB154_47
.LBB154_76:
	v_add_u32_e32 v6, v5, v2
	v_mov_b32_e32 v7, 0
	v_cvt_f16_f32_e32 v9, v29
	v_lshlrev_b64 v[6:7], 1, v[6:7]
	s_waitcnt lgkmcnt(0)
	v_mov_b32_e32 v8, s13
	v_add_co_u32_e64 v6, s[6:7], s12, v6
	v_addc_co_u32_e64 v7, s[6:7], v8, v7, s[6:7]
	global_store_short v[6:7], v9, off
	s_or_b64 exec, exec, s[8:9]
	s_and_saveexec_b64 s[8:9], s[2:3]
	s_cbranch_execz .LBB154_48
.LBB154_77:
	v_add_u32_e32 v6, v5, v3
	v_mov_b32_e32 v7, 0
	v_cvt_f16_f32_e32 v9, v27
	v_lshlrev_b64 v[6:7], 1, v[6:7]
	s_waitcnt lgkmcnt(0)
	v_mov_b32_e32 v8, s13
	v_add_co_u32_e64 v6, s[6:7], s12, v6
	v_addc_co_u32_e64 v7, s[6:7], v8, v7, s[6:7]
	global_store_short v[6:7], v9, off
	s_or_b64 exec, exec, s[8:9]
	s_and_saveexec_b64 s[8:9], s[4:5]
	s_cbranch_execnz .LBB154_49
	s_branch .LBB154_50
.LBB154_78:
	v_add_u32_e32 v6, v5, v0
	v_mov_b32_e32 v7, 0
	v_cvt_f16_f32_e32 v9, v22
	v_lshlrev_b64 v[6:7], 1, v[6:7]
	s_waitcnt lgkmcnt(0)
	v_mov_b32_e32 v8, s13
	v_add_co_u32_e64 v6, s[6:7], s12, v6
	v_addc_co_u32_e64 v7, s[6:7], v8, v7, s[6:7]
	global_store_short v[6:7], v9, off
	s_or_b64 exec, exec, s[8:9]
	s_and_saveexec_b64 s[8:9], s[0:1]
	s_cbranch_execz .LBB154_53
.LBB154_79:
	v_add_u32_e32 v6, v5, v2
	v_mov_b32_e32 v7, 0
	v_cvt_f16_f32_e32 v9, v20
	v_lshlrev_b64 v[6:7], 1, v[6:7]
	s_waitcnt lgkmcnt(0)
	v_mov_b32_e32 v8, s13
	v_add_co_u32_e64 v6, s[6:7], s12, v6
	v_addc_co_u32_e64 v7, s[6:7], v8, v7, s[6:7]
	global_store_short v[6:7], v9, off
	s_or_b64 exec, exec, s[8:9]
	s_and_saveexec_b64 s[8:9], s[2:3]
	s_cbranch_execz .LBB154_54
.LBB154_80:
	v_add_u32_e32 v6, v5, v3
	v_mov_b32_e32 v7, 0
	v_cvt_f16_f32_e32 v9, v18
	v_lshlrev_b64 v[6:7], 1, v[6:7]
	s_waitcnt lgkmcnt(0)
	v_mov_b32_e32 v8, s13
	v_add_co_u32_e64 v6, s[6:7], s12, v6
	v_addc_co_u32_e64 v7, s[6:7], v8, v7, s[6:7]
	global_store_short v[6:7], v9, off
	s_or_b64 exec, exec, s[8:9]
	s_and_saveexec_b64 s[8:9], s[4:5]
	s_cbranch_execnz .LBB154_55
	s_branch .LBB154_56
.LBB154_81:
	v_add_u32_e32 v6, v1, v0
	v_mov_b32_e32 v7, 0
	v_cvt_f16_f32_e32 v5, v23
	v_lshlrev_b64 v[6:7], 1, v[6:7]
	s_waitcnt lgkmcnt(0)
	v_mov_b32_e32 v0, s13
	v_add_co_u32_e32 v6, vcc, s12, v6
	v_addc_co_u32_e32 v7, vcc, v0, v7, vcc
	global_store_short v[6:7], v5, off
	s_or_b64 exec, exec, s[6:7]
	s_and_saveexec_b64 s[6:7], s[0:1]
	s_cbranch_execz .LBB154_59
.LBB154_82:
	v_add_u32_e32 v6, v1, v2
	v_mov_b32_e32 v7, 0
	v_cvt_f16_f32_e32 v2, v21
	v_lshlrev_b64 v[6:7], 1, v[6:7]
	s_waitcnt lgkmcnt(0)
	v_mov_b32_e32 v0, s13
	v_add_co_u32_e32 v6, vcc, s12, v6
	v_addc_co_u32_e32 v7, vcc, v0, v7, vcc
	global_store_short v[6:7], v2, off
	s_or_b64 exec, exec, s[6:7]
	s_and_saveexec_b64 s[0:1], s[2:3]
	s_cbranch_execz .LBB154_60
.LBB154_83:
	v_add_u32_e32 v2, v1, v3
	v_mov_b32_e32 v3, 0
	v_cvt_f16_f32_e32 v5, v19
	v_lshlrev_b64 v[2:3], 1, v[2:3]
	s_waitcnt lgkmcnt(0)
	v_mov_b32_e32 v0, s13
	v_add_co_u32_e32 v2, vcc, s12, v2
	v_addc_co_u32_e32 v3, vcc, v0, v3, vcc
	global_store_short v[2:3], v5, off
	s_or_b64 exec, exec, s[0:1]
	s_and_b64 exec, exec, s[4:5]
	s_cbranch_execnz .LBB154_61
	s_branch .LBB154_62
	.section	.rodata,"a",@progbits
	.p2align	6, 0x0
	.amdhsa_kernel _ZL12mul_mat_q5_KIN3c104HalfELb1EEvPKvS3_PT_iiiii
		.amdhsa_group_segment_fixed_size 45136
		.amdhsa_private_segment_fixed_size 84
		.amdhsa_kernarg_size 44
		.amdhsa_user_sgpr_count 6
		.amdhsa_user_sgpr_private_segment_buffer 1
		.amdhsa_user_sgpr_dispatch_ptr 0
		.amdhsa_user_sgpr_queue_ptr 0
		.amdhsa_user_sgpr_kernarg_segment_ptr 1
		.amdhsa_user_sgpr_dispatch_id 0
		.amdhsa_user_sgpr_flat_scratch_init 0
		.amdhsa_user_sgpr_kernarg_preload_length 0
		.amdhsa_user_sgpr_kernarg_preload_offset 0
		.amdhsa_user_sgpr_private_segment_size 0
		.amdhsa_uses_dynamic_stack 0
		.amdhsa_system_sgpr_private_segment_wavefront_offset 1
		.amdhsa_system_sgpr_workgroup_id_x 1
		.amdhsa_system_sgpr_workgroup_id_y 1
		.amdhsa_system_sgpr_workgroup_id_z 0
		.amdhsa_system_sgpr_workgroup_info 0
		.amdhsa_system_vgpr_workitem_id 1
		.amdhsa_next_free_vgpr 256
		.amdhsa_next_free_sgpr 28
		.amdhsa_accum_offset 256
		.amdhsa_reserve_vcc 1
		.amdhsa_reserve_flat_scratch 0
		.amdhsa_float_round_mode_32 0
		.amdhsa_float_round_mode_16_64 0
		.amdhsa_float_denorm_mode_32 3
		.amdhsa_float_denorm_mode_16_64 3
		.amdhsa_dx10_clamp 1
		.amdhsa_ieee_mode 1
		.amdhsa_fp16_overflow 0
		.amdhsa_tg_split 0
		.amdhsa_exception_fp_ieee_invalid_op 0
		.amdhsa_exception_fp_denorm_src 0
		.amdhsa_exception_fp_ieee_div_zero 0
		.amdhsa_exception_fp_ieee_overflow 0
		.amdhsa_exception_fp_ieee_underflow 0
		.amdhsa_exception_fp_ieee_inexact 0
		.amdhsa_exception_int_div_zero 0
	.end_amdhsa_kernel
	.section	.text._ZL12mul_mat_q5_KIN3c104HalfELb1EEvPKvS3_PT_iiiii,"axG",@progbits,_ZL12mul_mat_q5_KIN3c104HalfELb1EEvPKvS3_PT_iiiii,comdat
.Lfunc_end154:
	.size	_ZL12mul_mat_q5_KIN3c104HalfELb1EEvPKvS3_PT_iiiii, .Lfunc_end154-_ZL12mul_mat_q5_KIN3c104HalfELb1EEvPKvS3_PT_iiiii
                                        ; -- End function
	.section	.AMDGPU.csdata,"",@progbits
; Kernel info:
; codeLenInByte = 18104
; NumSgprs: 32
; NumVgprs: 256
; NumAgprs: 0
; TotalNumVgprs: 256
; ScratchSize: 84
; MemoryBound: 0
; FloatMode: 240
; IeeeMode: 1
; LDSByteSize: 45136 bytes/workgroup (compile time only)
; SGPRBlocks: 3
; VGPRBlocks: 31
; NumSGPRsForWavesPerEU: 32
; NumVGPRsForWavesPerEU: 256
; AccumOffset: 256
; Occupancy: 1
; WaveLimiterHint : 0
; COMPUTE_PGM_RSRC2:SCRATCH_EN: 1
; COMPUTE_PGM_RSRC2:USER_SGPR: 6
; COMPUTE_PGM_RSRC2:TRAP_HANDLER: 0
; COMPUTE_PGM_RSRC2:TGID_X_EN: 1
; COMPUTE_PGM_RSRC2:TGID_Y_EN: 1
; COMPUTE_PGM_RSRC2:TGID_Z_EN: 0
; COMPUTE_PGM_RSRC2:TIDIG_COMP_CNT: 1
; COMPUTE_PGM_RSRC3_GFX90A:ACCUM_OFFSET: 63
; COMPUTE_PGM_RSRC3_GFX90A:TG_SPLIT: 0
	.section	.text._ZL12mul_mat_q6_KIN3c104HalfELb0EEvPKvS3_PT_iiiii,"axG",@progbits,_ZL12mul_mat_q6_KIN3c104HalfELb0EEvPKvS3_PT_iiiii,comdat
	.globl	_ZL12mul_mat_q6_KIN3c104HalfELb0EEvPKvS3_PT_iiiii ; -- Begin function _ZL12mul_mat_q6_KIN3c104HalfELb0EEvPKvS3_PT_iiiii
	.p2align	8
	.type	_ZL12mul_mat_q6_KIN3c104HalfELb0EEvPKvS3_PT_iiiii,@function
_ZL12mul_mat_q6_KIN3c104HalfELb0EEvPKvS3_PT_iiiii: ; @_ZL12mul_mat_q6_KIN3c104HalfELb0EEvPKvS3_PT_iiiii
; %bb.0:
	s_load_dword s14, s[4:5], 0x18
	s_load_dwordx4 s[8:11], s[4:5], 0x20
	s_waitcnt lgkmcnt(0)
	s_lshl_b32 s11, s7, 6
	v_bfe_u32 v132, v0, 10, 10
	s_cmpk_gt_i32 s14, 0xff
	s_cbranch_scc1 .LBB155_2
; %bb.1:
	v_bfe_u32 v1, v0, 10, 10
	v_and_b32_e32 v59, 0x3ff, v0
	v_add_u32_e32 v135, s11, v1
	s_mov_b64 s[0:1], 0
	s_mov_b32 s2, 0
	s_branch .LBB155_3
.LBB155_2:
	s_mov_b64 s[0:1], -1
                                        ; implicit-def: $sgpr2
                                        ; implicit-def: $vgpr1
                                        ; implicit-def: $vgpr59
                                        ; implicit-def: $vgpr135
.LBB155_3:
	s_load_dwordx2 s[12:13], s[4:5], 0x10
	s_lshl_b32 s6, s6, 7
	s_andn2_b64 vcc, exec, s[0:1]
	v_mov_b32_e32 v17, s2
	v_mov_b32_e32 v25, s2
	;; [unrolled: 1-line block ×32, first 2 shown]
	s_cbranch_vccnz .LBB155_11
; %bb.4:
	v_and_b32_e32 v59, 0x3ff, v0
	v_and_b32_e32 v4, 31, v59
	s_load_dwordx4 s[0:3], s[4:5], 0x0
	s_ashr_i32 s4, s14, 31
	v_cmp_lt_u32_e32 vcc, 15, v4
	s_lshr_b32 s4, s4, 24
	v_cndmask_b32_e64 v1, 0, 1, vcc
	s_add_i32 s14, s14, s4
	s_ashr_i32 s5, s9, 31
	v_and_b32_e32 v0, 7, v59
	v_lshlrev_b32_e32 v1, 5, v1
	s_ashr_i32 s4, s14, 8
	s_lshr_b32 s5, s5, 27
	v_lshl_or_b32 v20, v0, 2, v1
	v_add_u16_e32 v0, -16, v4
	v_cmp_gt_u32_e32 vcc, 16, v4
	s_add_i32 s5, s9, s5
	s_mul_i32 s7, s4, s6
	v_cndmask_b32_e32 v0, v0, v4, vcc
	s_ashr_i32 s15, s5, 5
	s_mul_hi_i32 s9, s7, 0xd2
	s_mulk_i32 s7, 0xd2
	v_cmp_lt_u16_e32 vcc, 7, v0
	s_waitcnt lgkmcnt(0)
	s_add_u32 s7, s0, s7
	v_cndmask_b32_e64 v0, 0, 1, vcc
	s_addc_u32 s9, s1, s9
	v_lshlrev_b32_e32 v139, 1, v0
	v_and_or_b32 v0, v59, 15, v1
	v_mul_u32_u24_e32 v1, 0x41, v132
	s_lshl_b32 s0, s4, 3
	v_add_lshl_u32 v140, v0, v1, 2
	v_mov_b32_e32 v0, s0
	v_mad_i32_i24 v24, s4, v132, v0
	v_add_u32_e32 v26, s0, v24
	v_lshlrev_b32_e32 v158, 5, v132
	v_add_u32_e32 v28, s0, v26
	v_add_u32_e32 v0, v158, v59
	;; [unrolled: 1-line block ×3, first 2 shown]
	v_and_b32_e32 v1, 0x7f, v0
	v_lshrrev_b32_e32 v0, 3, v0
	v_add_u32_e32 v32, s0, v30
	v_mul_i32_i24_e32 v54, s4, v1
	v_and_b32_e32 v0, 12, v0
	v_lshlrev_b32_e32 v1, 2, v1
	s_mov_b32 s16, 0xae40
	v_add_u32_e32 v34, s0, v32
	v_add3_u32 v159, v1, v0, s16
	v_lshlrev_b32_e32 v1, 3, v132
	v_lshrrev_b32_e32 v2, 2, v59
	v_add_u32_e32 v36, s0, v34
	v_add_u32_e32 v5, v2, v1
	v_and_b32_e32 v0, 3, v59
	v_add_u16_e32 v1, v2, v1
	v_add_u32_e32 v38, s0, v36
	v_lshlrev_b32_e32 v56, 2, v0
	v_and_b32_e32 v3, 0x7f, v5
	v_lshrrev_b16_e32 v1, 1, v1
	v_add_u32_e32 v40, s0, v38
	v_lshl_or_b32 v6, v3, 4, v56
	v_and_b32_e32 v1, 60, v1
	s_mov_b32 s17, 0xa200
	v_add_u32_e32 v42, s0, v40
	v_add3_u32 v161, v6, v1, s17
	v_xor_b32_e32 v1, 64, v3
	v_add_u32_e32 v44, s0, v42
	v_mul_i32_i24_e32 v60, s4, v1
	v_lshl_or_b32 v2, v1, 4, v56
	v_lshrrev_b32_e32 v1, 1, v1
	v_add_u32_e32 v46, s0, v44
	v_and_b32_e32 v1, 60, v1
	v_lshlrev_b32_e32 v6, 2, v59
	v_add_u32_e32 v48, s0, v46
	v_add3_u32 v162, v2, v1, s17
	v_and_b32_e32 v1, 28, v6
	v_add_u32_e32 v50, s0, v48
	v_add_co_u32_e32 v62, vcc, s2, v1
	v_and_b32_e32 v1, 63, v5
	v_add_u32_e32 v52, s0, v50
	s_add_i32 s0, s8, -1
	v_or_b32_e32 v5, s11, v1
	v_min_i32_e32 v5, s0, v5
	v_mul_i32_i24_e32 v58, s4, v3
	v_add_u32_e32 v135, s11, v132
	v_cvt_f64_i32_e32 v[2:3], s0
	v_mad_u64_u32 v[64:65], s[0:1], v5, s15, v[0:1]
	v_lshl_or_b32 v0, v1, 4, v56
	v_add_u32_e32 v164, 0xaa40, v0
	v_cvt_f64_u32_e32 v[0:1], v135
	v_min_f64 v[0:1], v[0:1], v[2:3]
	v_cvt_i32_f64_e32 v0, v[0:1]
	v_mul_lo_u32 v166, s15, v0
	v_or_b32_e32 v0, v158, v4
	v_mov_b32_e32 v5, 0x8200
	v_lshl_add_u32 v167, v0, 2, v5
	v_add_u32_e32 v0, 8, v135
	v_cvt_f64_u32_e32 v[0:1], v0
	v_min_f64 v[0:1], v[0:1], v[2:3]
	v_cvt_i32_f64_e32 v0, v[0:1]
	v_add_u32_e32 v169, 0x100, v158
	v_mul_lo_u32 v168, s15, v0
	v_or_b32_e32 v0, v169, v4
	v_lshl_add_u32 v170, v0, 2, v5
	v_add_u32_e32 v0, 16, v135
	v_cvt_f64_u32_e32 v[0:1], v0
	v_min_f64 v[0:1], v[0:1], v[2:3]
	v_cvt_i32_f64_e32 v0, v[0:1]
	v_add_u32_e32 v172, 0x200, v158
	v_mul_lo_u32 v171, s15, v0
	v_or_b32_e32 v0, v172, v4
	;; [unrolled: 8-line block ×6, first 2 shown]
	v_lshl_add_u32 v185, v0, 2, v5
	v_add_u32_e32 v0, 56, v135
	v_cvt_f64_u32_e32 v[0:1], v0
	v_min_f64 v[0:1], v[0:1], v[2:3]
	v_cvt_i32_f64_e32 v0, v[0:1]
	v_add_u32_e32 v187, 0x700, v158
	v_lshrrev_b32_e32 v16, 5, v59
	v_mul_lo_u32 v186, s15, v0
	v_or_b32_e32 v0, v187, v4
	v_lshl_add_u32 v188, v0, 2, v5
	v_lshlrev_b32_e32 v0, 2, v16
	v_add3_u32 v189, v0, v6, s16
	v_add_u32_e32 v0, 32, v59
	v_lshrrev_b32_e32 v190, 3, v0
	v_and_b32_e32 v1, 60, v190
	v_add3_u32 v191, v6, v1, s16
	v_add_u32_e32 v1, 64, v59
	v_lshrrev_b32_e32 v2, 3, v1
	v_and_b32_e32 v2, 60, v2
	v_add3_u32 v192, v6, v2, s16
	v_add_u32_e32 v2, 0x60, v59
	v_lshrrev_b32_e32 v3, 3, v2
	v_lshrrev_b32_e32 v165, 3, v59
	v_and_b32_e32 v3, 60, v3
	v_lshlrev_b32_e32 v18, 2, v4
	v_add3_u32 v193, v6, v3, s16
	v_lshlrev_b32_e32 v3, 2, v165
	v_lshlrev_b32_e32 v4, 4, v59
	v_add3_u32 v194, v4, v3, s17
	v_lshlrev_b32_e32 v3, 2, v190
	v_lshlrev_b32_e32 v0, 4, v0
	s_movk_i32 s0, 0x104
	v_add3_u32 v196, v3, v0, s17
	v_mov_b32_e32 v0, 0x2080
	v_mad_u32_u24 v197, v59, s0, v0
	v_lshrrev_b32_e32 v0, 1, v1
	v_and_b32_e32 v0, 0xfc, v0
	v_lshlrev_b32_e32 v1, 4, v1
	v_add3_u32 v198, v1, v0, s17
	v_mov_b32_e32 v0, 0x4100
	v_mad_u32_u24 v199, v59, s0, v0
	v_lshrrev_b32_e32 v0, 1, v2
	v_and_b32_e32 v0, 0xfc, v0
	v_lshlrev_b32_e32 v1, 4, v2
	v_mov_b32_e32 v7, s3
	v_add3_u32 v200, v1, v0, s17
	v_mov_b32_e32 v0, 0x6180
	s_movk_i32 s5, 0xd2
	s_mov_b32 s14, 0
	v_mul_i32_i24_e32 v22, s4, v132
	v_add_u32_e32 v141, 0x820, v140
	v_add_u32_e32 v142, 0x1040, v140
	;; [unrolled: 1-line block ×15, first 2 shown]
	v_addc_co_u32_e32 v63, vcc, 0, v7, vcc
	v_mul_u32_u24_e32 v195, 0x104, v59
	v_mad_u32_u24 v201, v59, s0, v0
	s_mov_b32 s15, 0xf0f0f0f
	s_mov_b32 s16, 0x30303030
	s_movk_i32 s17, 0x3f00
	s_movk_i32 s18, 0xe000
	v_mov_b32_e32 v202, 8
	v_mov_b32_e32 v163, 0
	;; [unrolled: 1-line block ×33, first 2 shown]
.LBB155_5:                              ; =>This Loop Header: Depth=1
                                        ;     Child Loop BB155_6 Depth 2
                                        ;     Child Loop BB155_8 Depth 2
	s_mul_i32 s0, s14, 0xd2
	s_mul_hi_u32 s1, s14, 0xd2
	s_add_u32 s0, s7, s0
	s_addc_u32 s1, s9, s1
	v_pk_mov_b32 v[0:1], s[0:1], s[0:1] op_sel:[0,1]
	v_mad_u64_u32 v[2:3], s[20:21], v16, s5, v[0:1]
	v_mad_u64_u32 v[4:5], s[20:21], v22, s5, v[2:3]
	v_add_co_u32_e32 v6, vcc, v4, v18
	v_addc_co_u32_e32 v7, vcc, 0, v5, vcc
	v_add_co_u32_e32 v4, vcc, v4, v20
	v_addc_co_u32_e32 v5, vcc, 0, v5, vcc
	v_mad_u64_u32 v[8:9], s[20:21], v24, s5, v[2:3]
	v_add_co_u32_e32 v10, vcc, v8, v18
	v_addc_co_u32_e32 v11, vcc, 0, v9, vcc
	global_load_dword v12, v[6:7], off
	global_load_dword v13, v[4:5], off offset:128
	s_nop 0
	global_load_dword v10, v[10:11], off
	v_add_co_u32_e32 v4, vcc, v8, v20
	v_addc_co_u32_e32 v5, vcc, 0, v9, vcc
	global_load_dword v8, v[4:5], off offset:128
	v_mad_u64_u32 v[4:5], s[20:21], v26, s5, v[2:3]
	v_add_co_u32_e32 v6, vcc, v4, v18
	v_addc_co_u32_e32 v7, vcc, 0, v5, vcc
	v_add_co_u32_e32 v4, vcc, v4, v20
	v_addc_co_u32_e32 v5, vcc, 0, v5, vcc
	global_load_dword v9, v[6:7], off
	global_load_dword v11, v[4:5], off offset:128
	v_mad_u64_u32 v[4:5], s[20:21], v28, s5, v[2:3]
	v_add_co_u32_e32 v6, vcc, v4, v18
	v_addc_co_u32_e32 v7, vcc, 0, v5, vcc
	v_add_co_u32_e32 v4, vcc, v4, v20
	v_addc_co_u32_e32 v5, vcc, 0, v5, vcc
	global_load_dword v14, v[6:7], off
	global_load_dword v15, v[4:5], off offset:128
	s_lshl_b32 s19, s14, 3
	v_mad_u64_u32 v[0:1], s[20:21], v54, s5, v[0:1]
	v_add_u32_e32 v203, s19, v64
	s_waitcnt vmcnt(7)
	v_and_b32_e32 v4, 0xf0f0f0f, v12
	s_waitcnt vmcnt(6)
	v_ashrrev_i32_e32 v6, v139, v13
	v_lshrrev_b32_e32 v5, 4, v12
	v_lshlrev_b32_e32 v12, 4, v6
	v_and_b32_e32 v6, 0x30303030, v6
	s_waitcnt vmcnt(5)
	v_and_b32_e32 v7, 0xf0f0f0f, v10
	v_and_or_b32 v4, v12, s16, v4
	s_waitcnt vmcnt(4)
	v_ashrrev_i32_e32 v8, v139, v8
	v_lshlrev_b32_e32 v13, 4, v8
	v_and_or_b32 v5, v5, s15, v6
	v_and_or_b32 v6, v13, s16, v7
	v_and_b32_e32 v7, 0x3f00, v4
	v_lshlrev_b16_e32 v12, 8, v4
	v_and_b32_sdwa v13, v4, s17 dst_sel:DWORD dst_unused:UNUSED_PAD src0_sel:WORD_1 src1_sel:DWORD
	v_lshlrev_b16_sdwa v4, v202, v4 dst_sel:DWORD dst_unused:UNUSED_PAD src0_sel:DWORD src1_sel:WORD_1
	v_and_b32_e32 v66, 0x3f00, v5
	v_lshlrev_b16_e32 v67, 8, v5
	v_and_b32_sdwa v68, v5, s17 dst_sel:DWORD dst_unused:UNUSED_PAD src0_sel:WORD_1 src1_sel:DWORD
	v_lshlrev_b16_sdwa v5, v202, v5 dst_sel:DWORD dst_unused:UNUSED_PAD src0_sel:DWORD src1_sel:WORD_1
	v_add_u16_e32 v12, 0xe000, v12
	v_add_u16_e32 v4, 0xe000, v4
	;; [unrolled: 1-line block ×4, first 2 shown]
	v_or_b32_sdwa v7, v7, v12 dst_sel:DWORD dst_unused:UNUSED_PAD src0_sel:DWORD src1_sel:BYTE_1
	v_or_b32_sdwa v4, v13, v4 dst_sel:DWORD dst_unused:UNUSED_PAD src0_sel:DWORD src1_sel:BYTE_1
	;; [unrolled: 1-line block ×4, first 2 shown]
	v_add_u16_e32 v7, 0xe000, v7
	v_add_u16_sdwa v4, v4, s18 dst_sel:WORD_1 dst_unused:UNUSED_PAD src0_sel:DWORD src1_sel:DWORD
	v_add_u16_e32 v12, 0xe000, v12
	v_add_u16_sdwa v5, v5, s18 dst_sel:WORD_1 dst_unused:UNUSED_PAD src0_sel:DWORD src1_sel:DWORD
	v_or_b32_e32 v4, v7, v4
	v_or_b32_e32 v5, v12, v5
	ds_write2_b32 v140, v4, v5 offset1:16
	v_lshlrev_b16_sdwa v5, v202, v6 dst_sel:DWORD dst_unused:UNUSED_PAD src0_sel:DWORD src1_sel:WORD_1
	v_lshrrev_b32_e32 v10, 4, v10
	v_and_b32_e32 v8, 0x30303030, v8
	v_and_b32_sdwa v4, v6, s17 dst_sel:DWORD dst_unused:UNUSED_PAD src0_sel:WORD_1 src1_sel:DWORD
	v_add_u16_e32 v5, 0xe000, v5
	v_or_b32_sdwa v4, v4, v5 dst_sel:DWORD dst_unused:UNUSED_PAD src0_sel:DWORD src1_sel:BYTE_1
	v_and_or_b32 v5, v10, s15, v8
	v_lshlrev_b16_e32 v7, 8, v5
	v_and_b32_e32 v69, 0x3f00, v6
	v_lshlrev_b16_e32 v70, 8, v6
	v_and_b32_e32 v6, 0x3f00, v5
	v_add_u16_e32 v7, 0xe000, v7
	v_or_b32_sdwa v6, v6, v7 dst_sel:DWORD dst_unused:UNUSED_PAD src0_sel:DWORD src1_sel:BYTE_1
	v_and_b32_sdwa v7, v5, s17 dst_sel:DWORD dst_unused:UNUSED_PAD src0_sel:WORD_1 src1_sel:DWORD
	v_lshlrev_b16_sdwa v5, v202, v5 dst_sel:DWORD dst_unused:UNUSED_PAD src0_sel:DWORD src1_sel:WORD_1
	v_add_u16_e32 v70, 0xe000, v70
	v_add_u16_e32 v5, 0xe000, v5
	v_or_b32_sdwa v13, v69, v70 dst_sel:DWORD dst_unused:UNUSED_PAD src0_sel:DWORD src1_sel:BYTE_1
	v_or_b32_sdwa v5, v7, v5 dst_sel:DWORD dst_unused:UNUSED_PAD src0_sel:DWORD src1_sel:BYTE_1
	v_add_u16_e32 v13, 0xe000, v13
	v_add_u16_sdwa v4, v4, s18 dst_sel:WORD_1 dst_unused:UNUSED_PAD src0_sel:DWORD src1_sel:DWORD
	v_add_u16_e32 v6, 0xe000, v6
	v_add_u16_sdwa v5, v5, s18 dst_sel:WORD_1 dst_unused:UNUSED_PAD src0_sel:DWORD src1_sel:DWORD
	v_or_b32_e32 v4, v13, v4
	v_or_b32_e32 v5, v6, v5
	s_waitcnt vmcnt(2)
	v_ashrrev_i32_e32 v6, v139, v11
	ds_write2_b32 v141, v4, v5 offset1:16
	v_and_b32_e32 v4, 0xf0f0f0f, v9
	v_lshlrev_b32_e32 v7, 4, v6
	v_and_or_b32 v4, v7, s16, v4
	v_lshlrev_b16_e32 v8, 8, v4
	v_and_b32_e32 v7, 0x3f00, v4
	v_add_u16_e32 v8, 0xe000, v8
	v_or_b32_sdwa v7, v7, v8 dst_sel:DWORD dst_unused:UNUSED_PAD src0_sel:DWORD src1_sel:BYTE_1
	v_and_b32_sdwa v8, v4, s17 dst_sel:DWORD dst_unused:UNUSED_PAD src0_sel:WORD_1 src1_sel:DWORD
	v_lshlrev_b16_sdwa v4, v202, v4 dst_sel:DWORD dst_unused:UNUSED_PAD src0_sel:DWORD src1_sel:WORD_1
	v_add_u16_e32 v4, 0xe000, v4
	v_or_b32_sdwa v4, v8, v4 dst_sel:DWORD dst_unused:UNUSED_PAD src0_sel:DWORD src1_sel:BYTE_1
	v_lshrrev_b32_e32 v5, 4, v9
	v_and_b32_e32 v6, 0x30303030, v6
	v_add_u16_e32 v7, 0xe000, v7
	v_add_u16_sdwa v4, v4, s18 dst_sel:WORD_1 dst_unused:UNUSED_PAD src0_sel:DWORD src1_sel:DWORD
	v_or_b32_e32 v8, v7, v4
	v_and_or_b32 v9, v5, s15, v6
	v_mad_u64_u32 v[4:5], s[20:21], v30, s5, v[2:3]
	v_add_co_u32_e32 v6, vcc, v4, v18
	v_addc_co_u32_e32 v7, vcc, 0, v5, vcc
	v_add_co_u32_e32 v4, vcc, v4, v20
	v_addc_co_u32_e32 v5, vcc, 0, v5, vcc
	global_load_dword v11, v[6:7], off
	global_load_dword v12, v[4:5], off offset:128
	v_lshlrev_b16_e32 v4, 8, v9
	v_lshlrev_b16_sdwa v6, v202, v9 dst_sel:DWORD dst_unused:UNUSED_PAD src0_sel:DWORD src1_sel:WORD_1
	v_and_b32_e32 v10, 0x3f00, v9
	v_add_u16_e32 v4, 0xe000, v4
	v_and_b32_sdwa v5, v9, s17 dst_sel:DWORD dst_unused:UNUSED_PAD src0_sel:WORD_1 src1_sel:DWORD
	v_add_u16_e32 v6, 0xe000, v6
	v_or_b32_sdwa v4, v10, v4 dst_sel:DWORD dst_unused:UNUSED_PAD src0_sel:DWORD src1_sel:BYTE_1
	v_or_b32_sdwa v5, v5, v6 dst_sel:DWORD dst_unused:UNUSED_PAD src0_sel:DWORD src1_sel:BYTE_1
	v_add_u16_e32 v4, 0xe000, v4
	v_add_u16_sdwa v5, v5, s18 dst_sel:WORD_1 dst_unused:UNUSED_PAD src0_sel:DWORD src1_sel:DWORD
	v_or_b32_e32 v4, v4, v5
	s_waitcnt vmcnt(2)
	v_ashrrev_i32_e32 v5, v139, v15
	ds_write2_b32 v142, v8, v4 offset1:16
	v_and_b32_e32 v4, 0xf0f0f0f, v14
	v_lshlrev_b32_e32 v6, 4, v5
	v_and_b32_e32 v9, 0x30303030, v5
	v_and_or_b32 v10, v6, s16, v4
	v_mad_u64_u32 v[4:5], s[20:21], v32, s5, v[2:3]
	v_add_co_u32_e32 v6, vcc, v4, v18
	v_addc_co_u32_e32 v7, vcc, 0, v5, vcc
	v_add_co_u32_e32 v4, vcc, v4, v20
	v_addc_co_u32_e32 v5, vcc, 0, v5, vcc
	v_lshrrev_b32_e32 v8, 4, v14
	global_load_dword v14, v[6:7], off
	global_load_dword v15, v[4:5], off offset:128
	v_lshlrev_b16_e32 v4, 8, v10
	v_lshlrev_b16_sdwa v6, v202, v10 dst_sel:DWORD dst_unused:UNUSED_PAD src0_sel:DWORD src1_sel:WORD_1
	v_and_b32_e32 v13, 0x3f00, v10
	v_add_u16_e32 v4, 0xe000, v4
	v_and_b32_sdwa v5, v10, s17 dst_sel:DWORD dst_unused:UNUSED_PAD src0_sel:WORD_1 src1_sel:DWORD
	v_add_u16_e32 v6, 0xe000, v6
	v_or_b32_sdwa v4, v13, v4 dst_sel:DWORD dst_unused:UNUSED_PAD src0_sel:DWORD src1_sel:BYTE_1
	v_or_b32_sdwa v5, v5, v6 dst_sel:DWORD dst_unused:UNUSED_PAD src0_sel:DWORD src1_sel:BYTE_1
	v_add_u16_e32 v4, 0xe000, v4
	v_add_u16_sdwa v5, v5, s18 dst_sel:WORD_1 dst_unused:UNUSED_PAD src0_sel:DWORD src1_sel:DWORD
	v_or_b32_e32 v10, v4, v5
	v_and_or_b32 v4, v8, s15, v9
	v_lshlrev_b16_e32 v6, 8, v4
	v_and_b32_e32 v5, 0x3f00, v4
	v_add_u16_e32 v6, 0xe000, v6
	v_or_b32_sdwa v5, v5, v6 dst_sel:DWORD dst_unused:UNUSED_PAD src0_sel:DWORD src1_sel:BYTE_1
	v_add_u16_e32 v8, 0xe000, v5
	v_and_b32_sdwa v9, v4, s17 dst_sel:DWORD dst_unused:UNUSED_PAD src0_sel:WORD_1 src1_sel:DWORD
	v_lshlrev_b16_sdwa v13, v202, v4 dst_sel:DWORD dst_unused:UNUSED_PAD src0_sel:DWORD src1_sel:WORD_1
	v_mad_u64_u32 v[4:5], s[20:21], v34, s5, v[2:3]
	v_add_co_u32_e32 v6, vcc, v4, v18
	v_addc_co_u32_e32 v7, vcc, 0, v5, vcc
	v_add_co_u32_e32 v4, vcc, v4, v20
	v_addc_co_u32_e32 v5, vcc, 0, v5, vcc
	global_load_dword v66, v[6:7], off
	global_load_dword v67, v[4:5], off offset:128
	v_add_u16_e32 v4, 0xe000, v13
	v_or_b32_sdwa v4, v9, v4 dst_sel:DWORD dst_unused:UNUSED_PAD src0_sel:DWORD src1_sel:BYTE_1
	v_add_u16_sdwa v4, v4, s18 dst_sel:WORD_1 dst_unused:UNUSED_PAD src0_sel:DWORD src1_sel:DWORD
	v_or_b32_e32 v4, v8, v4
	ds_write2_b32 v143, v10, v4 offset1:16
	v_mad_u64_u32 v[4:5], s[20:21], v36, s5, v[2:3]
	v_add_co_u32_e32 v6, vcc, v4, v18
	v_addc_co_u32_e32 v7, vcc, 0, v5, vcc
	v_add_co_u32_e32 v4, vcc, v4, v20
	v_addc_co_u32_e32 v5, vcc, 0, v5, vcc
	global_load_dword v8, v[6:7], off
	global_load_dword v9, v[4:5], off offset:128
	s_waitcnt vmcnt(7)
	v_and_b32_e32 v4, 0xf0f0f0f, v11
	s_waitcnt vmcnt(6)
	v_ashrrev_i32_e32 v6, v139, v12
	v_lshlrev_b32_e32 v7, 4, v6
	v_and_or_b32 v4, v7, s16, v4
	v_lshlrev_b16_e32 v10, 8, v4
	v_and_b32_e32 v7, 0x3f00, v4
	v_add_u16_e32 v10, 0xe000, v10
	v_or_b32_sdwa v7, v7, v10 dst_sel:DWORD dst_unused:UNUSED_PAD src0_sel:DWORD src1_sel:BYTE_1
	v_and_b32_sdwa v10, v4, s17 dst_sel:DWORD dst_unused:UNUSED_PAD src0_sel:WORD_1 src1_sel:DWORD
	v_lshlrev_b16_sdwa v4, v202, v4 dst_sel:DWORD dst_unused:UNUSED_PAD src0_sel:DWORD src1_sel:WORD_1
	v_add_u16_e32 v4, 0xe000, v4
	v_lshrrev_b32_e32 v5, 4, v11
	v_and_b32_e32 v6, 0x30303030, v6
	v_or_b32_sdwa v4, v10, v4 dst_sel:DWORD dst_unused:UNUSED_PAD src0_sel:DWORD src1_sel:BYTE_1
	v_add_u16_e32 v7, 0xe000, v7
	v_add_u16_sdwa v4, v4, s18 dst_sel:WORD_1 dst_unused:UNUSED_PAD src0_sel:DWORD src1_sel:DWORD
	v_and_or_b32 v5, v5, s15, v6
	v_or_b32_e32 v4, v7, v4
	v_lshlrev_b16_e32 v7, 8, v5
	v_and_b32_e32 v6, 0x3f00, v5
	v_add_u16_e32 v7, 0xe000, v7
	v_or_b32_sdwa v6, v6, v7 dst_sel:DWORD dst_unused:UNUSED_PAD src0_sel:DWORD src1_sel:BYTE_1
	v_and_b32_sdwa v7, v5, s17 dst_sel:DWORD dst_unused:UNUSED_PAD src0_sel:WORD_1 src1_sel:DWORD
	v_lshlrev_b16_sdwa v5, v202, v5 dst_sel:DWORD dst_unused:UNUSED_PAD src0_sel:DWORD src1_sel:WORD_1
	v_add_u16_e32 v5, 0xe000, v5
	v_or_b32_sdwa v5, v7, v5 dst_sel:DWORD dst_unused:UNUSED_PAD src0_sel:DWORD src1_sel:BYTE_1
	v_add_u16_e32 v6, 0xe000, v6
	v_add_u16_sdwa v5, v5, s18 dst_sel:WORD_1 dst_unused:UNUSED_PAD src0_sel:DWORD src1_sel:DWORD
	v_or_b32_e32 v5, v6, v5
	ds_write2_b32 v144, v4, v5 offset1:16
	s_waitcnt vmcnt(5)
	v_and_b32_e32 v4, 0xf0f0f0f, v14
	s_waitcnt vmcnt(4)
	v_ashrrev_i32_e32 v6, v139, v15
	v_lshlrev_b32_e32 v7, 4, v6
	v_and_or_b32 v4, v7, s16, v4
	v_lshlrev_b16_e32 v10, 8, v4
	v_and_b32_e32 v7, 0x3f00, v4
	v_add_u16_e32 v10, 0xe000, v10
	v_or_b32_sdwa v7, v7, v10 dst_sel:DWORD dst_unused:UNUSED_PAD src0_sel:DWORD src1_sel:BYTE_1
	v_and_b32_sdwa v10, v4, s17 dst_sel:DWORD dst_unused:UNUSED_PAD src0_sel:WORD_1 src1_sel:DWORD
	v_lshlrev_b16_sdwa v4, v202, v4 dst_sel:DWORD dst_unused:UNUSED_PAD src0_sel:DWORD src1_sel:WORD_1
	v_add_u16_e32 v4, 0xe000, v4
	v_lshrrev_b32_e32 v5, 4, v14
	v_and_b32_e32 v6, 0x30303030, v6
	v_or_b32_sdwa v4, v10, v4 dst_sel:DWORD dst_unused:UNUSED_PAD src0_sel:DWORD src1_sel:BYTE_1
	v_add_u16_e32 v7, 0xe000, v7
	v_add_u16_sdwa v4, v4, s18 dst_sel:WORD_1 dst_unused:UNUSED_PAD src0_sel:DWORD src1_sel:DWORD
	v_and_or_b32 v5, v5, s15, v6
	v_or_b32_e32 v4, v7, v4
	v_lshlrev_b16_e32 v7, 8, v5
	v_and_b32_e32 v6, 0x3f00, v5
	v_add_u16_e32 v7, 0xe000, v7
	v_or_b32_sdwa v6, v6, v7 dst_sel:DWORD dst_unused:UNUSED_PAD src0_sel:DWORD src1_sel:BYTE_1
	v_and_b32_sdwa v7, v5, s17 dst_sel:DWORD dst_unused:UNUSED_PAD src0_sel:WORD_1 src1_sel:DWORD
	v_lshlrev_b16_sdwa v5, v202, v5 dst_sel:DWORD dst_unused:UNUSED_PAD src0_sel:DWORD src1_sel:WORD_1
	v_add_u16_e32 v5, 0xe000, v5
	v_or_b32_sdwa v5, v7, v5 dst_sel:DWORD dst_unused:UNUSED_PAD src0_sel:DWORD src1_sel:BYTE_1
	v_add_u16_e32 v6, 0xe000, v6
	v_add_u16_sdwa v5, v5, s18 dst_sel:WORD_1 dst_unused:UNUSED_PAD src0_sel:DWORD src1_sel:DWORD
	v_or_b32_e32 v5, v6, v5
	ds_write2_b32 v145, v4, v5 offset1:16
	s_waitcnt vmcnt(3)
	v_and_b32_e32 v4, 0xf0f0f0f, v66
	s_waitcnt vmcnt(2)
	v_ashrrev_i32_e32 v6, v139, v67
	v_lshlrev_b32_e32 v7, 4, v6
	v_and_or_b32 v4, v7, s16, v4
	v_lshlrev_b16_e32 v10, 8, v4
	v_and_b32_e32 v7, 0x3f00, v4
	v_add_u16_e32 v10, 0xe000, v10
	v_or_b32_sdwa v7, v7, v10 dst_sel:DWORD dst_unused:UNUSED_PAD src0_sel:DWORD src1_sel:BYTE_1
	v_and_b32_sdwa v10, v4, s17 dst_sel:DWORD dst_unused:UNUSED_PAD src0_sel:WORD_1 src1_sel:DWORD
	v_lshlrev_b16_sdwa v4, v202, v4 dst_sel:DWORD dst_unused:UNUSED_PAD src0_sel:DWORD src1_sel:WORD_1
	v_add_u16_e32 v4, 0xe000, v4
	v_or_b32_sdwa v4, v10, v4 dst_sel:DWORD dst_unused:UNUSED_PAD src0_sel:DWORD src1_sel:BYTE_1
	v_lshrrev_b32_e32 v5, 4, v66
	v_and_b32_e32 v6, 0x30303030, v6
	v_add_u16_e32 v7, 0xe000, v7
	v_add_u16_sdwa v4, v4, s18 dst_sel:WORD_1 dst_unused:UNUSED_PAD src0_sel:DWORD src1_sel:DWORD
	v_or_b32_e32 v10, v7, v4
	v_and_or_b32 v11, v5, s15, v6
	v_mad_u64_u32 v[4:5], s[20:21], v38, s5, v[2:3]
	v_add_co_u32_e32 v6, vcc, v4, v18
	v_addc_co_u32_e32 v7, vcc, 0, v5, vcc
	v_add_co_u32_e32 v4, vcc, v4, v20
	v_addc_co_u32_e32 v5, vcc, 0, v5, vcc
	global_load_dword v13, v[6:7], off
	global_load_dword v14, v[4:5], off offset:128
	v_lshlrev_b16_e32 v4, 8, v11
	v_lshlrev_b16_sdwa v6, v202, v11 dst_sel:DWORD dst_unused:UNUSED_PAD src0_sel:DWORD src1_sel:WORD_1
	v_and_b32_e32 v12, 0x3f00, v11
	v_add_u16_e32 v4, 0xe000, v4
	v_and_b32_sdwa v5, v11, s17 dst_sel:DWORD dst_unused:UNUSED_PAD src0_sel:WORD_1 src1_sel:DWORD
	v_add_u16_e32 v6, 0xe000, v6
	v_or_b32_sdwa v4, v12, v4 dst_sel:DWORD dst_unused:UNUSED_PAD src0_sel:DWORD src1_sel:BYTE_1
	v_or_b32_sdwa v5, v5, v6 dst_sel:DWORD dst_unused:UNUSED_PAD src0_sel:DWORD src1_sel:BYTE_1
	v_add_u16_e32 v4, 0xe000, v4
	v_add_u16_sdwa v5, v5, s18 dst_sel:WORD_1 dst_unused:UNUSED_PAD src0_sel:DWORD src1_sel:DWORD
	v_or_b32_e32 v4, v4, v5
	s_waitcnt vmcnt(2)
	v_ashrrev_i32_e32 v5, v139, v9
	ds_write2_b32 v146, v10, v4 offset1:16
	v_and_b32_e32 v4, 0xf0f0f0f, v8
	v_lshlrev_b32_e32 v6, 4, v5
	v_and_b32_e32 v9, 0x30303030, v5
	v_and_or_b32 v10, v6, s16, v4
	v_mad_u64_u32 v[4:5], s[20:21], v40, s5, v[2:3]
	v_add_co_u32_e32 v6, vcc, v4, v18
	v_addc_co_u32_e32 v7, vcc, 0, v5, vcc
	v_add_co_u32_e32 v4, vcc, v4, v20
	v_addc_co_u32_e32 v5, vcc, 0, v5, vcc
	global_load_dword v12, v[6:7], off
	global_load_dword v15, v[4:5], off offset:128
	v_lshlrev_b16_e32 v4, 8, v10
	v_lshlrev_b16_sdwa v6, v202, v10 dst_sel:DWORD dst_unused:UNUSED_PAD src0_sel:DWORD src1_sel:WORD_1
	v_and_b32_e32 v11, 0x3f00, v10
	v_add_u16_e32 v4, 0xe000, v4
	v_and_b32_sdwa v5, v10, s17 dst_sel:DWORD dst_unused:UNUSED_PAD src0_sel:WORD_1 src1_sel:DWORD
	v_add_u16_e32 v6, 0xe000, v6
	v_or_b32_sdwa v4, v11, v4 dst_sel:DWORD dst_unused:UNUSED_PAD src0_sel:DWORD src1_sel:BYTE_1
	v_or_b32_sdwa v5, v5, v6 dst_sel:DWORD dst_unused:UNUSED_PAD src0_sel:DWORD src1_sel:BYTE_1
	v_lshrrev_b32_e32 v8, 4, v8
	v_add_u16_e32 v4, 0xe000, v4
	v_add_u16_sdwa v5, v5, s18 dst_sel:WORD_1 dst_unused:UNUSED_PAD src0_sel:DWORD src1_sel:DWORD
	v_or_b32_e32 v10, v4, v5
	v_and_or_b32 v4, v8, s15, v9
	v_lshlrev_b16_e32 v6, 8, v4
	v_and_b32_e32 v5, 0x3f00, v4
	v_add_u16_e32 v6, 0xe000, v6
	v_or_b32_sdwa v5, v5, v6 dst_sel:DWORD dst_unused:UNUSED_PAD src0_sel:DWORD src1_sel:BYTE_1
	v_add_u16_e32 v8, 0xe000, v5
	v_and_b32_sdwa v9, v4, s17 dst_sel:DWORD dst_unused:UNUSED_PAD src0_sel:WORD_1 src1_sel:DWORD
	v_lshlrev_b16_sdwa v11, v202, v4 dst_sel:DWORD dst_unused:UNUSED_PAD src0_sel:DWORD src1_sel:WORD_1
	v_mad_u64_u32 v[4:5], s[20:21], v42, s5, v[2:3]
	v_add_co_u32_e32 v6, vcc, v4, v18
	v_addc_co_u32_e32 v7, vcc, 0, v5, vcc
	v_add_co_u32_e32 v4, vcc, v4, v20
	v_addc_co_u32_e32 v5, vcc, 0, v5, vcc
	global_load_dword v66, v[6:7], off
	global_load_dword v67, v[4:5], off offset:128
	v_add_u16_e32 v4, 0xe000, v11
	v_or_b32_sdwa v4, v9, v4 dst_sel:DWORD dst_unused:UNUSED_PAD src0_sel:DWORD src1_sel:BYTE_1
	v_add_u16_sdwa v4, v4, s18 dst_sel:WORD_1 dst_unused:UNUSED_PAD src0_sel:DWORD src1_sel:DWORD
	v_or_b32_e32 v4, v8, v4
	ds_write2_b32 v147, v10, v4 offset1:16
	v_mad_u64_u32 v[4:5], s[20:21], v44, s5, v[2:3]
	v_add_co_u32_e32 v6, vcc, v4, v18
	v_addc_co_u32_e32 v7, vcc, 0, v5, vcc
	v_add_co_u32_e32 v4, vcc, v4, v20
	v_addc_co_u32_e32 v5, vcc, 0, v5, vcc
	global_load_dword v8, v[6:7], off
	global_load_dword v9, v[4:5], off offset:128
	s_waitcnt vmcnt(7)
	v_and_b32_e32 v4, 0xf0f0f0f, v13
	s_waitcnt vmcnt(6)
	v_ashrrev_i32_e32 v6, v139, v14
	v_lshlrev_b32_e32 v7, 4, v6
	v_and_or_b32 v4, v7, s16, v4
	v_lshlrev_b16_e32 v10, 8, v4
	v_and_b32_e32 v7, 0x3f00, v4
	v_add_u16_e32 v10, 0xe000, v10
	v_or_b32_sdwa v7, v7, v10 dst_sel:DWORD dst_unused:UNUSED_PAD src0_sel:DWORD src1_sel:BYTE_1
	v_and_b32_sdwa v10, v4, s17 dst_sel:DWORD dst_unused:UNUSED_PAD src0_sel:WORD_1 src1_sel:DWORD
	v_lshlrev_b16_sdwa v4, v202, v4 dst_sel:DWORD dst_unused:UNUSED_PAD src0_sel:DWORD src1_sel:WORD_1
	v_add_u16_e32 v4, 0xe000, v4
	v_lshrrev_b32_e32 v5, 4, v13
	v_and_b32_e32 v6, 0x30303030, v6
	v_or_b32_sdwa v4, v10, v4 dst_sel:DWORD dst_unused:UNUSED_PAD src0_sel:DWORD src1_sel:BYTE_1
	v_add_u16_e32 v7, 0xe000, v7
	v_add_u16_sdwa v4, v4, s18 dst_sel:WORD_1 dst_unused:UNUSED_PAD src0_sel:DWORD src1_sel:DWORD
	v_and_or_b32 v5, v5, s15, v6
	v_or_b32_e32 v4, v7, v4
	v_lshlrev_b16_e32 v7, 8, v5
	v_and_b32_e32 v6, 0x3f00, v5
	v_add_u16_e32 v7, 0xe000, v7
	v_or_b32_sdwa v6, v6, v7 dst_sel:DWORD dst_unused:UNUSED_PAD src0_sel:DWORD src1_sel:BYTE_1
	v_and_b32_sdwa v7, v5, s17 dst_sel:DWORD dst_unused:UNUSED_PAD src0_sel:WORD_1 src1_sel:DWORD
	v_lshlrev_b16_sdwa v5, v202, v5 dst_sel:DWORD dst_unused:UNUSED_PAD src0_sel:DWORD src1_sel:WORD_1
	v_add_u16_e32 v5, 0xe000, v5
	v_or_b32_sdwa v5, v7, v5 dst_sel:DWORD dst_unused:UNUSED_PAD src0_sel:DWORD src1_sel:BYTE_1
	v_add_u16_e32 v6, 0xe000, v6
	v_add_u16_sdwa v5, v5, s18 dst_sel:WORD_1 dst_unused:UNUSED_PAD src0_sel:DWORD src1_sel:DWORD
	v_or_b32_e32 v5, v6, v5
	ds_write2_b32 v149, v4, v5 offset1:16
	s_waitcnt vmcnt(4)
	v_ashrrev_i32_e32 v6, v139, v15
	v_and_b32_e32 v4, 0xf0f0f0f, v12
	v_lshlrev_b32_e32 v7, 4, v6
	v_and_or_b32 v4, v7, s16, v4
	v_lshlrev_b16_e32 v10, 8, v4
	v_and_b32_e32 v7, 0x3f00, v4
	v_add_u16_e32 v10, 0xe000, v10
	v_or_b32_sdwa v7, v7, v10 dst_sel:DWORD dst_unused:UNUSED_PAD src0_sel:DWORD src1_sel:BYTE_1
	v_and_b32_sdwa v10, v4, s17 dst_sel:DWORD dst_unused:UNUSED_PAD src0_sel:WORD_1 src1_sel:DWORD
	v_lshlrev_b16_sdwa v4, v202, v4 dst_sel:DWORD dst_unused:UNUSED_PAD src0_sel:DWORD src1_sel:WORD_1
	v_add_u16_e32 v4, 0xe000, v4
	v_lshrrev_b32_e32 v5, 4, v12
	v_and_b32_e32 v6, 0x30303030, v6
	v_or_b32_sdwa v4, v10, v4 dst_sel:DWORD dst_unused:UNUSED_PAD src0_sel:DWORD src1_sel:BYTE_1
	v_add_u16_e32 v7, 0xe000, v7
	v_add_u16_sdwa v4, v4, s18 dst_sel:WORD_1 dst_unused:UNUSED_PAD src0_sel:DWORD src1_sel:DWORD
	v_and_or_b32 v5, v5, s15, v6
	v_or_b32_e32 v4, v7, v4
	v_lshlrev_b16_e32 v7, 8, v5
	v_and_b32_e32 v6, 0x3f00, v5
	v_add_u16_e32 v7, 0xe000, v7
	v_or_b32_sdwa v6, v6, v7 dst_sel:DWORD dst_unused:UNUSED_PAD src0_sel:DWORD src1_sel:BYTE_1
	v_and_b32_sdwa v7, v5, s17 dst_sel:DWORD dst_unused:UNUSED_PAD src0_sel:WORD_1 src1_sel:DWORD
	v_lshlrev_b16_sdwa v5, v202, v5 dst_sel:DWORD dst_unused:UNUSED_PAD src0_sel:DWORD src1_sel:WORD_1
	v_add_u16_e32 v5, 0xe000, v5
	v_or_b32_sdwa v5, v7, v5 dst_sel:DWORD dst_unused:UNUSED_PAD src0_sel:DWORD src1_sel:BYTE_1
	v_add_u16_e32 v6, 0xe000, v6
	v_add_u16_sdwa v5, v5, s18 dst_sel:WORD_1 dst_unused:UNUSED_PAD src0_sel:DWORD src1_sel:DWORD
	v_or_b32_e32 v5, v6, v5
	ds_write2_b32 v150, v4, v5 offset1:16
	s_waitcnt vmcnt(3)
	v_and_b32_e32 v4, 0xf0f0f0f, v66
	s_waitcnt vmcnt(2)
	v_ashrrev_i32_e32 v6, v139, v67
	v_lshlrev_b32_e32 v7, 4, v6
	v_and_or_b32 v4, v7, s16, v4
	v_lshlrev_b16_e32 v10, 8, v4
	v_and_b32_e32 v7, 0x3f00, v4
	v_add_u16_e32 v10, 0xe000, v10
	v_or_b32_sdwa v7, v7, v10 dst_sel:DWORD dst_unused:UNUSED_PAD src0_sel:DWORD src1_sel:BYTE_1
	v_and_b32_sdwa v10, v4, s17 dst_sel:DWORD dst_unused:UNUSED_PAD src0_sel:WORD_1 src1_sel:DWORD
	v_lshlrev_b16_sdwa v4, v202, v4 dst_sel:DWORD dst_unused:UNUSED_PAD src0_sel:DWORD src1_sel:WORD_1
	v_add_u16_e32 v4, 0xe000, v4
	v_or_b32_sdwa v4, v10, v4 dst_sel:DWORD dst_unused:UNUSED_PAD src0_sel:DWORD src1_sel:BYTE_1
	v_lshrrev_b32_e32 v5, 4, v66
	v_and_b32_e32 v6, 0x30303030, v6
	v_add_u16_e32 v7, 0xe000, v7
	v_add_u16_sdwa v4, v4, s18 dst_sel:WORD_1 dst_unused:UNUSED_PAD src0_sel:DWORD src1_sel:DWORD
	v_or_b32_e32 v10, v7, v4
	v_and_or_b32 v11, v5, s15, v6
	v_mad_u64_u32 v[4:5], s[20:21], v46, s5, v[2:3]
	v_add_co_u32_e32 v6, vcc, v4, v18
	v_addc_co_u32_e32 v7, vcc, 0, v5, vcc
	v_add_co_u32_e32 v4, vcc, v4, v20
	v_addc_co_u32_e32 v5, vcc, 0, v5, vcc
	global_load_dword v13, v[6:7], off
	global_load_dword v14, v[4:5], off offset:128
	v_lshlrev_b16_e32 v4, 8, v11
	v_lshlrev_b16_sdwa v6, v202, v11 dst_sel:DWORD dst_unused:UNUSED_PAD src0_sel:DWORD src1_sel:WORD_1
	v_and_b32_e32 v12, 0x3f00, v11
	v_add_u16_e32 v4, 0xe000, v4
	v_and_b32_sdwa v5, v11, s17 dst_sel:DWORD dst_unused:UNUSED_PAD src0_sel:WORD_1 src1_sel:DWORD
	v_add_u16_e32 v6, 0xe000, v6
	v_or_b32_sdwa v4, v12, v4 dst_sel:DWORD dst_unused:UNUSED_PAD src0_sel:DWORD src1_sel:BYTE_1
	v_or_b32_sdwa v5, v5, v6 dst_sel:DWORD dst_unused:UNUSED_PAD src0_sel:DWORD src1_sel:BYTE_1
	v_add_u16_e32 v4, 0xe000, v4
	v_add_u16_sdwa v5, v5, s18 dst_sel:WORD_1 dst_unused:UNUSED_PAD src0_sel:DWORD src1_sel:DWORD
	v_or_b32_e32 v4, v4, v5
	s_waitcnt vmcnt(2)
	v_ashrrev_i32_e32 v5, v139, v9
	ds_write2_b32 v151, v10, v4 offset1:16
	v_and_b32_e32 v4, 0xf0f0f0f, v8
	v_lshlrev_b32_e32 v6, 4, v5
	v_and_b32_e32 v9, 0x30303030, v5
	v_and_or_b32 v10, v6, s16, v4
	v_mad_u64_u32 v[4:5], s[20:21], v48, s5, v[2:3]
	v_add_co_u32_e32 v6, vcc, v4, v18
	v_addc_co_u32_e32 v7, vcc, 0, v5, vcc
	v_add_co_u32_e32 v4, vcc, v4, v20
	v_addc_co_u32_e32 v5, vcc, 0, v5, vcc
	global_load_dword v12, v[6:7], off
	global_load_dword v15, v[4:5], off offset:128
	v_lshlrev_b16_e32 v4, 8, v10
	v_lshlrev_b16_sdwa v6, v202, v10 dst_sel:DWORD dst_unused:UNUSED_PAD src0_sel:DWORD src1_sel:WORD_1
	v_and_b32_e32 v11, 0x3f00, v10
	v_add_u16_e32 v4, 0xe000, v4
	v_and_b32_sdwa v5, v10, s17 dst_sel:DWORD dst_unused:UNUSED_PAD src0_sel:WORD_1 src1_sel:DWORD
	v_add_u16_e32 v6, 0xe000, v6
	v_or_b32_sdwa v4, v11, v4 dst_sel:DWORD dst_unused:UNUSED_PAD src0_sel:DWORD src1_sel:BYTE_1
	v_or_b32_sdwa v5, v5, v6 dst_sel:DWORD dst_unused:UNUSED_PAD src0_sel:DWORD src1_sel:BYTE_1
	v_lshrrev_b32_e32 v8, 4, v8
	v_add_u16_e32 v4, 0xe000, v4
	v_add_u16_sdwa v5, v5, s18 dst_sel:WORD_1 dst_unused:UNUSED_PAD src0_sel:DWORD src1_sel:DWORD
	v_or_b32_e32 v4, v4, v5
	v_and_or_b32 v5, v8, s15, v9
	v_lshlrev_b16_e32 v7, 8, v5
	v_and_b32_e32 v6, 0x3f00, v5
	v_add_u16_e32 v7, 0xe000, v7
	v_or_b32_sdwa v6, v6, v7 dst_sel:DWORD dst_unused:UNUSED_PAD src0_sel:DWORD src1_sel:BYTE_1
	v_and_b32_sdwa v7, v5, s17 dst_sel:DWORD dst_unused:UNUSED_PAD src0_sel:WORD_1 src1_sel:DWORD
	v_lshlrev_b16_sdwa v5, v202, v5 dst_sel:DWORD dst_unused:UNUSED_PAD src0_sel:DWORD src1_sel:WORD_1
	v_add_u16_e32 v5, 0xe000, v5
	v_or_b32_sdwa v5, v7, v5 dst_sel:DWORD dst_unused:UNUSED_PAD src0_sel:DWORD src1_sel:BYTE_1
	v_add_u16_e32 v6, 0xe000, v6
	v_add_u16_sdwa v5, v5, s18 dst_sel:WORD_1 dst_unused:UNUSED_PAD src0_sel:DWORD src1_sel:DWORD
	v_or_b32_e32 v5, v6, v5
	ds_write2_b32 v152, v4, v5 offset1:16
	v_mad_u64_u32 v[4:5], s[20:21], v50, s5, v[2:3]
	v_add_co_u32_e32 v6, vcc, v4, v18
	v_addc_co_u32_e32 v7, vcc, 0, v5, vcc
	v_add_co_u32_e32 v4, vcc, v4, v20
	v_addc_co_u32_e32 v5, vcc, 0, v5, vcc
	v_mad_u64_u32 v[2:3], s[20:21], v52, s5, v[2:3]
	v_add_co_u32_e32 v8, vcc, v2, v18
	v_addc_co_u32_e32 v9, vcc, 0, v3, vcc
	v_add_co_u32_e32 v2, vcc, v2, v20
	v_addc_co_u32_e32 v3, vcc, 0, v3, vcc
	global_load_dword v68, v[6:7], off
	global_load_dword v69, v[4:5], off offset:128
	global_load_dword v70, v[8:9], off
	global_load_dword v71, v[2:3], off offset:128
	s_mov_b32 s21, 0
	s_waitcnt vmcnt(7)
	v_and_b32_e32 v2, 0xf0f0f0f, v13
	s_waitcnt vmcnt(6)
	v_ashrrev_i32_e32 v4, v139, v14
	v_lshlrev_b32_e32 v5, 4, v4
	v_and_or_b32 v2, v5, s16, v2
	v_lshlrev_b16_e32 v6, 8, v2
	v_and_b32_e32 v5, 0x3f00, v2
	v_add_u16_e32 v6, 0xe000, v6
	v_or_b32_sdwa v5, v5, v6 dst_sel:DWORD dst_unused:UNUSED_PAD src0_sel:DWORD src1_sel:BYTE_1
	v_and_b32_sdwa v6, v2, s17 dst_sel:DWORD dst_unused:UNUSED_PAD src0_sel:WORD_1 src1_sel:DWORD
	v_lshlrev_b16_sdwa v2, v202, v2 dst_sel:DWORD dst_unused:UNUSED_PAD src0_sel:DWORD src1_sel:WORD_1
	v_add_u16_e32 v2, 0xe000, v2
	v_lshrrev_b32_e32 v3, 4, v13
	v_and_b32_e32 v4, 0x30303030, v4
	v_or_b32_sdwa v2, v6, v2 dst_sel:DWORD dst_unused:UNUSED_PAD src0_sel:DWORD src1_sel:BYTE_1
	v_add_u16_e32 v5, 0xe000, v5
	v_add_u16_sdwa v2, v2, s18 dst_sel:WORD_1 dst_unused:UNUSED_PAD src0_sel:DWORD src1_sel:DWORD
	v_and_or_b32 v3, v3, s15, v4
	v_or_b32_e32 v2, v5, v2
	v_lshlrev_b16_e32 v5, 8, v3
	v_and_b32_e32 v4, 0x3f00, v3
	v_add_u16_e32 v5, 0xe000, v5
	v_or_b32_sdwa v4, v4, v5 dst_sel:DWORD dst_unused:UNUSED_PAD src0_sel:DWORD src1_sel:BYTE_1
	v_and_b32_sdwa v5, v3, s17 dst_sel:DWORD dst_unused:UNUSED_PAD src0_sel:WORD_1 src1_sel:DWORD
	v_lshlrev_b16_sdwa v3, v202, v3 dst_sel:DWORD dst_unused:UNUSED_PAD src0_sel:DWORD src1_sel:WORD_1
	v_add_u16_e32 v3, 0xe000, v3
	v_or_b32_sdwa v3, v5, v3 dst_sel:DWORD dst_unused:UNUSED_PAD src0_sel:DWORD src1_sel:BYTE_1
	v_add_u16_e32 v4, 0xe000, v4
	v_add_u16_sdwa v3, v3, s18 dst_sel:WORD_1 dst_unused:UNUSED_PAD src0_sel:DWORD src1_sel:DWORD
	v_or_b32_e32 v3, v4, v3
	ds_write2_b32 v153, v2, v3 offset1:16
	s_waitcnt vmcnt(4)
	v_ashrrev_i32_e32 v4, v139, v15
	v_and_b32_e32 v2, 0xf0f0f0f, v12
	v_lshlrev_b32_e32 v5, 4, v4
	v_and_or_b32 v2, v5, s16, v2
	v_lshlrev_b16_e32 v6, 8, v2
	v_and_b32_e32 v5, 0x3f00, v2
	v_add_u16_e32 v6, 0xe000, v6
	v_or_b32_sdwa v5, v5, v6 dst_sel:DWORD dst_unused:UNUSED_PAD src0_sel:DWORD src1_sel:BYTE_1
	v_and_b32_sdwa v6, v2, s17 dst_sel:DWORD dst_unused:UNUSED_PAD src0_sel:WORD_1 src1_sel:DWORD
	v_lshlrev_b16_sdwa v2, v202, v2 dst_sel:DWORD dst_unused:UNUSED_PAD src0_sel:DWORD src1_sel:WORD_1
	v_lshrrev_b32_e32 v3, 4, v12
	v_and_b32_e32 v4, 0x30303030, v4
	v_add_u16_e32 v2, 0xe000, v2
	v_or_b32_sdwa v2, v6, v2 dst_sel:DWORD dst_unused:UNUSED_PAD src0_sel:DWORD src1_sel:BYTE_1
	v_and_or_b32 v73, v3, s15, v4
	v_add_u16_e32 v5, 0xe000, v5
	v_add_u16_sdwa v2, v2, s18 dst_sel:WORD_1 dst_unused:UNUSED_PAD src0_sel:DWORD src1_sel:DWORD
	v_lshlrev_b16_e32 v3, 8, v73
	v_or_b32_e32 v72, v5, v2
	v_and_b32_e32 v2, 0x3f00, v73
	v_add_u16_e32 v3, 0xe000, v3
	v_or_b32_sdwa v2, v2, v3 dst_sel:DWORD dst_unused:UNUSED_PAD src0_sel:DWORD src1_sel:BYTE_1
	v_add_u16_e32 v74, 0xe000, v2
	v_mov_b32_e32 v3, s1
	v_add_co_u32_e32 v2, vcc, s0, v56
	v_addc_co_u32_e32 v3, vcc, 0, v3, vcc
	v_mad_u64_u32 v[4:5], s[0:1], v58, s5, v[2:3]
	v_mad_u64_u32 v[2:3], s[0:1], v60, s5, v[2:3]
	v_add_u32_e32 v14, s19, v165
	global_load_ushort v75, v[0:1], off offset:208
	global_load_dword v76, v[4:5], off offset:192
	global_load_dword v77, v[2:3], off offset:192
	v_add_u32_e32 v0, v14, v166
	v_add_u32_e32 v2, v14, v168
	;; [unrolled: 1-line block ×5, first 2 shown]
	v_mad_i64_i32 v[0:1], s[0:1], v0, 36, v[62:63]
	v_mad_i64_i32 v[2:3], s[0:1], v2, 36, v[62:63]
	;; [unrolled: 1-line block ×5, first 2 shown]
	v_add_u32_e32 v10, v14, v180
	v_add_u32_e32 v12, v14, v183
	;; [unrolled: 1-line block ×3, first 2 shown]
	v_mad_i64_i32 v[10:11], s[0:1], v10, 36, v[62:63]
	v_mad_i64_i32 v[12:13], s[0:1], v12, 36, v[62:63]
	;; [unrolled: 1-line block ×3, first 2 shown]
	v_mad_u64_u32 v[66:67], s[0:1], v203, 36, s[2:3]
	global_load_dword v0, v[0:1], off offset:4
	s_nop 0
	global_load_dword v1, v[2:3], off offset:4
	s_nop 0
	global_load_dword v2, v[4:5], off offset:4
	global_load_dword v3, v[6:7], off offset:4
	s_nop 0
	global_load_dword v4, v[8:9], off offset:4
	global_load_dword v5, v[66:67], off
	global_load_dword v6, v[10:11], off offset:4
	global_load_dword v7, v[12:13], off offset:4
	s_nop 0
	global_load_dword v8, v[14:15], off offset:4
	v_lshlrev_b16_sdwa v10, v202, v73 dst_sel:DWORD dst_unused:UNUSED_PAD src0_sel:DWORD src1_sel:WORD_1
	v_and_b32_sdwa v9, v73, s17 dst_sel:DWORD dst_unused:UNUSED_PAD src0_sel:WORD_1 src1_sel:DWORD
	v_add_u16_e32 v10, 0xe000, v10
	v_or_b32_sdwa v9, v9, v10 dst_sel:DWORD dst_unused:UNUSED_PAD src0_sel:DWORD src1_sel:BYTE_1
	v_add_u16_sdwa v9, v9, s18 dst_sel:WORD_1 dst_unused:UNUSED_PAD src0_sel:DWORD src1_sel:DWORD
	v_or_b32_e32 v9, v74, v9
	s_waitcnt vmcnt(14)
	v_ashrrev_i32_e32 v11, v139, v69
	ds_write2_b32 v154, v72, v9 offset1:16
	v_and_b32_e32 v9, 0xf0f0f0f, v68
	v_lshlrev_b32_e32 v12, 4, v11
	v_and_or_b32 v9, v12, s16, v9
	v_lshlrev_b16_e32 v13, 8, v9
	v_and_b32_e32 v12, 0x3f00, v9
	v_add_u16_e32 v13, 0xe000, v13
	v_or_b32_sdwa v12, v12, v13 dst_sel:DWORD dst_unused:UNUSED_PAD src0_sel:DWORD src1_sel:BYTE_1
	v_and_b32_sdwa v13, v9, s17 dst_sel:DWORD dst_unused:UNUSED_PAD src0_sel:WORD_1 src1_sel:DWORD
	v_lshlrev_b16_sdwa v9, v202, v9 dst_sel:DWORD dst_unused:UNUSED_PAD src0_sel:DWORD src1_sel:WORD_1
	v_add_u16_e32 v9, 0xe000, v9
	v_lshrrev_b32_e32 v10, 4, v68
	v_and_b32_e32 v11, 0x30303030, v11
	v_or_b32_sdwa v9, v13, v9 dst_sel:DWORD dst_unused:UNUSED_PAD src0_sel:DWORD src1_sel:BYTE_1
	v_add_u16_e32 v12, 0xe000, v12
	v_add_u16_sdwa v9, v9, s18 dst_sel:WORD_1 dst_unused:UNUSED_PAD src0_sel:DWORD src1_sel:DWORD
	v_and_or_b32 v10, v10, s15, v11
	v_or_b32_e32 v9, v12, v9
	v_lshlrev_b16_e32 v12, 8, v10
	v_and_b32_e32 v11, 0x3f00, v10
	v_add_u16_e32 v12, 0xe000, v12
	v_or_b32_sdwa v11, v11, v12 dst_sel:DWORD dst_unused:UNUSED_PAD src0_sel:DWORD src1_sel:BYTE_1
	v_and_b32_sdwa v12, v10, s17 dst_sel:DWORD dst_unused:UNUSED_PAD src0_sel:WORD_1 src1_sel:DWORD
	v_lshlrev_b16_sdwa v10, v202, v10 dst_sel:DWORD dst_unused:UNUSED_PAD src0_sel:DWORD src1_sel:WORD_1
	v_add_u16_e32 v10, 0xe000, v10
	v_or_b32_sdwa v10, v12, v10 dst_sel:DWORD dst_unused:UNUSED_PAD src0_sel:DWORD src1_sel:BYTE_1
	v_add_u16_e32 v11, 0xe000, v11
	v_add_u16_sdwa v10, v10, s18 dst_sel:WORD_1 dst_unused:UNUSED_PAD src0_sel:DWORD src1_sel:DWORD
	v_or_b32_e32 v10, v11, v10
	s_waitcnt vmcnt(12)
	v_ashrrev_i32_e32 v11, v139, v71
	ds_write2_b32 v155, v9, v10 offset1:16
	v_and_b32_e32 v9, 0xf0f0f0f, v70
	v_lshlrev_b32_e32 v12, 4, v11
	v_and_or_b32 v9, v12, s16, v9
	v_lshlrev_b16_e32 v13, 8, v9
	v_and_b32_e32 v12, 0x3f00, v9
	v_add_u16_e32 v13, 0xe000, v13
	v_or_b32_sdwa v12, v12, v13 dst_sel:DWORD dst_unused:UNUSED_PAD src0_sel:DWORD src1_sel:BYTE_1
	v_and_b32_sdwa v13, v9, s17 dst_sel:DWORD dst_unused:UNUSED_PAD src0_sel:WORD_1 src1_sel:DWORD
	v_lshlrev_b16_sdwa v9, v202, v9 dst_sel:DWORD dst_unused:UNUSED_PAD src0_sel:DWORD src1_sel:WORD_1
	v_add_u16_e32 v9, 0xe000, v9
	v_lshrrev_b32_e32 v10, 4, v70
	v_and_b32_e32 v11, 0x30303030, v11
	v_or_b32_sdwa v9, v13, v9 dst_sel:DWORD dst_unused:UNUSED_PAD src0_sel:DWORD src1_sel:BYTE_1
	v_add_u16_e32 v12, 0xe000, v12
	v_add_u16_sdwa v9, v9, s18 dst_sel:WORD_1 dst_unused:UNUSED_PAD src0_sel:DWORD src1_sel:DWORD
	v_and_or_b32 v10, v10, s15, v11
	v_or_b32_e32 v9, v12, v9
	v_lshlrev_b16_e32 v12, 8, v10
	v_and_b32_e32 v11, 0x3f00, v10
	v_add_u16_e32 v12, 0xe000, v12
	v_or_b32_sdwa v11, v11, v12 dst_sel:DWORD dst_unused:UNUSED_PAD src0_sel:DWORD src1_sel:BYTE_1
	v_and_b32_sdwa v12, v10, s17 dst_sel:DWORD dst_unused:UNUSED_PAD src0_sel:WORD_1 src1_sel:DWORD
	v_lshlrev_b16_sdwa v10, v202, v10 dst_sel:DWORD dst_unused:UNUSED_PAD src0_sel:DWORD src1_sel:WORD_1
	v_add_u16_e32 v10, 0xe000, v10
	v_or_b32_sdwa v10, v12, v10 dst_sel:DWORD dst_unused:UNUSED_PAD src0_sel:DWORD src1_sel:BYTE_1
	s_waitcnt vmcnt(11)
	v_cvt_f32_f16_e32 v12, v75
	v_add_u16_e32 v11, 0xe000, v11
	v_add_u16_sdwa v10, v10, s18 dst_sel:WORD_1 dst_unused:UNUSED_PAD src0_sel:DWORD src1_sel:DWORD
	v_or_b32_e32 v10, v11, v10
	ds_write2_b32 v156, v9, v10 offset1:16
	ds_write_b32 v159, v12
	s_waitcnt vmcnt(10)
	ds_write_b32 v161, v76
	s_waitcnt vmcnt(9)
	;; [unrolled: 2-line block ×8, first 2 shown]
	v_cvt_f32_f16_e32 v0, v5
	s_waitcnt vmcnt(2)
	ds_write_b32 v182, v6
	s_waitcnt vmcnt(1)
	ds_write_b32 v185, v7
	;; [unrolled: 2-line block ×3, first 2 shown]
	ds_write_b32 v164, v0
	s_waitcnt lgkmcnt(0)
	s_barrier
	ds_read_b32 v204, v189
	ds_read_b32 v205, v191 offset:128
	ds_read_b32 v206, v192 offset:256
	;; [unrolled: 1-line block ×3, first 2 shown]
	s_mov_b64 s[0:1], -1
.LBB155_6:                              ;   Parent Loop BB155_5 Depth=1
                                        ; =>  This Inner Loop Header: Depth=2
	s_lshl_b32 s20, s21, 1
	v_or_b32_e32 v0, s20, v158
	v_lshlrev_b32_e32 v12, 2, v0
	s_lshr_b32 s22, s21, 1
	s_lshl_b32 s21, s21, 3
	v_lshrrev_b32_e32 v66, 1, v0
	ds_read_b128 v[0:3], v12 offset:33280
	ds_read_b128 v[4:7], v12 offset:33296
	;; [unrolled: 1-line block ×4, first 2 shown]
	ds_read_b64 v[130:131], v66 offset:43584
	v_add_u32_e32 v74, s22, v194
	v_add_u32_e32 v75, s21, v195
	ds_read2_b32 v[70:71], v75 offset0:6 offset1:7
	ds_read2_b32 v[72:73], v75 offset0:4 offset1:5
	;; [unrolled: 1-line block ×3, first 2 shown]
	ds_read2_b32 v[68:69], v75 offset1:1
	ds_read_b32 v76, v74
	ds_read2_b32 v[126:127], v75 offset0:14 offset1:15
	ds_read2_b32 v[128:129], v75 offset0:12 offset1:13
	v_mov_b32_e32 v74, 0
	ds_read2_b32 v[82:83], v75 offset0:10 offset1:11
	ds_read2_b32 v[84:85], v75 offset0:8 offset1:9
	s_waitcnt lgkmcnt(7)
	v_dot4c_i32_i8_e32 v74, v72, v4
	v_mov_b32_e32 v75, 0
	v_dot4c_i32_i8_e32 v74, v73, v5
	s_waitcnt lgkmcnt(5)
	v_dot4c_i32_i8_e32 v75, v68, v0
	v_dot4c_i32_i8_e32 v74, v70, v6
	;; [unrolled: 1-line block ×4, first 2 shown]
	s_waitcnt lgkmcnt(4)
	v_bfe_i32 v208, v76, 8, 8
	v_dot4c_i32_i8_e32 v75, v66, v2
	v_dot4c_i32_i8_e32 v75, v67, v3
	v_mul_lo_u32 v74, v74, v208
	v_bfe_i32 v209, v76, 0, 8
	v_mov_b32_e32 v77, 0
	v_mad_u64_u32 v[74:75], s[24:25], v75, v209, v[74:75]
	s_waitcnt lgkmcnt(2)
	v_dot4c_i32_i8_e32 v77, v128, v12
	v_mov_b32_e32 v78, 0
	v_cvt_f32_i32_e32 v74, v74
	v_dot4c_i32_i8_e32 v77, v129, v13
	s_waitcnt lgkmcnt(0)
	v_dot4c_i32_i8_e32 v78, v84, v8
	v_dot4c_i32_i8_e32 v77, v126, v14
	;; [unrolled: 1-line block ×5, first 2 shown]
	v_ashrrev_i32_e32 v211, 24, v76
	v_dot4c_i32_i8_e32 v78, v83, v11
	v_fma_f32 v79, v130, v74, 0
	v_bfe_i32 v210, v76, 16, 8
	v_mul_lo_u32 v74, v77, v211
	v_mad_u64_u32 v[74:75], s[24:25], v78, v210, v[74:75]
	v_cvt_f32_i32_e32 v74, v74
	v_add_u32_e32 v86, s22, v196
	v_add_u32_e32 v90, s21, v197
	v_mov_b32_e32 v91, 0
	v_fmac_f32_e32 v79, v131, v74
	v_fmac_f32_e32 v163, v204, v79
	ds_read2_b32 v[78:79], v90 offset0:6 offset1:7
	ds_read2_b32 v[80:81], v90 offset0:4 offset1:5
	;; [unrolled: 1-line block ×3, first 2 shown]
	ds_read2_b32 v[76:77], v90 offset1:1
	ds_read_b32 v92, v86
	ds_read2_b32 v[86:87], v90 offset0:14 offset1:15
	ds_read2_b32 v[88:89], v90 offset0:12 offset1:13
	;; [unrolled: 1-line block ×4, first 2 shown]
	v_mov_b32_e32 v90, 0
	s_waitcnt lgkmcnt(7)
	v_dot4c_i32_i8_e32 v90, v80, v4
	v_dot4c_i32_i8_e32 v90, v81, v5
	s_waitcnt lgkmcnt(5)
	v_dot4c_i32_i8_e32 v91, v76, v0
	v_dot4c_i32_i8_e32 v90, v78, v6
	;; [unrolled: 1-line block ×4, first 2 shown]
	s_waitcnt lgkmcnt(4)
	v_bfe_i32 v212, v92, 8, 8
	v_dot4c_i32_i8_e32 v91, v74, v2
	v_dot4c_i32_i8_e32 v91, v75, v3
	v_mul_lo_u32 v90, v90, v212
	v_bfe_i32 v213, v92, 0, 8
	v_mov_b32_e32 v93, 0
	v_mad_u64_u32 v[90:91], s[24:25], v91, v213, v[90:91]
	s_waitcnt lgkmcnt(2)
	v_dot4c_i32_i8_e32 v93, v88, v12
	v_mov_b32_e32 v94, 0
	v_cvt_f32_i32_e32 v90, v90
	v_dot4c_i32_i8_e32 v93, v89, v13
	s_waitcnt lgkmcnt(0)
	v_dot4c_i32_i8_e32 v94, v104, v8
	v_dot4c_i32_i8_e32 v93, v86, v14
	;; [unrolled: 1-line block ×5, first 2 shown]
	v_ashrrev_i32_e32 v215, 24, v92
	v_dot4c_i32_i8_e32 v94, v101, v11
	v_fma_f32 v95, v130, v90, 0
	v_bfe_i32 v214, v92, 16, 8
	v_mul_lo_u32 v90, v93, v215
	v_mad_u64_u32 v[90:91], s[24:25], v94, v214, v[90:91]
	v_cvt_f32_i32_e32 v90, v90
	v_add_u32_e32 v98, s22, v198
	v_add_u32_e32 v99, s21, v199
	v_mov_b32_e32 v103, 0
	v_fmac_f32_e32 v95, v131, v90
	v_fmac_f32_e32 v160, v205, v95
	ds_read2_b32 v[94:95], v99 offset0:6 offset1:7
	ds_read2_b32 v[96:97], v99 offset0:4 offset1:5
	;; [unrolled: 1-line block ×3, first 2 shown]
	ds_read2_b32 v[92:93], v99 offset1:1
	ds_read_b32 v102, v98
	ds_read2_b32 v[106:107], v99 offset0:14 offset1:15
	ds_read2_b32 v[108:109], v99 offset0:12 offset1:13
	v_mov_b32_e32 v98, 0
	ds_read2_b32 v[116:117], v99 offset0:10 offset1:11
	ds_read2_b32 v[120:121], v99 offset0:8 offset1:9
	s_waitcnt lgkmcnt(7)
	v_dot4c_i32_i8_e32 v98, v96, v4
	v_mov_b32_e32 v99, 0
	v_dot4c_i32_i8_e32 v98, v97, v5
	s_waitcnt lgkmcnt(5)
	v_dot4c_i32_i8_e32 v99, v92, v0
	v_dot4c_i32_i8_e32 v98, v94, v6
	;; [unrolled: 1-line block ×4, first 2 shown]
	s_waitcnt lgkmcnt(4)
	v_bfe_i32 v216, v102, 8, 8
	v_dot4c_i32_i8_e32 v99, v90, v2
	v_dot4c_i32_i8_e32 v99, v91, v3
	v_mul_lo_u32 v98, v98, v216
	v_bfe_i32 v217, v102, 0, 8
	s_waitcnt lgkmcnt(2)
	v_dot4c_i32_i8_e32 v103, v108, v12
	v_mad_u64_u32 v[98:99], s[24:25], v99, v217, v[98:99]
	v_mov_b32_e32 v110, 0
	v_cvt_f32_i32_e32 v98, v98
	v_dot4c_i32_i8_e32 v103, v109, v13
	s_waitcnt lgkmcnt(0)
	v_dot4c_i32_i8_e32 v110, v120, v8
	v_dot4c_i32_i8_e32 v103, v106, v14
	;; [unrolled: 1-line block ×5, first 2 shown]
	v_ashrrev_i32_e32 v219, 24, v102
	v_dot4c_i32_i8_e32 v110, v117, v11
	v_fma_f32 v111, v130, v98, 0
	v_bfe_i32 v218, v102, 16, 8
	v_mul_lo_u32 v98, v103, v219
	v_mad_u64_u32 v[98:99], s[24:25], v110, v218, v[98:99]
	v_cvt_f32_i32_e32 v98, v98
	v_add_u32_e32 v114, s22, v200
	v_add_u32_e32 v124, s21, v201
	v_mov_b32_e32 v224, 0
	v_fmac_f32_e32 v111, v131, v98
	v_fmac_f32_e32 v157, v206, v111
	ds_read2_b32 v[110:111], v124 offset0:6 offset1:7
	ds_read2_b32 v[112:113], v124 offset0:4 offset1:5
	;; [unrolled: 1-line block ×3, first 2 shown]
	ds_read2_b32 v[102:103], v124 offset1:1
	ds_read_b32 v223, v114
	ds_read2_b32 v[114:115], v124 offset0:14 offset1:15
	ds_read2_b32 v[118:119], v124 offset0:12 offset1:13
	;; [unrolled: 1-line block ×4, first 2 shown]
	v_mov_b32_e32 v225, 0
	s_waitcnt lgkmcnt(4)
	v_bfe_i32 v220, v223, 8, 8
	v_bfe_i32 v221, v223, 0, 8
	s_waitcnt lgkmcnt(2)
	v_dot4c_i32_i8_e32 v224, v118, v12
	v_mov_b32_e32 v12, 0
	s_waitcnt lgkmcnt(0)
	v_dot4c_i32_i8_e32 v12, v124, v8
	v_mov_b32_e32 v8, 0
	v_dot4c_i32_i8_e32 v8, v112, v4
	v_dot4c_i32_i8_e32 v8, v113, v5
	v_mov_b32_e32 v5, 0
	v_dot4c_i32_i8_e32 v5, v102, v0
	v_dot4c_i32_i8_e32 v8, v110, v6
	;; [unrolled: 1-line block ×7, first 2 shown]
	v_mul_lo_u32 v4, v8, v220
	v_dot4c_i32_i8_e32 v224, v114, v14
	v_mad_u64_u32 v[0:1], s[22:23], v5, v221, v[4:5]
	v_cvt_f32_i32_e32 v0, v0
	v_dot4c_i32_i8_e32 v12, v125, v9
	v_dot4c_i32_i8_e32 v224, v115, v15
	v_dot4c_i32_i8_e32 v12, v122, v10
	v_bfe_i32 v222, v223, 16, 8
	v_ashrrev_i32_e32 v223, 24, v223
	v_dot4c_i32_i8_e32 v12, v123, v11
	v_fma_f32 v2, v130, v0, 0
	v_mul_lo_u32 v0, v224, v223
	v_mov_b32_e32 v224, 0
	v_mad_u64_u32 v[0:1], s[22:23], v12, v222, v[0:1]
	v_cvt_f32_i32_e32 v0, v0
	v_mov_b32_e32 v226, 0
	v_mov_b32_e32 v227, 0
	s_and_b64 vcc, exec, s[0:1]
	v_fmac_f32_e32 v2, v131, v0
	v_or_b32_e32 v0, s20, v169
	v_lshlrev_b32_e32 v12, 2, v0
	v_lshrrev_b32_e32 v130, 1, v0
	v_fmac_f32_e32 v148, v207, v2
	ds_read_b128 v[0:3], v12 offset:33280
	ds_read_b128 v[4:7], v12 offset:33296
	;; [unrolled: 1-line block ×4, first 2 shown]
	ds_read_b64 v[130:131], v130 offset:43584
	s_waitcnt lgkmcnt(4)
	v_dot4c_i32_i8_e32 v225, v68, v0
	s_waitcnt lgkmcnt(3)
	v_dot4c_i32_i8_e32 v224, v72, v4
	v_dot4c_i32_i8_e32 v224, v73, v5
	;; [unrolled: 1-line block ×7, first 2 shown]
	s_waitcnt lgkmcnt(1)
	v_dot4c_i32_i8_e32 v226, v128, v12
	v_mul_lo_u32 v224, v224, v208
	v_dot4c_i32_i8_e32 v226, v129, v13
	v_mad_u64_u32 v[224:225], s[22:23], v225, v209, v[224:225]
	v_cvt_f32_i32_e32 v224, v224
	v_dot4c_i32_i8_e32 v227, v84, v8
	v_dot4c_i32_i8_e32 v226, v126, v14
	;; [unrolled: 1-line block ×6, first 2 shown]
	s_waitcnt lgkmcnt(0)
	v_fma_f32 v228, v130, v224, 0
	v_mul_lo_u32 v224, v226, v211
	v_mov_b32_e32 v226, 0
	v_mad_u64_u32 v[224:225], s[22:23], v227, v210, v[224:225]
	v_cvt_f32_i32_e32 v224, v224
	v_mov_b32_e32 v225, 0
	v_dot4c_i32_i8_e32 v225, v76, v0
	v_dot4c_i32_i8_e32 v225, v77, v1
	v_fmac_f32_e32 v228, v131, v224
	v_mov_b32_e32 v224, 0
	v_dot4c_i32_i8_e32 v224, v80, v4
	v_dot4c_i32_i8_e32 v224, v81, v5
	v_dot4c_i32_i8_e32 v224, v78, v6
	v_dot4c_i32_i8_e32 v224, v79, v7
	v_dot4c_i32_i8_e32 v225, v74, v2
	v_dot4c_i32_i8_e32 v225, v75, v3
	v_dot4c_i32_i8_e32 v226, v88, v12
	v_mul_lo_u32 v224, v224, v212
	v_mov_b32_e32 v227, 0
	v_mad_u64_u32 v[224:225], s[22:23], v225, v213, v[224:225]
	v_cvt_f32_i32_e32 v224, v224
	v_dot4c_i32_i8_e32 v226, v89, v13
	v_dot4c_i32_i8_e32 v227, v104, v8
	;; [unrolled: 1-line block ×6, first 2 shown]
	v_fmac_f32_e32 v138, v204, v228
	v_dot4c_i32_i8_e32 v227, v101, v11
	v_fma_f32 v228, v130, v224, 0
	v_mul_lo_u32 v224, v226, v215
	v_mov_b32_e32 v226, 0
	v_mad_u64_u32 v[224:225], s[22:23], v227, v214, v[224:225]
	v_cvt_f32_i32_e32 v224, v224
	v_mov_b32_e32 v225, 0
	v_dot4c_i32_i8_e32 v225, v92, v0
	v_dot4c_i32_i8_e32 v225, v93, v1
	v_fmac_f32_e32 v228, v131, v224
	v_mov_b32_e32 v224, 0
	v_dot4c_i32_i8_e32 v224, v96, v4
	v_dot4c_i32_i8_e32 v224, v97, v5
	;; [unrolled: 1-line block ×7, first 2 shown]
	v_mul_lo_u32 v224, v224, v216
	v_mov_b32_e32 v227, 0
	v_mad_u64_u32 v[224:225], s[22:23], v225, v217, v[224:225]
	v_cvt_f32_i32_e32 v224, v224
	v_dot4c_i32_i8_e32 v226, v109, v13
	v_dot4c_i32_i8_e32 v227, v120, v8
	;; [unrolled: 1-line block ×6, first 2 shown]
	v_fmac_f32_e32 v137, v205, v228
	v_dot4c_i32_i8_e32 v227, v117, v11
	v_fma_f32 v228, v130, v224, 0
	v_mul_lo_u32 v224, v226, v219
	v_mov_b32_e32 v226, 0
	v_mad_u64_u32 v[224:225], s[22:23], v227, v218, v[224:225]
	v_cvt_f32_i32_e32 v224, v224
	v_mov_b32_e32 v225, 0
	v_mov_b32_e32 v227, 0
	s_mov_b64 s[0:1], 0
	v_fmac_f32_e32 v228, v131, v224
	v_mov_b32_e32 v224, 0
	v_dot4c_i32_i8_e32 v224, v118, v12
	v_mov_b32_e32 v12, 0
	v_dot4c_i32_i8_e32 v12, v124, v8
	;; [unrolled: 2-line block ×3, first 2 shown]
	v_dot4c_i32_i8_e32 v8, v113, v5
	v_mov_b32_e32 v5, 0
	v_dot4c_i32_i8_e32 v5, v102, v0
	v_dot4c_i32_i8_e32 v8, v110, v6
	v_dot4c_i32_i8_e32 v5, v103, v1
	v_dot4c_i32_i8_e32 v8, v111, v7
	v_dot4c_i32_i8_e32 v5, v98, v2
	v_dot4c_i32_i8_e32 v5, v99, v3
	v_dot4c_i32_i8_e32 v224, v119, v13
	v_mul_lo_u32 v4, v8, v220
	v_dot4c_i32_i8_e32 v224, v114, v14
	v_mad_u64_u32 v[0:1], s[22:23], v5, v221, v[4:5]
	v_cvt_f32_i32_e32 v0, v0
	v_dot4c_i32_i8_e32 v12, v125, v9
	v_dot4c_i32_i8_e32 v224, v115, v15
	v_dot4c_i32_i8_e32 v12, v122, v10
	v_dot4c_i32_i8_e32 v12, v123, v11
	v_fma_f32 v2, v130, v0, 0
	v_mul_lo_u32 v0, v224, v223
	v_mov_b32_e32 v224, 0
	v_mad_u64_u32 v[0:1], s[22:23], v12, v222, v[0:1]
	v_cvt_f32_i32_e32 v0, v0
	v_fmac_f32_e32 v136, v206, v228
	v_fmac_f32_e32 v2, v131, v0
	v_or_b32_e32 v0, s20, v172
	v_lshlrev_b32_e32 v12, 2, v0
	v_lshrrev_b32_e32 v130, 1, v0
	v_fmac_f32_e32 v134, v207, v2
	ds_read_b128 v[0:3], v12 offset:33280
	ds_read_b128 v[4:7], v12 offset:33296
	;; [unrolled: 1-line block ×4, first 2 shown]
	ds_read_b64 v[130:131], v130 offset:43584
	s_waitcnt lgkmcnt(4)
	v_dot4c_i32_i8_e32 v225, v68, v0
	s_waitcnt lgkmcnt(3)
	v_dot4c_i32_i8_e32 v224, v72, v4
	v_dot4c_i32_i8_e32 v224, v73, v5
	;; [unrolled: 1-line block ×7, first 2 shown]
	s_waitcnt lgkmcnt(1)
	v_dot4c_i32_i8_e32 v226, v128, v12
	v_mul_lo_u32 v224, v224, v208
	v_dot4c_i32_i8_e32 v226, v129, v13
	v_mad_u64_u32 v[224:225], s[22:23], v225, v209, v[224:225]
	v_cvt_f32_i32_e32 v224, v224
	v_dot4c_i32_i8_e32 v227, v84, v8
	v_dot4c_i32_i8_e32 v226, v126, v14
	;; [unrolled: 1-line block ×6, first 2 shown]
	s_waitcnt lgkmcnt(0)
	v_fma_f32 v228, v130, v224, 0
	v_mul_lo_u32 v224, v226, v211
	v_mov_b32_e32 v226, 0
	v_mad_u64_u32 v[224:225], s[22:23], v227, v210, v[224:225]
	v_cvt_f32_i32_e32 v224, v224
	v_mov_b32_e32 v225, 0
	v_dot4c_i32_i8_e32 v225, v76, v0
	v_dot4c_i32_i8_e32 v225, v77, v1
	v_fmac_f32_e32 v228, v131, v224
	v_mov_b32_e32 v224, 0
	v_dot4c_i32_i8_e32 v224, v80, v4
	v_dot4c_i32_i8_e32 v224, v81, v5
	;; [unrolled: 1-line block ×7, first 2 shown]
	v_mul_lo_u32 v224, v224, v212
	v_mov_b32_e32 v227, 0
	v_mad_u64_u32 v[224:225], s[22:23], v225, v213, v[224:225]
	v_cvt_f32_i32_e32 v224, v224
	v_dot4c_i32_i8_e32 v226, v89, v13
	v_dot4c_i32_i8_e32 v227, v104, v8
	;; [unrolled: 1-line block ×6, first 2 shown]
	v_fmac_f32_e32 v133, v204, v228
	v_dot4c_i32_i8_e32 v227, v101, v11
	v_fma_f32 v228, v130, v224, 0
	v_mul_lo_u32 v224, v226, v215
	v_mov_b32_e32 v226, 0
	v_mad_u64_u32 v[224:225], s[22:23], v227, v214, v[224:225]
	v_cvt_f32_i32_e32 v224, v224
	v_mov_b32_e32 v225, 0
	v_dot4c_i32_i8_e32 v225, v92, v0
	v_dot4c_i32_i8_e32 v225, v93, v1
	v_fmac_f32_e32 v228, v131, v224
	v_mov_b32_e32 v224, 0
	v_dot4c_i32_i8_e32 v224, v96, v4
	v_dot4c_i32_i8_e32 v224, v97, v5
	;; [unrolled: 1-line block ×7, first 2 shown]
	v_mul_lo_u32 v224, v224, v216
	v_mov_b32_e32 v227, 0
	v_mad_u64_u32 v[224:225], s[22:23], v225, v217, v[224:225]
	v_cvt_f32_i32_e32 v224, v224
	v_dot4c_i32_i8_e32 v226, v109, v13
	v_dot4c_i32_i8_e32 v227, v120, v8
	;; [unrolled: 1-line block ×6, first 2 shown]
	v_fmac_f32_e32 v65, v205, v228
	v_dot4c_i32_i8_e32 v227, v117, v11
	v_fma_f32 v228, v130, v224, 0
	v_mul_lo_u32 v224, v226, v219
	v_mov_b32_e32 v226, 0
	v_mad_u64_u32 v[224:225], s[22:23], v227, v218, v[224:225]
	v_cvt_f32_i32_e32 v224, v224
	v_mov_b32_e32 v225, 0
	v_mov_b32_e32 v227, 0
	v_fmac_f32_e32 v228, v131, v224
	v_mov_b32_e32 v224, 0
	v_dot4c_i32_i8_e32 v224, v118, v12
	v_mov_b32_e32 v12, 0
	v_dot4c_i32_i8_e32 v12, v124, v8
	;; [unrolled: 2-line block ×3, first 2 shown]
	v_dot4c_i32_i8_e32 v8, v113, v5
	v_mov_b32_e32 v5, 0
	v_dot4c_i32_i8_e32 v5, v102, v0
	v_dot4c_i32_i8_e32 v8, v110, v6
	;; [unrolled: 1-line block ×7, first 2 shown]
	v_mul_lo_u32 v4, v8, v220
	v_dot4c_i32_i8_e32 v224, v114, v14
	v_mad_u64_u32 v[0:1], s[22:23], v5, v221, v[4:5]
	v_cvt_f32_i32_e32 v0, v0
	v_dot4c_i32_i8_e32 v12, v125, v9
	v_dot4c_i32_i8_e32 v224, v115, v15
	;; [unrolled: 1-line block ×4, first 2 shown]
	v_fma_f32 v2, v130, v0, 0
	v_mul_lo_u32 v0, v224, v223
	v_mov_b32_e32 v224, 0
	v_mad_u64_u32 v[0:1], s[22:23], v12, v222, v[0:1]
	v_cvt_f32_i32_e32 v0, v0
	v_fmac_f32_e32 v61, v206, v228
	v_fmac_f32_e32 v2, v131, v0
	v_or_b32_e32 v0, s20, v175
	v_lshlrev_b32_e32 v12, 2, v0
	v_lshrrev_b32_e32 v130, 1, v0
	v_fmac_f32_e32 v57, v207, v2
	ds_read_b128 v[0:3], v12 offset:33280
	ds_read_b128 v[4:7], v12 offset:33296
	;; [unrolled: 1-line block ×4, first 2 shown]
	ds_read_b64 v[130:131], v130 offset:43584
	s_waitcnt lgkmcnt(4)
	v_dot4c_i32_i8_e32 v225, v68, v0
	s_waitcnt lgkmcnt(3)
	v_dot4c_i32_i8_e32 v224, v72, v4
	v_dot4c_i32_i8_e32 v224, v73, v5
	;; [unrolled: 1-line block ×7, first 2 shown]
	s_waitcnt lgkmcnt(1)
	v_dot4c_i32_i8_e32 v226, v128, v12
	v_mul_lo_u32 v224, v224, v208
	v_dot4c_i32_i8_e32 v226, v129, v13
	v_mad_u64_u32 v[224:225], s[22:23], v225, v209, v[224:225]
	v_cvt_f32_i32_e32 v224, v224
	v_dot4c_i32_i8_e32 v227, v84, v8
	v_dot4c_i32_i8_e32 v226, v126, v14
	;; [unrolled: 1-line block ×6, first 2 shown]
	s_waitcnt lgkmcnt(0)
	v_fma_f32 v228, v130, v224, 0
	v_mul_lo_u32 v224, v226, v211
	v_mov_b32_e32 v226, 0
	v_mad_u64_u32 v[224:225], s[22:23], v227, v210, v[224:225]
	v_cvt_f32_i32_e32 v224, v224
	v_mov_b32_e32 v225, 0
	v_dot4c_i32_i8_e32 v225, v76, v0
	v_dot4c_i32_i8_e32 v225, v77, v1
	v_fmac_f32_e32 v228, v131, v224
	v_mov_b32_e32 v224, 0
	v_dot4c_i32_i8_e32 v224, v80, v4
	v_dot4c_i32_i8_e32 v224, v81, v5
	;; [unrolled: 1-line block ×7, first 2 shown]
	v_mul_lo_u32 v224, v224, v212
	v_mov_b32_e32 v227, 0
	v_mad_u64_u32 v[224:225], s[22:23], v225, v213, v[224:225]
	v_cvt_f32_i32_e32 v224, v224
	v_dot4c_i32_i8_e32 v226, v89, v13
	v_dot4c_i32_i8_e32 v227, v104, v8
	v_dot4c_i32_i8_e32 v226, v86, v14
	v_dot4c_i32_i8_e32 v227, v105, v9
	v_dot4c_i32_i8_e32 v226, v87, v15
	v_dot4c_i32_i8_e32 v227, v100, v10
	v_fmac_f32_e32 v55, v204, v228
	v_dot4c_i32_i8_e32 v227, v101, v11
	v_fma_f32 v228, v130, v224, 0
	v_mul_lo_u32 v224, v226, v215
	v_mov_b32_e32 v226, 0
	v_mad_u64_u32 v[224:225], s[22:23], v227, v214, v[224:225]
	v_cvt_f32_i32_e32 v224, v224
	v_mov_b32_e32 v225, 0
	v_dot4c_i32_i8_e32 v225, v92, v0
	v_dot4c_i32_i8_e32 v225, v93, v1
	v_fmac_f32_e32 v228, v131, v224
	v_mov_b32_e32 v224, 0
	v_dot4c_i32_i8_e32 v224, v96, v4
	v_dot4c_i32_i8_e32 v224, v97, v5
	;; [unrolled: 1-line block ×7, first 2 shown]
	v_mul_lo_u32 v224, v224, v216
	v_mov_b32_e32 v227, 0
	v_mad_u64_u32 v[224:225], s[22:23], v225, v217, v[224:225]
	v_cvt_f32_i32_e32 v224, v224
	v_dot4c_i32_i8_e32 v226, v109, v13
	v_dot4c_i32_i8_e32 v227, v120, v8
	v_dot4c_i32_i8_e32 v226, v106, v14
	v_dot4c_i32_i8_e32 v227, v121, v9
	v_dot4c_i32_i8_e32 v226, v107, v15
	v_dot4c_i32_i8_e32 v227, v116, v10
	v_fmac_f32_e32 v53, v205, v228
	v_dot4c_i32_i8_e32 v227, v117, v11
	v_fma_f32 v228, v130, v224, 0
	v_mul_lo_u32 v224, v226, v219
	v_mov_b32_e32 v226, 0
	v_mad_u64_u32 v[224:225], s[22:23], v227, v218, v[224:225]
	v_cvt_f32_i32_e32 v224, v224
	v_mov_b32_e32 v225, 0
	v_mov_b32_e32 v227, 0
	v_fmac_f32_e32 v228, v131, v224
	v_mov_b32_e32 v224, 0
	v_dot4c_i32_i8_e32 v224, v118, v12
	v_mov_b32_e32 v12, 0
	v_dot4c_i32_i8_e32 v12, v124, v8
	;; [unrolled: 2-line block ×3, first 2 shown]
	v_dot4c_i32_i8_e32 v8, v113, v5
	v_mov_b32_e32 v5, 0
	v_dot4c_i32_i8_e32 v5, v102, v0
	v_dot4c_i32_i8_e32 v8, v110, v6
	v_dot4c_i32_i8_e32 v5, v103, v1
	v_dot4c_i32_i8_e32 v8, v111, v7
	v_dot4c_i32_i8_e32 v5, v98, v2
	v_dot4c_i32_i8_e32 v5, v99, v3
	v_dot4c_i32_i8_e32 v224, v119, v13
	v_mul_lo_u32 v4, v8, v220
	v_dot4c_i32_i8_e32 v224, v114, v14
	v_mad_u64_u32 v[0:1], s[22:23], v5, v221, v[4:5]
	v_cvt_f32_i32_e32 v0, v0
	v_dot4c_i32_i8_e32 v12, v125, v9
	v_dot4c_i32_i8_e32 v224, v115, v15
	;; [unrolled: 1-line block ×4, first 2 shown]
	v_fma_f32 v2, v130, v0, 0
	v_mul_lo_u32 v0, v224, v223
	v_mov_b32_e32 v224, 0
	v_mad_u64_u32 v[0:1], s[22:23], v12, v222, v[0:1]
	v_cvt_f32_i32_e32 v0, v0
	v_fmac_f32_e32 v51, v206, v228
	v_fmac_f32_e32 v2, v131, v0
	v_or_b32_e32 v0, s20, v178
	v_lshlrev_b32_e32 v12, 2, v0
	v_lshrrev_b32_e32 v130, 1, v0
	v_fmac_f32_e32 v49, v207, v2
	ds_read_b128 v[0:3], v12 offset:33280
	ds_read_b128 v[4:7], v12 offset:33296
	;; [unrolled: 1-line block ×4, first 2 shown]
	ds_read_b64 v[130:131], v130 offset:43584
	s_waitcnt lgkmcnt(4)
	v_dot4c_i32_i8_e32 v225, v68, v0
	s_waitcnt lgkmcnt(3)
	v_dot4c_i32_i8_e32 v224, v72, v4
	v_dot4c_i32_i8_e32 v224, v73, v5
	;; [unrolled: 1-line block ×7, first 2 shown]
	s_waitcnt lgkmcnt(1)
	v_dot4c_i32_i8_e32 v226, v128, v12
	v_mul_lo_u32 v224, v224, v208
	v_dot4c_i32_i8_e32 v226, v129, v13
	v_mad_u64_u32 v[224:225], s[22:23], v225, v209, v[224:225]
	v_cvt_f32_i32_e32 v224, v224
	v_dot4c_i32_i8_e32 v227, v84, v8
	v_dot4c_i32_i8_e32 v226, v126, v14
	;; [unrolled: 1-line block ×6, first 2 shown]
	s_waitcnt lgkmcnt(0)
	v_fma_f32 v228, v130, v224, 0
	v_mul_lo_u32 v224, v226, v211
	v_mov_b32_e32 v226, 0
	v_mad_u64_u32 v[224:225], s[22:23], v227, v210, v[224:225]
	v_cvt_f32_i32_e32 v224, v224
	v_mov_b32_e32 v225, 0
	v_dot4c_i32_i8_e32 v225, v76, v0
	v_dot4c_i32_i8_e32 v225, v77, v1
	v_fmac_f32_e32 v228, v131, v224
	v_mov_b32_e32 v224, 0
	v_dot4c_i32_i8_e32 v224, v80, v4
	v_dot4c_i32_i8_e32 v224, v81, v5
	;; [unrolled: 1-line block ×7, first 2 shown]
	v_mul_lo_u32 v224, v224, v212
	v_mov_b32_e32 v227, 0
	v_mad_u64_u32 v[224:225], s[22:23], v225, v213, v[224:225]
	v_cvt_f32_i32_e32 v224, v224
	v_dot4c_i32_i8_e32 v226, v89, v13
	v_dot4c_i32_i8_e32 v227, v104, v8
	;; [unrolled: 1-line block ×6, first 2 shown]
	v_fmac_f32_e32 v47, v204, v228
	v_dot4c_i32_i8_e32 v227, v101, v11
	v_fma_f32 v228, v130, v224, 0
	v_mul_lo_u32 v224, v226, v215
	v_mov_b32_e32 v226, 0
	v_mad_u64_u32 v[224:225], s[22:23], v227, v214, v[224:225]
	v_cvt_f32_i32_e32 v224, v224
	v_mov_b32_e32 v225, 0
	v_dot4c_i32_i8_e32 v225, v92, v0
	v_dot4c_i32_i8_e32 v225, v93, v1
	v_fmac_f32_e32 v228, v131, v224
	v_mov_b32_e32 v224, 0
	v_dot4c_i32_i8_e32 v224, v96, v4
	v_dot4c_i32_i8_e32 v224, v97, v5
	;; [unrolled: 1-line block ×7, first 2 shown]
	v_mul_lo_u32 v224, v224, v216
	v_mov_b32_e32 v227, 0
	v_mad_u64_u32 v[224:225], s[22:23], v225, v217, v[224:225]
	v_cvt_f32_i32_e32 v224, v224
	v_dot4c_i32_i8_e32 v226, v109, v13
	v_dot4c_i32_i8_e32 v227, v120, v8
	;; [unrolled: 1-line block ×6, first 2 shown]
	v_fmac_f32_e32 v45, v205, v228
	v_dot4c_i32_i8_e32 v227, v117, v11
	v_fma_f32 v228, v130, v224, 0
	v_mul_lo_u32 v224, v226, v219
	v_mov_b32_e32 v226, 0
	v_mad_u64_u32 v[224:225], s[22:23], v227, v218, v[224:225]
	v_cvt_f32_i32_e32 v224, v224
	v_mov_b32_e32 v225, 0
	v_mov_b32_e32 v227, 0
	v_fmac_f32_e32 v228, v131, v224
	v_mov_b32_e32 v224, 0
	v_dot4c_i32_i8_e32 v224, v118, v12
	v_mov_b32_e32 v12, 0
	v_dot4c_i32_i8_e32 v12, v124, v8
	;; [unrolled: 2-line block ×3, first 2 shown]
	v_dot4c_i32_i8_e32 v8, v113, v5
	v_mov_b32_e32 v5, 0
	v_dot4c_i32_i8_e32 v5, v102, v0
	v_dot4c_i32_i8_e32 v8, v110, v6
	;; [unrolled: 1-line block ×7, first 2 shown]
	v_mul_lo_u32 v4, v8, v220
	v_dot4c_i32_i8_e32 v224, v114, v14
	v_mad_u64_u32 v[0:1], s[22:23], v5, v221, v[4:5]
	v_cvt_f32_i32_e32 v0, v0
	v_dot4c_i32_i8_e32 v12, v125, v9
	v_dot4c_i32_i8_e32 v224, v115, v15
	;; [unrolled: 1-line block ×4, first 2 shown]
	v_fma_f32 v2, v130, v0, 0
	v_mul_lo_u32 v0, v224, v223
	v_mov_b32_e32 v224, 0
	v_mad_u64_u32 v[0:1], s[22:23], v12, v222, v[0:1]
	v_cvt_f32_i32_e32 v0, v0
	v_fmac_f32_e32 v43, v206, v228
	v_fmac_f32_e32 v2, v131, v0
	v_or_b32_e32 v0, s20, v181
	v_lshlrev_b32_e32 v12, 2, v0
	v_lshrrev_b32_e32 v130, 1, v0
	v_fmac_f32_e32 v41, v207, v2
	ds_read_b128 v[0:3], v12 offset:33280
	ds_read_b128 v[4:7], v12 offset:33296
	;; [unrolled: 1-line block ×4, first 2 shown]
	ds_read_b64 v[130:131], v130 offset:43584
	s_waitcnt lgkmcnt(4)
	v_dot4c_i32_i8_e32 v225, v68, v0
	s_waitcnt lgkmcnt(3)
	v_dot4c_i32_i8_e32 v224, v72, v4
	v_dot4c_i32_i8_e32 v224, v73, v5
	;; [unrolled: 1-line block ×7, first 2 shown]
	s_waitcnt lgkmcnt(1)
	v_dot4c_i32_i8_e32 v226, v128, v12
	v_mul_lo_u32 v224, v224, v208
	v_dot4c_i32_i8_e32 v226, v129, v13
	v_mad_u64_u32 v[224:225], s[22:23], v225, v209, v[224:225]
	v_cvt_f32_i32_e32 v224, v224
	v_dot4c_i32_i8_e32 v227, v84, v8
	v_dot4c_i32_i8_e32 v226, v126, v14
	;; [unrolled: 1-line block ×6, first 2 shown]
	s_waitcnt lgkmcnt(0)
	v_fma_f32 v228, v130, v224, 0
	v_mul_lo_u32 v224, v226, v211
	v_mov_b32_e32 v226, 0
	v_mad_u64_u32 v[224:225], s[22:23], v227, v210, v[224:225]
	v_cvt_f32_i32_e32 v224, v224
	v_mov_b32_e32 v225, 0
	v_dot4c_i32_i8_e32 v225, v76, v0
	v_dot4c_i32_i8_e32 v225, v77, v1
	v_fmac_f32_e32 v228, v131, v224
	v_mov_b32_e32 v224, 0
	v_dot4c_i32_i8_e32 v224, v80, v4
	v_dot4c_i32_i8_e32 v224, v81, v5
	;; [unrolled: 1-line block ×7, first 2 shown]
	v_mul_lo_u32 v224, v224, v212
	v_mov_b32_e32 v227, 0
	v_mad_u64_u32 v[224:225], s[22:23], v225, v213, v[224:225]
	v_cvt_f32_i32_e32 v224, v224
	v_dot4c_i32_i8_e32 v226, v89, v13
	v_dot4c_i32_i8_e32 v227, v104, v8
	;; [unrolled: 1-line block ×6, first 2 shown]
	v_fmac_f32_e32 v39, v204, v228
	v_dot4c_i32_i8_e32 v227, v101, v11
	v_fma_f32 v228, v130, v224, 0
	v_mul_lo_u32 v224, v226, v215
	v_mov_b32_e32 v226, 0
	v_mad_u64_u32 v[224:225], s[22:23], v227, v214, v[224:225]
	v_cvt_f32_i32_e32 v224, v224
	v_mov_b32_e32 v225, 0
	v_dot4c_i32_i8_e32 v225, v92, v0
	v_dot4c_i32_i8_e32 v225, v93, v1
	v_fmac_f32_e32 v228, v131, v224
	v_mov_b32_e32 v224, 0
	v_dot4c_i32_i8_e32 v224, v96, v4
	v_dot4c_i32_i8_e32 v224, v97, v5
	;; [unrolled: 1-line block ×7, first 2 shown]
	v_mul_lo_u32 v224, v224, v216
	v_mov_b32_e32 v227, 0
	v_mad_u64_u32 v[224:225], s[22:23], v225, v217, v[224:225]
	v_cvt_f32_i32_e32 v224, v224
	v_dot4c_i32_i8_e32 v226, v109, v13
	v_dot4c_i32_i8_e32 v227, v120, v8
	;; [unrolled: 1-line block ×6, first 2 shown]
	v_fmac_f32_e32 v37, v205, v228
	v_dot4c_i32_i8_e32 v227, v117, v11
	v_fma_f32 v228, v130, v224, 0
	v_mul_lo_u32 v224, v226, v219
	v_mov_b32_e32 v226, 0
	v_mad_u64_u32 v[224:225], s[22:23], v227, v218, v[224:225]
	v_cvt_f32_i32_e32 v224, v224
	v_mov_b32_e32 v225, 0
	v_mov_b32_e32 v227, 0
	v_fmac_f32_e32 v228, v131, v224
	v_mov_b32_e32 v224, 0
	v_dot4c_i32_i8_e32 v224, v118, v12
	v_mov_b32_e32 v12, 0
	v_dot4c_i32_i8_e32 v12, v124, v8
	;; [unrolled: 2-line block ×3, first 2 shown]
	v_dot4c_i32_i8_e32 v8, v113, v5
	v_mov_b32_e32 v5, 0
	v_dot4c_i32_i8_e32 v5, v102, v0
	v_dot4c_i32_i8_e32 v8, v110, v6
	;; [unrolled: 1-line block ×7, first 2 shown]
	v_mul_lo_u32 v4, v8, v220
	v_dot4c_i32_i8_e32 v224, v114, v14
	v_mad_u64_u32 v[0:1], s[22:23], v5, v221, v[4:5]
	v_cvt_f32_i32_e32 v0, v0
	v_dot4c_i32_i8_e32 v12, v125, v9
	v_dot4c_i32_i8_e32 v224, v115, v15
	v_dot4c_i32_i8_e32 v12, v122, v10
	v_dot4c_i32_i8_e32 v12, v123, v11
	v_fma_f32 v2, v130, v0, 0
	v_mul_lo_u32 v0, v224, v223
	v_mov_b32_e32 v224, 0
	v_mad_u64_u32 v[0:1], s[22:23], v12, v222, v[0:1]
	v_cvt_f32_i32_e32 v0, v0
	v_fmac_f32_e32 v35, v206, v228
	v_fmac_f32_e32 v2, v131, v0
	v_or_b32_e32 v0, s20, v184
	v_lshlrev_b32_e32 v12, 2, v0
	v_lshrrev_b32_e32 v130, 1, v0
	v_fmac_f32_e32 v33, v207, v2
	ds_read_b128 v[0:3], v12 offset:33280
	ds_read_b128 v[4:7], v12 offset:33296
	;; [unrolled: 1-line block ×4, first 2 shown]
	ds_read_b64 v[130:131], v130 offset:43584
	s_waitcnt lgkmcnt(4)
	v_dot4c_i32_i8_e32 v225, v68, v0
	s_waitcnt lgkmcnt(3)
	v_dot4c_i32_i8_e32 v224, v72, v4
	v_dot4c_i32_i8_e32 v224, v73, v5
	;; [unrolled: 1-line block ×7, first 2 shown]
	s_waitcnt lgkmcnt(1)
	v_dot4c_i32_i8_e32 v226, v128, v12
	v_mul_lo_u32 v224, v224, v208
	v_dot4c_i32_i8_e32 v226, v129, v13
	v_mad_u64_u32 v[224:225], s[22:23], v225, v209, v[224:225]
	v_cvt_f32_i32_e32 v224, v224
	v_dot4c_i32_i8_e32 v227, v84, v8
	v_dot4c_i32_i8_e32 v226, v126, v14
	;; [unrolled: 1-line block ×6, first 2 shown]
	s_waitcnt lgkmcnt(0)
	v_fma_f32 v228, v130, v224, 0
	v_mul_lo_u32 v224, v226, v211
	v_mov_b32_e32 v226, 0
	v_mad_u64_u32 v[224:225], s[22:23], v227, v210, v[224:225]
	v_cvt_f32_i32_e32 v224, v224
	v_mov_b32_e32 v225, 0
	v_dot4c_i32_i8_e32 v225, v76, v0
	v_dot4c_i32_i8_e32 v225, v77, v1
	v_fmac_f32_e32 v228, v131, v224
	v_mov_b32_e32 v224, 0
	v_dot4c_i32_i8_e32 v224, v80, v4
	v_dot4c_i32_i8_e32 v224, v81, v5
	;; [unrolled: 1-line block ×7, first 2 shown]
	v_mul_lo_u32 v224, v224, v212
	v_mov_b32_e32 v227, 0
	v_mad_u64_u32 v[224:225], s[22:23], v225, v213, v[224:225]
	v_cvt_f32_i32_e32 v224, v224
	v_dot4c_i32_i8_e32 v226, v89, v13
	v_dot4c_i32_i8_e32 v227, v104, v8
	;; [unrolled: 1-line block ×6, first 2 shown]
	v_fmac_f32_e32 v31, v204, v228
	v_dot4c_i32_i8_e32 v227, v101, v11
	v_fma_f32 v228, v130, v224, 0
	v_mul_lo_u32 v224, v226, v215
	v_mov_b32_e32 v226, 0
	v_mad_u64_u32 v[224:225], s[22:23], v227, v214, v[224:225]
	v_cvt_f32_i32_e32 v224, v224
	v_mov_b32_e32 v225, 0
	v_dot4c_i32_i8_e32 v225, v92, v0
	v_dot4c_i32_i8_e32 v225, v93, v1
	v_fmac_f32_e32 v228, v131, v224
	v_mov_b32_e32 v224, 0
	v_dot4c_i32_i8_e32 v224, v96, v4
	v_dot4c_i32_i8_e32 v224, v97, v5
	;; [unrolled: 1-line block ×7, first 2 shown]
	v_mul_lo_u32 v224, v224, v216
	v_mov_b32_e32 v227, 0
	v_mad_u64_u32 v[224:225], s[22:23], v225, v217, v[224:225]
	v_cvt_f32_i32_e32 v224, v224
	v_dot4c_i32_i8_e32 v226, v109, v13
	v_dot4c_i32_i8_e32 v227, v120, v8
	;; [unrolled: 1-line block ×6, first 2 shown]
	v_fmac_f32_e32 v29, v205, v228
	v_dot4c_i32_i8_e32 v227, v117, v11
	v_fma_f32 v228, v130, v224, 0
	v_mul_lo_u32 v224, v226, v219
	s_nop 0
	v_mad_u64_u32 v[224:225], s[22:23], v227, v218, v[224:225]
	v_cvt_f32_i32_e32 v224, v224
	v_fmac_f32_e32 v228, v131, v224
	v_mov_b32_e32 v224, 0
	v_dot4c_i32_i8_e32 v224, v118, v12
	v_mov_b32_e32 v12, 0
	v_dot4c_i32_i8_e32 v12, v124, v8
	;; [unrolled: 2-line block ×3, first 2 shown]
	v_dot4c_i32_i8_e32 v8, v113, v5
	v_mov_b32_e32 v5, 0
	v_dot4c_i32_i8_e32 v5, v102, v0
	v_dot4c_i32_i8_e32 v8, v110, v6
	v_dot4c_i32_i8_e32 v5, v103, v1
	v_dot4c_i32_i8_e32 v8, v111, v7
	v_dot4c_i32_i8_e32 v5, v98, v2
	v_dot4c_i32_i8_e32 v5, v99, v3
	v_dot4c_i32_i8_e32 v224, v119, v13
	v_mul_lo_u32 v4, v8, v220
	v_dot4c_i32_i8_e32 v224, v114, v14
	v_mad_u64_u32 v[0:1], s[22:23], v5, v221, v[4:5]
	v_cvt_f32_i32_e32 v0, v0
	v_dot4c_i32_i8_e32 v12, v125, v9
	v_dot4c_i32_i8_e32 v224, v115, v15
	;; [unrolled: 1-line block ×4, first 2 shown]
	v_fma_f32 v2, v130, v0, 0
	v_mul_lo_u32 v0, v224, v223
	v_mov_b32_e32 v224, 0
	v_mad_u64_u32 v[0:1], s[22:23], v12, v222, v[0:1]
	v_cvt_f32_i32_e32 v0, v0
	v_fmac_f32_e32 v27, v206, v228
	v_fmac_f32_e32 v2, v131, v0
	v_or_b32_e32 v0, s20, v187
	v_lshlrev_b32_e32 v12, 2, v0
	v_lshrrev_b32_e32 v130, 1, v0
	v_fmac_f32_e32 v25, v207, v2
	ds_read_b128 v[0:3], v12 offset:33280
	ds_read_b128 v[4:7], v12 offset:33296
	;; [unrolled: 1-line block ×4, first 2 shown]
	ds_read_b64 v[130:131], v130 offset:43584
	s_waitcnt lgkmcnt(1)
	v_dot4c_i32_i8_e32 v224, v128, v12
	v_dot4c_i32_i8_e32 v224, v129, v13
	;; [unrolled: 1-line block ×3, first 2 shown]
	v_mov_b32_e32 v126, 0
	v_dot4c_i32_i8_e32 v126, v84, v8
	v_dot4c_i32_i8_e32 v126, v85, v9
	;; [unrolled: 1-line block ×3, first 2 shown]
	v_mov_b32_e32 v82, 0
	v_dot4c_i32_i8_e32 v82, v72, v4
	v_dot4c_i32_i8_e32 v82, v73, v5
	;; [unrolled: 1-line block ×4, first 2 shown]
	v_mov_b32_e32 v71, 0
	v_dot4c_i32_i8_e32 v71, v68, v0
	v_dot4c_i32_i8_e32 v71, v69, v1
	;; [unrolled: 1-line block ×3, first 2 shown]
	v_mul_lo_u32 v70, v82, v208
	v_dot4c_i32_i8_e32 v71, v67, v3
	v_dot4c_i32_i8_e32 v224, v127, v15
	;; [unrolled: 1-line block ×3, first 2 shown]
	v_mov_b32_e32 v69, 0
	v_mad_u64_u32 v[66:67], s[20:21], v71, v209, v[70:71]
	v_cvt_f32_i32_e32 v66, v66
	v_dot4c_i32_i8_e32 v69, v104, v8
	v_dot4c_i32_i8_e32 v69, v105, v9
	;; [unrolled: 1-line block ×3, first 2 shown]
	s_waitcnt lgkmcnt(0)
	v_fma_f32 v68, v130, v66, 0
	v_mul_lo_u32 v66, v224, v211
	v_mad_u64_u32 v[66:67], s[20:21], v126, v210, v[66:67]
	v_cvt_f32_i32_e32 v66, v66
	v_mov_b32_e32 v67, 0
	v_dot4c_i32_i8_e32 v67, v76, v0
	v_dot4c_i32_i8_e32 v67, v77, v1
	v_fmac_f32_e32 v68, v131, v66
	v_mov_b32_e32 v66, 0
	v_dot4c_i32_i8_e32 v66, v80, v4
	v_dot4c_i32_i8_e32 v66, v81, v5
	;; [unrolled: 1-line block ×6, first 2 shown]
	v_fmac_f32_e32 v23, v204, v68
	v_mul_lo_u32 v66, v66, v212
	v_mov_b32_e32 v68, 0
	v_mad_u64_u32 v[66:67], s[20:21], v67, v213, v[66:67]
	v_dot4c_i32_i8_e32 v68, v88, v12
	v_cvt_f32_i32_e32 v66, v66
	v_dot4c_i32_i8_e32 v68, v89, v13
	v_dot4c_i32_i8_e32 v68, v86, v14
	;; [unrolled: 1-line block ×4, first 2 shown]
	v_fma_f32 v70, v130, v66, 0
	s_nop 0
	v_mul_lo_u32 v66, v68, v215
	v_mad_u64_u32 v[66:67], s[20:21], v69, v214, v[66:67]
	v_cvt_f32_i32_e32 v66, v66
	v_mov_b32_e32 v67, 0
	v_dot4c_i32_i8_e32 v67, v92, v0
	v_dot4c_i32_i8_e32 v67, v93, v1
	v_fmac_f32_e32 v70, v131, v66
	v_mov_b32_e32 v66, 0
	v_dot4c_i32_i8_e32 v66, v96, v4
	v_dot4c_i32_i8_e32 v66, v97, v5
	;; [unrolled: 1-line block ×6, first 2 shown]
	v_mov_b32_e32 v68, 0
	v_mul_lo_u32 v66, v66, v216
	v_dot4c_i32_i8_e32 v68, v108, v12
	v_mad_u64_u32 v[66:67], s[20:21], v67, v217, v[66:67]
	v_mov_b32_e32 v69, 0
	v_cvt_f32_i32_e32 v66, v66
	v_dot4c_i32_i8_e32 v68, v109, v13
	v_dot4c_i32_i8_e32 v69, v120, v8
	;; [unrolled: 1-line block ×6, first 2 shown]
	v_fmac_f32_e32 v21, v205, v70
	v_dot4c_i32_i8_e32 v69, v117, v11
	v_fma_f32 v70, v130, v66, 0
	v_mul_lo_u32 v66, v68, v219
	s_nop 0
	v_mad_u64_u32 v[66:67], s[20:21], v69, v218, v[66:67]
	v_cvt_f32_i32_e32 v66, v66
	v_fmac_f32_e32 v70, v131, v66
	v_mov_b32_e32 v66, 0
	v_dot4c_i32_i8_e32 v66, v118, v12
	v_mov_b32_e32 v12, 0
	v_dot4c_i32_i8_e32 v12, v124, v8
	;; [unrolled: 2-line block ×3, first 2 shown]
	v_dot4c_i32_i8_e32 v8, v113, v5
	v_mov_b32_e32 v5, 0
	v_dot4c_i32_i8_e32 v5, v102, v0
	v_dot4c_i32_i8_e32 v8, v110, v6
	;; [unrolled: 1-line block ×7, first 2 shown]
	v_mul_lo_u32 v4, v8, v220
	v_dot4c_i32_i8_e32 v66, v114, v14
	v_mad_u64_u32 v[0:1], s[20:21], v5, v221, v[4:5]
	v_cvt_f32_i32_e32 v0, v0
	v_dot4c_i32_i8_e32 v12, v125, v9
	v_dot4c_i32_i8_e32 v66, v115, v15
	;; [unrolled: 1-line block ×4, first 2 shown]
	v_fma_f32 v2, v130, v0, 0
	v_mul_lo_u32 v0, v66, v223
	v_fmac_f32_e32 v19, v206, v70
	v_mad_u64_u32 v[0:1], s[20:21], v12, v222, v[0:1]
	v_cvt_f32_i32_e32 v0, v0
	s_mov_b32 s21, 8
	v_fmac_f32_e32 v2, v131, v0
	v_fmac_f32_e32 v17, v207, v2
	s_cbranch_vccnz .LBB155_6
; %bb.7:                                ;   in Loop: Header=BB155_5 Depth=1
	v_add_u32_e32 v14, s19, v190
	v_add_u32_e32 v0, v14, v166
	v_add_u32_e32 v2, v14, v168
	v_add_u32_e32 v4, v14, v171
	v_add_u32_e32 v6, v14, v174
	v_add_u32_e32 v66, 4, v203
	v_mad_i64_i32 v[0:1], s[0:1], v0, 36, v[62:63]
	v_mad_i64_i32 v[2:3], s[0:1], v2, 36, v[62:63]
	v_mad_i64_i32 v[4:5], s[0:1], v4, 36, v[62:63]
	v_mad_i64_i32 v[6:7], s[0:1], v6, 36, v[62:63]
	v_add_u32_e32 v8, v14, v177
	v_add_u32_e32 v10, v14, v180
	;; [unrolled: 1-line block ×4, first 2 shown]
	v_mad_u64_u32 v[66:67], s[0:1], v66, 36, s[2:3]
	s_barrier
	v_mad_i64_i32 v[8:9], s[0:1], v8, 36, v[62:63]
	v_mad_i64_i32 v[10:11], s[0:1], v10, 36, v[62:63]
	;; [unrolled: 1-line block ×4, first 2 shown]
	global_load_dword v66, v[66:67], off
	s_nop 0
	global_load_dword v0, v[0:1], off offset:4
	s_nop 0
	global_load_dword v1, v[2:3], off offset:4
	;; [unrolled: 2-line block ×3, first 2 shown]
	global_load_dword v3, v[6:7], off offset:4
	s_nop 0
	global_load_dword v4, v[8:9], off offset:4
	global_load_dword v5, v[10:11], off offset:4
	;; [unrolled: 1-line block ×4, first 2 shown]
	s_mov_b32 s0, 16
	s_waitcnt vmcnt(8)
	v_cvt_f32_f16_e32 v8, v66
	s_waitcnt vmcnt(7)
	ds_write_b32 v167, v0
	s_waitcnt vmcnt(6)
	ds_write_b32 v170, v1
	s_waitcnt vmcnt(5)
	ds_write_b32 v173, v2
	s_waitcnt vmcnt(4)
	ds_write_b32 v176, v3
	s_waitcnt vmcnt(3)
	ds_write_b32 v179, v4
	s_waitcnt vmcnt(2)
	ds_write_b32 v182, v5
	s_waitcnt vmcnt(1)
	ds_write_b32 v185, v6
	s_waitcnt vmcnt(0)
	ds_write_b32 v188, v7
	ds_write_b32 v164, v8
	s_waitcnt lgkmcnt(0)
	s_barrier
	ds_read_b32 v203, v189
	ds_read_b32 v204, v191 offset:128
	ds_read_b32 v205, v192 offset:256
	;; [unrolled: 1-line block ×3, first 2 shown]
.LBB155_8:                              ;   Parent Loop BB155_5 Depth=1
                                        ; =>  This Inner Loop Header: Depth=2
	s_lshl_b32 s1, s0, 1
	s_and_b32 s1, s1, 16
	v_or_b32_e32 v0, s1, v158
	v_lshlrev_b32_e32 v12, 2, v0
	s_lshr_b32 s19, s0, 1
	s_lshl_b32 s20, s0, 3
	v_lshrrev_b32_e32 v66, 1, v0
	ds_read_b128 v[0:3], v12 offset:33280
	ds_read_b128 v[4:7], v12 offset:33296
	;; [unrolled: 1-line block ×4, first 2 shown]
	ds_read_b64 v[130:131], v66 offset:43584
	v_add_u32_e32 v74, s19, v194
	v_add_u32_e32 v75, s20, v195
	ds_read2_b32 v[70:71], v75 offset0:6 offset1:7
	ds_read2_b32 v[72:73], v75 offset0:4 offset1:5
	;; [unrolled: 1-line block ×3, first 2 shown]
	ds_read2_b32 v[68:69], v75 offset1:1
	ds_read_b32 v76, v74
	ds_read2_b32 v[126:127], v75 offset0:14 offset1:15
	ds_read2_b32 v[128:129], v75 offset0:12 offset1:13
	v_mov_b32_e32 v74, 0
	ds_read2_b32 v[82:83], v75 offset0:10 offset1:11
	ds_read2_b32 v[84:85], v75 offset0:8 offset1:9
	s_waitcnt lgkmcnt(7)
	v_dot4c_i32_i8_e32 v74, v72, v4
	v_mov_b32_e32 v75, 0
	v_dot4c_i32_i8_e32 v74, v73, v5
	s_waitcnt lgkmcnt(5)
	v_dot4c_i32_i8_e32 v75, v68, v0
	v_dot4c_i32_i8_e32 v74, v70, v6
	;; [unrolled: 1-line block ×4, first 2 shown]
	s_waitcnt lgkmcnt(4)
	v_bfe_i32 v207, v76, 8, 8
	v_dot4c_i32_i8_e32 v75, v66, v2
	v_dot4c_i32_i8_e32 v75, v67, v3
	v_mul_lo_u32 v74, v74, v207
	v_bfe_i32 v208, v76, 0, 8
	v_mov_b32_e32 v77, 0
	v_mad_u64_u32 v[74:75], s[22:23], v75, v208, v[74:75]
	s_waitcnt lgkmcnt(2)
	v_dot4c_i32_i8_e32 v77, v128, v12
	v_mov_b32_e32 v78, 0
	v_cvt_f32_i32_e32 v74, v74
	v_dot4c_i32_i8_e32 v77, v129, v13
	s_waitcnt lgkmcnt(0)
	v_dot4c_i32_i8_e32 v78, v84, v8
	v_dot4c_i32_i8_e32 v77, v126, v14
	;; [unrolled: 1-line block ×5, first 2 shown]
	v_ashrrev_i32_e32 v210, 24, v76
	v_dot4c_i32_i8_e32 v78, v83, v11
	v_fma_f32 v79, v130, v74, 0
	v_bfe_i32 v209, v76, 16, 8
	v_mul_lo_u32 v74, v77, v210
	v_mad_u64_u32 v[74:75], s[22:23], v78, v209, v[74:75]
	v_cvt_f32_i32_e32 v74, v74
	v_add_u32_e32 v86, s19, v196
	v_add_u32_e32 v90, s20, v197
	v_mov_b32_e32 v91, 0
	v_fmac_f32_e32 v79, v131, v74
	v_fmac_f32_e32 v163, v203, v79
	ds_read2_b32 v[78:79], v90 offset0:6 offset1:7
	ds_read2_b32 v[80:81], v90 offset0:4 offset1:5
	;; [unrolled: 1-line block ×3, first 2 shown]
	ds_read2_b32 v[76:77], v90 offset1:1
	ds_read_b32 v92, v86
	ds_read2_b32 v[86:87], v90 offset0:14 offset1:15
	ds_read2_b32 v[88:89], v90 offset0:12 offset1:13
	;; [unrolled: 1-line block ×4, first 2 shown]
	v_mov_b32_e32 v90, 0
	s_waitcnt lgkmcnt(7)
	v_dot4c_i32_i8_e32 v90, v80, v4
	v_dot4c_i32_i8_e32 v90, v81, v5
	s_waitcnt lgkmcnt(5)
	v_dot4c_i32_i8_e32 v91, v76, v0
	v_dot4c_i32_i8_e32 v90, v78, v6
	;; [unrolled: 1-line block ×4, first 2 shown]
	s_waitcnt lgkmcnt(4)
	v_bfe_i32 v211, v92, 8, 8
	v_dot4c_i32_i8_e32 v91, v74, v2
	v_dot4c_i32_i8_e32 v91, v75, v3
	v_mul_lo_u32 v90, v90, v211
	v_bfe_i32 v212, v92, 0, 8
	v_mov_b32_e32 v93, 0
	v_mad_u64_u32 v[90:91], s[22:23], v91, v212, v[90:91]
	s_waitcnt lgkmcnt(2)
	v_dot4c_i32_i8_e32 v93, v88, v12
	v_mov_b32_e32 v94, 0
	v_cvt_f32_i32_e32 v90, v90
	v_dot4c_i32_i8_e32 v93, v89, v13
	s_waitcnt lgkmcnt(0)
	v_dot4c_i32_i8_e32 v94, v104, v8
	v_dot4c_i32_i8_e32 v93, v86, v14
	;; [unrolled: 1-line block ×5, first 2 shown]
	v_ashrrev_i32_e32 v214, 24, v92
	v_dot4c_i32_i8_e32 v94, v101, v11
	v_fma_f32 v95, v130, v90, 0
	v_bfe_i32 v213, v92, 16, 8
	v_mul_lo_u32 v90, v93, v214
	v_mad_u64_u32 v[90:91], s[22:23], v94, v213, v[90:91]
	v_cvt_f32_i32_e32 v90, v90
	v_add_u32_e32 v98, s19, v198
	v_add_u32_e32 v99, s20, v199
	v_mov_b32_e32 v103, 0
	v_fmac_f32_e32 v95, v131, v90
	v_fmac_f32_e32 v160, v204, v95
	ds_read2_b32 v[94:95], v99 offset0:6 offset1:7
	ds_read2_b32 v[96:97], v99 offset0:4 offset1:5
	ds_read2_b32 v[90:91], v99 offset0:2 offset1:3
	ds_read2_b32 v[92:93], v99 offset1:1
	ds_read_b32 v102, v98
	ds_read2_b32 v[106:107], v99 offset0:14 offset1:15
	ds_read2_b32 v[108:109], v99 offset0:12 offset1:13
	v_mov_b32_e32 v98, 0
	ds_read2_b32 v[116:117], v99 offset0:10 offset1:11
	ds_read2_b32 v[120:121], v99 offset0:8 offset1:9
	s_waitcnt lgkmcnt(7)
	v_dot4c_i32_i8_e32 v98, v96, v4
	v_mov_b32_e32 v99, 0
	v_dot4c_i32_i8_e32 v98, v97, v5
	s_waitcnt lgkmcnt(5)
	v_dot4c_i32_i8_e32 v99, v92, v0
	v_dot4c_i32_i8_e32 v98, v94, v6
	;; [unrolled: 1-line block ×4, first 2 shown]
	s_waitcnt lgkmcnt(4)
	v_bfe_i32 v215, v102, 8, 8
	v_dot4c_i32_i8_e32 v99, v90, v2
	v_dot4c_i32_i8_e32 v99, v91, v3
	v_mul_lo_u32 v98, v98, v215
	v_bfe_i32 v216, v102, 0, 8
	s_waitcnt lgkmcnt(2)
	v_dot4c_i32_i8_e32 v103, v108, v12
	v_mad_u64_u32 v[98:99], s[22:23], v99, v216, v[98:99]
	v_mov_b32_e32 v110, 0
	v_cvt_f32_i32_e32 v98, v98
	v_dot4c_i32_i8_e32 v103, v109, v13
	s_waitcnt lgkmcnt(0)
	v_dot4c_i32_i8_e32 v110, v120, v8
	v_dot4c_i32_i8_e32 v103, v106, v14
	;; [unrolled: 1-line block ×5, first 2 shown]
	v_ashrrev_i32_e32 v218, 24, v102
	v_dot4c_i32_i8_e32 v110, v117, v11
	v_fma_f32 v111, v130, v98, 0
	v_bfe_i32 v217, v102, 16, 8
	v_mul_lo_u32 v98, v103, v218
	v_mad_u64_u32 v[98:99], s[22:23], v110, v217, v[98:99]
	v_cvt_f32_i32_e32 v98, v98
	v_add_u32_e32 v114, s19, v200
	v_add_u32_e32 v124, s20, v201
	v_mov_b32_e32 v223, 0
	v_fmac_f32_e32 v111, v131, v98
	v_fmac_f32_e32 v157, v205, v111
	ds_read2_b32 v[110:111], v124 offset0:6 offset1:7
	ds_read2_b32 v[112:113], v124 offset0:4 offset1:5
	;; [unrolled: 1-line block ×3, first 2 shown]
	ds_read2_b32 v[102:103], v124 offset1:1
	ds_read_b32 v222, v114
	ds_read2_b32 v[114:115], v124 offset0:14 offset1:15
	ds_read2_b32 v[118:119], v124 offset0:12 offset1:13
	;; [unrolled: 1-line block ×4, first 2 shown]
	v_mov_b32_e32 v224, 0
	s_waitcnt lgkmcnt(4)
	v_bfe_i32 v219, v222, 8, 8
	v_bfe_i32 v220, v222, 0, 8
	s_waitcnt lgkmcnt(2)
	v_dot4c_i32_i8_e32 v223, v118, v12
	v_mov_b32_e32 v12, 0
	s_waitcnt lgkmcnt(0)
	v_dot4c_i32_i8_e32 v12, v124, v8
	v_mov_b32_e32 v8, 0
	v_dot4c_i32_i8_e32 v8, v112, v4
	v_dot4c_i32_i8_e32 v8, v113, v5
	v_mov_b32_e32 v5, 0
	v_dot4c_i32_i8_e32 v5, v102, v0
	v_dot4c_i32_i8_e32 v8, v110, v6
	;; [unrolled: 1-line block ×7, first 2 shown]
	v_mul_lo_u32 v4, v8, v219
	v_dot4c_i32_i8_e32 v223, v114, v14
	v_mad_u64_u32 v[0:1], s[20:21], v5, v220, v[4:5]
	v_cvt_f32_i32_e32 v0, v0
	v_dot4c_i32_i8_e32 v12, v125, v9
	v_dot4c_i32_i8_e32 v223, v115, v15
	;; [unrolled: 1-line block ×3, first 2 shown]
	v_bfe_i32 v221, v222, 16, 8
	v_ashrrev_i32_e32 v222, 24, v222
	v_dot4c_i32_i8_e32 v12, v123, v11
	v_fma_f32 v2, v130, v0, 0
	v_mul_lo_u32 v0, v223, v222
	v_mov_b32_e32 v225, 0
	v_mad_u64_u32 v[0:1], s[20:21], v12, v221, v[0:1]
	v_cvt_f32_i32_e32 v0, v0
	v_mov_b32_e32 v223, 0
	v_mov_b32_e32 v226, 0
	v_fmac_f32_e32 v2, v131, v0
	v_or_b32_e32 v0, s1, v169
	v_lshlrev_b32_e32 v12, 2, v0
	v_lshrrev_b32_e32 v130, 1, v0
	v_fmac_f32_e32 v148, v206, v2
	ds_read_b128 v[0:3], v12 offset:33280
	ds_read_b128 v[4:7], v12 offset:33296
	ds_read_b128 v[8:11], v12 offset:33312
	ds_read_b128 v[12:15], v12 offset:33328
	ds_read_b64 v[130:131], v130 offset:43584
	s_waitcnt lgkmcnt(4)
	v_dot4c_i32_i8_e32 v225, v68, v0
	s_waitcnt lgkmcnt(3)
	v_dot4c_i32_i8_e32 v224, v72, v4
	v_dot4c_i32_i8_e32 v224, v73, v5
	;; [unrolled: 1-line block ×7, first 2 shown]
	s_waitcnt lgkmcnt(1)
	v_dot4c_i32_i8_e32 v223, v128, v12
	v_mul_lo_u32 v224, v224, v207
	v_dot4c_i32_i8_e32 v223, v129, v13
	v_mad_u64_u32 v[224:225], s[20:21], v225, v208, v[224:225]
	v_cvt_f32_i32_e32 v224, v224
	v_dot4c_i32_i8_e32 v226, v84, v8
	v_dot4c_i32_i8_e32 v223, v126, v14
	;; [unrolled: 1-line block ×6, first 2 shown]
	s_waitcnt lgkmcnt(0)
	v_fma_f32 v227, v130, v224, 0
	v_mul_lo_u32 v224, v223, v210
	v_mad_u64_u32 v[224:225], s[20:21], v226, v209, v[224:225]
	v_cvt_f32_i32_e32 v223, v224
	v_mov_b32_e32 v224, 0
	v_dot4c_i32_i8_e32 v224, v80, v4
	v_mov_b32_e32 v225, 0
	v_dot4c_i32_i8_e32 v224, v81, v5
	v_dot4c_i32_i8_e32 v225, v76, v0
	;; [unrolled: 1-line block ×7, first 2 shown]
	v_fmac_f32_e32 v227, v131, v223
	v_mul_lo_u32 v224, v224, v211
	v_mov_b32_e32 v223, 0
	v_mad_u64_u32 v[224:225], s[20:21], v225, v212, v[224:225]
	v_dot4c_i32_i8_e32 v223, v88, v12
	v_mov_b32_e32 v226, 0
	v_cvt_f32_i32_e32 v224, v224
	v_dot4c_i32_i8_e32 v223, v89, v13
	v_dot4c_i32_i8_e32 v226, v104, v8
	;; [unrolled: 1-line block ×6, first 2 shown]
	v_fmac_f32_e32 v138, v203, v227
	v_dot4c_i32_i8_e32 v226, v101, v11
	v_fma_f32 v227, v130, v224, 0
	v_mul_lo_u32 v224, v223, v214
	s_nop 0
	v_mad_u64_u32 v[224:225], s[20:21], v226, v213, v[224:225]
	v_cvt_f32_i32_e32 v223, v224
	v_mov_b32_e32 v224, 0
	v_dot4c_i32_i8_e32 v224, v96, v4
	v_mov_b32_e32 v225, 0
	v_dot4c_i32_i8_e32 v224, v97, v5
	v_dot4c_i32_i8_e32 v225, v92, v0
	;; [unrolled: 1-line block ×7, first 2 shown]
	v_fmac_f32_e32 v227, v131, v223
	v_mul_lo_u32 v224, v224, v215
	v_mov_b32_e32 v223, 0
	v_mad_u64_u32 v[224:225], s[20:21], v225, v216, v[224:225]
	v_dot4c_i32_i8_e32 v223, v108, v12
	v_mov_b32_e32 v226, 0
	v_cvt_f32_i32_e32 v224, v224
	v_dot4c_i32_i8_e32 v223, v109, v13
	v_dot4c_i32_i8_e32 v226, v120, v8
	;; [unrolled: 1-line block ×6, first 2 shown]
	v_fmac_f32_e32 v137, v204, v227
	v_dot4c_i32_i8_e32 v226, v117, v11
	v_fma_f32 v227, v130, v224, 0
	v_mul_lo_u32 v224, v223, v218
	s_nop 0
	v_mad_u64_u32 v[224:225], s[20:21], v226, v217, v[224:225]
	v_cvt_f32_i32_e32 v223, v224
	v_mov_b32_e32 v224, 0
	v_mov_b32_e32 v225, 0
	;; [unrolled: 1-line block ×3, first 2 shown]
	v_fmac_f32_e32 v227, v131, v223
	v_mov_b32_e32 v223, 0
	v_dot4c_i32_i8_e32 v223, v118, v12
	v_mov_b32_e32 v12, 0
	v_dot4c_i32_i8_e32 v12, v124, v8
	;; [unrolled: 2-line block ×3, first 2 shown]
	v_dot4c_i32_i8_e32 v8, v113, v5
	v_mov_b32_e32 v5, 0
	v_dot4c_i32_i8_e32 v5, v102, v0
	v_dot4c_i32_i8_e32 v8, v110, v6
	;; [unrolled: 1-line block ×7, first 2 shown]
	v_mul_lo_u32 v4, v8, v219
	v_dot4c_i32_i8_e32 v223, v114, v14
	v_mad_u64_u32 v[0:1], s[20:21], v5, v220, v[4:5]
	v_cvt_f32_i32_e32 v0, v0
	v_dot4c_i32_i8_e32 v12, v125, v9
	v_dot4c_i32_i8_e32 v223, v115, v15
	;; [unrolled: 1-line block ×4, first 2 shown]
	v_fma_f32 v2, v130, v0, 0
	v_mul_lo_u32 v0, v223, v222
	v_mov_b32_e32 v223, 0
	v_mad_u64_u32 v[0:1], s[20:21], v12, v221, v[0:1]
	v_cvt_f32_i32_e32 v0, v0
	v_fmac_f32_e32 v136, v205, v227
	v_fmac_f32_e32 v2, v131, v0
	v_or_b32_e32 v0, s1, v172
	v_lshlrev_b32_e32 v12, 2, v0
	v_lshrrev_b32_e32 v130, 1, v0
	v_fmac_f32_e32 v134, v206, v2
	ds_read_b128 v[0:3], v12 offset:33280
	ds_read_b128 v[4:7], v12 offset:33296
	;; [unrolled: 1-line block ×4, first 2 shown]
	ds_read_b64 v[130:131], v130 offset:43584
	s_waitcnt lgkmcnt(4)
	v_dot4c_i32_i8_e32 v225, v68, v0
	s_waitcnt lgkmcnt(3)
	v_dot4c_i32_i8_e32 v224, v72, v4
	v_dot4c_i32_i8_e32 v224, v73, v5
	;; [unrolled: 1-line block ×7, first 2 shown]
	s_waitcnt lgkmcnt(1)
	v_dot4c_i32_i8_e32 v223, v128, v12
	v_mul_lo_u32 v224, v224, v207
	v_dot4c_i32_i8_e32 v223, v129, v13
	v_mad_u64_u32 v[224:225], s[20:21], v225, v208, v[224:225]
	v_cvt_f32_i32_e32 v224, v224
	v_dot4c_i32_i8_e32 v226, v84, v8
	v_dot4c_i32_i8_e32 v223, v126, v14
	;; [unrolled: 1-line block ×6, first 2 shown]
	s_waitcnt lgkmcnt(0)
	v_fma_f32 v227, v130, v224, 0
	v_mul_lo_u32 v224, v223, v210
	v_mad_u64_u32 v[224:225], s[20:21], v226, v209, v[224:225]
	v_cvt_f32_i32_e32 v223, v224
	v_mov_b32_e32 v224, 0
	v_dot4c_i32_i8_e32 v224, v80, v4
	v_mov_b32_e32 v225, 0
	v_dot4c_i32_i8_e32 v224, v81, v5
	v_dot4c_i32_i8_e32 v225, v76, v0
	;; [unrolled: 1-line block ×7, first 2 shown]
	v_fmac_f32_e32 v227, v131, v223
	v_mul_lo_u32 v224, v224, v211
	v_mov_b32_e32 v223, 0
	v_mad_u64_u32 v[224:225], s[20:21], v225, v212, v[224:225]
	v_dot4c_i32_i8_e32 v223, v88, v12
	v_mov_b32_e32 v226, 0
	v_cvt_f32_i32_e32 v224, v224
	v_dot4c_i32_i8_e32 v223, v89, v13
	v_dot4c_i32_i8_e32 v226, v104, v8
	;; [unrolled: 1-line block ×6, first 2 shown]
	v_fmac_f32_e32 v133, v203, v227
	v_dot4c_i32_i8_e32 v226, v101, v11
	v_fma_f32 v227, v130, v224, 0
	v_mul_lo_u32 v224, v223, v214
	s_nop 0
	v_mad_u64_u32 v[224:225], s[20:21], v226, v213, v[224:225]
	v_cvt_f32_i32_e32 v223, v224
	v_mov_b32_e32 v224, 0
	v_dot4c_i32_i8_e32 v224, v96, v4
	v_mov_b32_e32 v225, 0
	v_dot4c_i32_i8_e32 v224, v97, v5
	v_dot4c_i32_i8_e32 v225, v92, v0
	;; [unrolled: 1-line block ×7, first 2 shown]
	v_fmac_f32_e32 v227, v131, v223
	v_mul_lo_u32 v224, v224, v215
	v_mov_b32_e32 v223, 0
	v_mad_u64_u32 v[224:225], s[20:21], v225, v216, v[224:225]
	v_dot4c_i32_i8_e32 v223, v108, v12
	v_mov_b32_e32 v226, 0
	v_cvt_f32_i32_e32 v224, v224
	v_dot4c_i32_i8_e32 v223, v109, v13
	v_dot4c_i32_i8_e32 v226, v120, v8
	;; [unrolled: 1-line block ×6, first 2 shown]
	v_fmac_f32_e32 v65, v204, v227
	v_dot4c_i32_i8_e32 v226, v117, v11
	v_fma_f32 v227, v130, v224, 0
	v_mul_lo_u32 v224, v223, v218
	s_nop 0
	v_mad_u64_u32 v[224:225], s[20:21], v226, v217, v[224:225]
	v_cvt_f32_i32_e32 v223, v224
	v_mov_b32_e32 v224, 0
	v_mov_b32_e32 v225, 0
	;; [unrolled: 1-line block ×3, first 2 shown]
	v_fmac_f32_e32 v227, v131, v223
	v_mov_b32_e32 v223, 0
	v_dot4c_i32_i8_e32 v223, v118, v12
	v_mov_b32_e32 v12, 0
	v_dot4c_i32_i8_e32 v12, v124, v8
	v_mov_b32_e32 v8, 0
	v_dot4c_i32_i8_e32 v8, v112, v4
	v_dot4c_i32_i8_e32 v8, v113, v5
	v_mov_b32_e32 v5, 0
	v_dot4c_i32_i8_e32 v5, v102, v0
	v_dot4c_i32_i8_e32 v8, v110, v6
	;; [unrolled: 1-line block ×7, first 2 shown]
	v_mul_lo_u32 v4, v8, v219
	v_dot4c_i32_i8_e32 v223, v114, v14
	v_mad_u64_u32 v[0:1], s[20:21], v5, v220, v[4:5]
	v_cvt_f32_i32_e32 v0, v0
	v_dot4c_i32_i8_e32 v12, v125, v9
	v_dot4c_i32_i8_e32 v223, v115, v15
	;; [unrolled: 1-line block ×4, first 2 shown]
	v_fma_f32 v2, v130, v0, 0
	v_mul_lo_u32 v0, v223, v222
	v_mov_b32_e32 v223, 0
	v_mad_u64_u32 v[0:1], s[20:21], v12, v221, v[0:1]
	v_cvt_f32_i32_e32 v0, v0
	v_fmac_f32_e32 v61, v205, v227
	v_fmac_f32_e32 v2, v131, v0
	v_or_b32_e32 v0, s1, v175
	v_lshlrev_b32_e32 v12, 2, v0
	v_lshrrev_b32_e32 v130, 1, v0
	v_fmac_f32_e32 v57, v206, v2
	ds_read_b128 v[0:3], v12 offset:33280
	ds_read_b128 v[4:7], v12 offset:33296
	ds_read_b128 v[8:11], v12 offset:33312
	ds_read_b128 v[12:15], v12 offset:33328
	ds_read_b64 v[130:131], v130 offset:43584
	s_waitcnt lgkmcnt(4)
	v_dot4c_i32_i8_e32 v225, v68, v0
	s_waitcnt lgkmcnt(3)
	v_dot4c_i32_i8_e32 v224, v72, v4
	v_dot4c_i32_i8_e32 v224, v73, v5
	;; [unrolled: 1-line block ×7, first 2 shown]
	s_waitcnt lgkmcnt(1)
	v_dot4c_i32_i8_e32 v223, v128, v12
	v_mul_lo_u32 v224, v224, v207
	v_dot4c_i32_i8_e32 v223, v129, v13
	v_mad_u64_u32 v[224:225], s[20:21], v225, v208, v[224:225]
	v_cvt_f32_i32_e32 v224, v224
	v_dot4c_i32_i8_e32 v226, v84, v8
	v_dot4c_i32_i8_e32 v223, v126, v14
	;; [unrolled: 1-line block ×6, first 2 shown]
	s_waitcnt lgkmcnt(0)
	v_fma_f32 v227, v130, v224, 0
	v_mul_lo_u32 v224, v223, v210
	v_mad_u64_u32 v[224:225], s[20:21], v226, v209, v[224:225]
	v_cvt_f32_i32_e32 v223, v224
	v_mov_b32_e32 v224, 0
	v_dot4c_i32_i8_e32 v224, v80, v4
	v_mov_b32_e32 v225, 0
	v_dot4c_i32_i8_e32 v224, v81, v5
	v_dot4c_i32_i8_e32 v225, v76, v0
	v_dot4c_i32_i8_e32 v224, v78, v6
	v_dot4c_i32_i8_e32 v225, v77, v1
	v_dot4c_i32_i8_e32 v224, v79, v7
	v_dot4c_i32_i8_e32 v225, v74, v2
	v_dot4c_i32_i8_e32 v225, v75, v3
	v_fmac_f32_e32 v227, v131, v223
	v_mul_lo_u32 v224, v224, v211
	v_mov_b32_e32 v223, 0
	v_mad_u64_u32 v[224:225], s[20:21], v225, v212, v[224:225]
	v_dot4c_i32_i8_e32 v223, v88, v12
	v_mov_b32_e32 v226, 0
	v_cvt_f32_i32_e32 v224, v224
	v_dot4c_i32_i8_e32 v223, v89, v13
	v_dot4c_i32_i8_e32 v226, v104, v8
	;; [unrolled: 1-line block ×6, first 2 shown]
	v_fmac_f32_e32 v55, v203, v227
	v_dot4c_i32_i8_e32 v226, v101, v11
	v_fma_f32 v227, v130, v224, 0
	v_mul_lo_u32 v224, v223, v214
	s_nop 0
	v_mad_u64_u32 v[224:225], s[20:21], v226, v213, v[224:225]
	v_cvt_f32_i32_e32 v223, v224
	v_mov_b32_e32 v224, 0
	v_dot4c_i32_i8_e32 v224, v96, v4
	v_mov_b32_e32 v225, 0
	v_dot4c_i32_i8_e32 v224, v97, v5
	v_dot4c_i32_i8_e32 v225, v92, v0
	;; [unrolled: 1-line block ×7, first 2 shown]
	v_fmac_f32_e32 v227, v131, v223
	v_mul_lo_u32 v224, v224, v215
	v_mov_b32_e32 v223, 0
	v_mad_u64_u32 v[224:225], s[20:21], v225, v216, v[224:225]
	v_dot4c_i32_i8_e32 v223, v108, v12
	v_mov_b32_e32 v226, 0
	v_cvt_f32_i32_e32 v224, v224
	v_dot4c_i32_i8_e32 v223, v109, v13
	v_dot4c_i32_i8_e32 v226, v120, v8
	;; [unrolled: 1-line block ×6, first 2 shown]
	v_fmac_f32_e32 v53, v204, v227
	v_dot4c_i32_i8_e32 v226, v117, v11
	v_fma_f32 v227, v130, v224, 0
	v_mul_lo_u32 v224, v223, v218
	s_nop 0
	v_mad_u64_u32 v[224:225], s[20:21], v226, v217, v[224:225]
	v_cvt_f32_i32_e32 v223, v224
	v_mov_b32_e32 v224, 0
	v_mov_b32_e32 v225, 0
	;; [unrolled: 1-line block ×3, first 2 shown]
	v_fmac_f32_e32 v227, v131, v223
	v_mov_b32_e32 v223, 0
	v_dot4c_i32_i8_e32 v223, v118, v12
	v_mov_b32_e32 v12, 0
	v_dot4c_i32_i8_e32 v12, v124, v8
	;; [unrolled: 2-line block ×3, first 2 shown]
	v_dot4c_i32_i8_e32 v8, v113, v5
	v_mov_b32_e32 v5, 0
	v_dot4c_i32_i8_e32 v5, v102, v0
	v_dot4c_i32_i8_e32 v8, v110, v6
	;; [unrolled: 1-line block ×7, first 2 shown]
	v_mul_lo_u32 v4, v8, v219
	v_dot4c_i32_i8_e32 v223, v114, v14
	v_mad_u64_u32 v[0:1], s[20:21], v5, v220, v[4:5]
	v_cvt_f32_i32_e32 v0, v0
	v_dot4c_i32_i8_e32 v12, v125, v9
	v_dot4c_i32_i8_e32 v223, v115, v15
	;; [unrolled: 1-line block ×4, first 2 shown]
	v_fma_f32 v2, v130, v0, 0
	v_mul_lo_u32 v0, v223, v222
	v_mov_b32_e32 v223, 0
	v_mad_u64_u32 v[0:1], s[20:21], v12, v221, v[0:1]
	v_cvt_f32_i32_e32 v0, v0
	v_fmac_f32_e32 v51, v205, v227
	v_fmac_f32_e32 v2, v131, v0
	v_or_b32_e32 v0, s1, v178
	v_lshlrev_b32_e32 v12, 2, v0
	v_lshrrev_b32_e32 v130, 1, v0
	v_fmac_f32_e32 v49, v206, v2
	ds_read_b128 v[0:3], v12 offset:33280
	ds_read_b128 v[4:7], v12 offset:33296
	;; [unrolled: 1-line block ×4, first 2 shown]
	ds_read_b64 v[130:131], v130 offset:43584
	s_waitcnt lgkmcnt(4)
	v_dot4c_i32_i8_e32 v225, v68, v0
	s_waitcnt lgkmcnt(3)
	v_dot4c_i32_i8_e32 v224, v72, v4
	v_dot4c_i32_i8_e32 v224, v73, v5
	;; [unrolled: 1-line block ×7, first 2 shown]
	s_waitcnt lgkmcnt(1)
	v_dot4c_i32_i8_e32 v223, v128, v12
	v_mul_lo_u32 v224, v224, v207
	v_dot4c_i32_i8_e32 v223, v129, v13
	v_mad_u64_u32 v[224:225], s[20:21], v225, v208, v[224:225]
	v_cvt_f32_i32_e32 v224, v224
	v_dot4c_i32_i8_e32 v226, v84, v8
	v_dot4c_i32_i8_e32 v223, v126, v14
	;; [unrolled: 1-line block ×6, first 2 shown]
	s_waitcnt lgkmcnt(0)
	v_fma_f32 v227, v130, v224, 0
	v_mul_lo_u32 v224, v223, v210
	v_mad_u64_u32 v[224:225], s[20:21], v226, v209, v[224:225]
	v_cvt_f32_i32_e32 v223, v224
	v_mov_b32_e32 v224, 0
	v_dot4c_i32_i8_e32 v224, v80, v4
	v_mov_b32_e32 v225, 0
	v_dot4c_i32_i8_e32 v224, v81, v5
	v_dot4c_i32_i8_e32 v225, v76, v0
	;; [unrolled: 1-line block ×7, first 2 shown]
	v_fmac_f32_e32 v227, v131, v223
	v_mul_lo_u32 v224, v224, v211
	v_mov_b32_e32 v223, 0
	v_mad_u64_u32 v[224:225], s[20:21], v225, v212, v[224:225]
	v_dot4c_i32_i8_e32 v223, v88, v12
	v_mov_b32_e32 v226, 0
	v_cvt_f32_i32_e32 v224, v224
	v_dot4c_i32_i8_e32 v223, v89, v13
	v_dot4c_i32_i8_e32 v226, v104, v8
	;; [unrolled: 1-line block ×6, first 2 shown]
	v_fmac_f32_e32 v47, v203, v227
	v_dot4c_i32_i8_e32 v226, v101, v11
	v_fma_f32 v227, v130, v224, 0
	v_mul_lo_u32 v224, v223, v214
	s_nop 0
	v_mad_u64_u32 v[224:225], s[20:21], v226, v213, v[224:225]
	v_cvt_f32_i32_e32 v223, v224
	v_mov_b32_e32 v224, 0
	v_dot4c_i32_i8_e32 v224, v96, v4
	v_mov_b32_e32 v225, 0
	v_dot4c_i32_i8_e32 v224, v97, v5
	v_dot4c_i32_i8_e32 v225, v92, v0
	;; [unrolled: 1-line block ×7, first 2 shown]
	v_fmac_f32_e32 v227, v131, v223
	v_mul_lo_u32 v224, v224, v215
	v_mov_b32_e32 v223, 0
	v_mad_u64_u32 v[224:225], s[20:21], v225, v216, v[224:225]
	v_dot4c_i32_i8_e32 v223, v108, v12
	v_mov_b32_e32 v226, 0
	v_cvt_f32_i32_e32 v224, v224
	v_dot4c_i32_i8_e32 v223, v109, v13
	v_dot4c_i32_i8_e32 v226, v120, v8
	;; [unrolled: 1-line block ×6, first 2 shown]
	v_fmac_f32_e32 v45, v204, v227
	v_dot4c_i32_i8_e32 v226, v117, v11
	v_fma_f32 v227, v130, v224, 0
	v_mul_lo_u32 v224, v223, v218
	s_nop 0
	v_mad_u64_u32 v[224:225], s[20:21], v226, v217, v[224:225]
	v_cvt_f32_i32_e32 v223, v224
	v_mov_b32_e32 v224, 0
	v_mov_b32_e32 v225, 0
	;; [unrolled: 1-line block ×3, first 2 shown]
	v_fmac_f32_e32 v227, v131, v223
	v_mov_b32_e32 v223, 0
	v_dot4c_i32_i8_e32 v223, v118, v12
	v_mov_b32_e32 v12, 0
	v_dot4c_i32_i8_e32 v12, v124, v8
	;; [unrolled: 2-line block ×3, first 2 shown]
	v_dot4c_i32_i8_e32 v8, v113, v5
	v_mov_b32_e32 v5, 0
	v_dot4c_i32_i8_e32 v5, v102, v0
	v_dot4c_i32_i8_e32 v8, v110, v6
	;; [unrolled: 1-line block ×7, first 2 shown]
	v_mul_lo_u32 v4, v8, v219
	v_dot4c_i32_i8_e32 v223, v114, v14
	v_mad_u64_u32 v[0:1], s[20:21], v5, v220, v[4:5]
	v_cvt_f32_i32_e32 v0, v0
	v_dot4c_i32_i8_e32 v12, v125, v9
	v_dot4c_i32_i8_e32 v223, v115, v15
	;; [unrolled: 1-line block ×4, first 2 shown]
	v_fma_f32 v2, v130, v0, 0
	v_mul_lo_u32 v0, v223, v222
	v_mov_b32_e32 v223, 0
	v_mad_u64_u32 v[0:1], s[20:21], v12, v221, v[0:1]
	v_cvt_f32_i32_e32 v0, v0
	v_fmac_f32_e32 v43, v205, v227
	v_fmac_f32_e32 v2, v131, v0
	v_or_b32_e32 v0, s1, v181
	v_lshlrev_b32_e32 v12, 2, v0
	v_lshrrev_b32_e32 v130, 1, v0
	v_fmac_f32_e32 v41, v206, v2
	ds_read_b128 v[0:3], v12 offset:33280
	ds_read_b128 v[4:7], v12 offset:33296
	;; [unrolled: 1-line block ×4, first 2 shown]
	ds_read_b64 v[130:131], v130 offset:43584
	s_waitcnt lgkmcnt(4)
	v_dot4c_i32_i8_e32 v225, v68, v0
	s_waitcnt lgkmcnt(3)
	v_dot4c_i32_i8_e32 v224, v72, v4
	v_dot4c_i32_i8_e32 v224, v73, v5
	;; [unrolled: 1-line block ×7, first 2 shown]
	s_waitcnt lgkmcnt(1)
	v_dot4c_i32_i8_e32 v223, v128, v12
	v_mul_lo_u32 v224, v224, v207
	v_dot4c_i32_i8_e32 v223, v129, v13
	v_mad_u64_u32 v[224:225], s[20:21], v225, v208, v[224:225]
	v_cvt_f32_i32_e32 v224, v224
	v_dot4c_i32_i8_e32 v226, v84, v8
	v_dot4c_i32_i8_e32 v223, v126, v14
	;; [unrolled: 1-line block ×6, first 2 shown]
	s_waitcnt lgkmcnt(0)
	v_fma_f32 v227, v130, v224, 0
	v_mul_lo_u32 v224, v223, v210
	v_mad_u64_u32 v[224:225], s[20:21], v226, v209, v[224:225]
	v_cvt_f32_i32_e32 v223, v224
	v_mov_b32_e32 v224, 0
	v_dot4c_i32_i8_e32 v224, v80, v4
	v_mov_b32_e32 v225, 0
	v_dot4c_i32_i8_e32 v224, v81, v5
	v_dot4c_i32_i8_e32 v225, v76, v0
	;; [unrolled: 1-line block ×7, first 2 shown]
	v_fmac_f32_e32 v227, v131, v223
	v_mul_lo_u32 v224, v224, v211
	v_mov_b32_e32 v223, 0
	v_mad_u64_u32 v[224:225], s[20:21], v225, v212, v[224:225]
	v_dot4c_i32_i8_e32 v223, v88, v12
	v_mov_b32_e32 v226, 0
	v_cvt_f32_i32_e32 v224, v224
	v_dot4c_i32_i8_e32 v223, v89, v13
	v_dot4c_i32_i8_e32 v226, v104, v8
	;; [unrolled: 1-line block ×6, first 2 shown]
	v_fmac_f32_e32 v39, v203, v227
	v_dot4c_i32_i8_e32 v226, v101, v11
	v_fma_f32 v227, v130, v224, 0
	v_mul_lo_u32 v224, v223, v214
	s_nop 0
	v_mad_u64_u32 v[224:225], s[20:21], v226, v213, v[224:225]
	v_cvt_f32_i32_e32 v223, v224
	v_mov_b32_e32 v224, 0
	v_dot4c_i32_i8_e32 v224, v96, v4
	v_mov_b32_e32 v225, 0
	v_dot4c_i32_i8_e32 v224, v97, v5
	v_dot4c_i32_i8_e32 v225, v92, v0
	;; [unrolled: 1-line block ×7, first 2 shown]
	v_fmac_f32_e32 v227, v131, v223
	v_mul_lo_u32 v224, v224, v215
	v_mov_b32_e32 v223, 0
	v_mad_u64_u32 v[224:225], s[20:21], v225, v216, v[224:225]
	v_dot4c_i32_i8_e32 v223, v108, v12
	v_mov_b32_e32 v226, 0
	v_cvt_f32_i32_e32 v224, v224
	v_dot4c_i32_i8_e32 v223, v109, v13
	v_dot4c_i32_i8_e32 v226, v120, v8
	;; [unrolled: 1-line block ×6, first 2 shown]
	v_fmac_f32_e32 v37, v204, v227
	v_dot4c_i32_i8_e32 v226, v117, v11
	v_fma_f32 v227, v130, v224, 0
	v_mul_lo_u32 v224, v223, v218
	s_nop 0
	v_mad_u64_u32 v[224:225], s[20:21], v226, v217, v[224:225]
	v_cvt_f32_i32_e32 v223, v224
	v_mov_b32_e32 v224, 0
	v_mov_b32_e32 v225, 0
	;; [unrolled: 1-line block ×3, first 2 shown]
	v_fmac_f32_e32 v227, v131, v223
	v_mov_b32_e32 v223, 0
	v_dot4c_i32_i8_e32 v223, v118, v12
	v_mov_b32_e32 v12, 0
	v_dot4c_i32_i8_e32 v12, v124, v8
	;; [unrolled: 2-line block ×3, first 2 shown]
	v_dot4c_i32_i8_e32 v8, v113, v5
	v_mov_b32_e32 v5, 0
	v_dot4c_i32_i8_e32 v5, v102, v0
	v_dot4c_i32_i8_e32 v8, v110, v6
	;; [unrolled: 1-line block ×7, first 2 shown]
	v_mul_lo_u32 v4, v8, v219
	v_dot4c_i32_i8_e32 v223, v114, v14
	v_mad_u64_u32 v[0:1], s[20:21], v5, v220, v[4:5]
	v_cvt_f32_i32_e32 v0, v0
	v_dot4c_i32_i8_e32 v12, v125, v9
	v_dot4c_i32_i8_e32 v223, v115, v15
	;; [unrolled: 1-line block ×4, first 2 shown]
	v_fma_f32 v2, v130, v0, 0
	v_mul_lo_u32 v0, v223, v222
	v_mov_b32_e32 v223, 0
	v_mad_u64_u32 v[0:1], s[20:21], v12, v221, v[0:1]
	v_cvt_f32_i32_e32 v0, v0
	v_fmac_f32_e32 v35, v205, v227
	v_fmac_f32_e32 v2, v131, v0
	v_or_b32_e32 v0, s1, v184
	v_lshlrev_b32_e32 v12, 2, v0
	v_lshrrev_b32_e32 v130, 1, v0
	v_fmac_f32_e32 v33, v206, v2
	ds_read_b128 v[0:3], v12 offset:33280
	ds_read_b128 v[4:7], v12 offset:33296
	;; [unrolled: 1-line block ×4, first 2 shown]
	ds_read_b64 v[130:131], v130 offset:43584
	s_waitcnt lgkmcnt(4)
	v_dot4c_i32_i8_e32 v225, v68, v0
	s_waitcnt lgkmcnt(3)
	v_dot4c_i32_i8_e32 v224, v72, v4
	v_dot4c_i32_i8_e32 v224, v73, v5
	;; [unrolled: 1-line block ×7, first 2 shown]
	s_waitcnt lgkmcnt(1)
	v_dot4c_i32_i8_e32 v223, v128, v12
	v_mul_lo_u32 v224, v224, v207
	v_dot4c_i32_i8_e32 v223, v129, v13
	v_mad_u64_u32 v[224:225], s[20:21], v225, v208, v[224:225]
	v_cvt_f32_i32_e32 v224, v224
	v_dot4c_i32_i8_e32 v226, v84, v8
	v_dot4c_i32_i8_e32 v223, v126, v14
	;; [unrolled: 1-line block ×6, first 2 shown]
	s_waitcnt lgkmcnt(0)
	v_fma_f32 v227, v130, v224, 0
	v_mul_lo_u32 v224, v223, v210
	v_mad_u64_u32 v[224:225], s[20:21], v226, v209, v[224:225]
	v_cvt_f32_i32_e32 v223, v224
	v_mov_b32_e32 v224, 0
	v_dot4c_i32_i8_e32 v224, v80, v4
	v_mov_b32_e32 v225, 0
	v_dot4c_i32_i8_e32 v224, v81, v5
	v_dot4c_i32_i8_e32 v225, v76, v0
	;; [unrolled: 1-line block ×7, first 2 shown]
	v_fmac_f32_e32 v227, v131, v223
	v_mul_lo_u32 v224, v224, v211
	v_mov_b32_e32 v223, 0
	v_mad_u64_u32 v[224:225], s[20:21], v225, v212, v[224:225]
	v_dot4c_i32_i8_e32 v223, v88, v12
	v_mov_b32_e32 v226, 0
	v_cvt_f32_i32_e32 v224, v224
	v_dot4c_i32_i8_e32 v223, v89, v13
	v_dot4c_i32_i8_e32 v226, v104, v8
	;; [unrolled: 1-line block ×6, first 2 shown]
	v_fmac_f32_e32 v31, v203, v227
	v_dot4c_i32_i8_e32 v226, v101, v11
	v_fma_f32 v227, v130, v224, 0
	v_mul_lo_u32 v224, v223, v214
	s_nop 0
	v_mad_u64_u32 v[224:225], s[20:21], v226, v213, v[224:225]
	v_cvt_f32_i32_e32 v223, v224
	v_mov_b32_e32 v224, 0
	v_dot4c_i32_i8_e32 v224, v96, v4
	v_mov_b32_e32 v225, 0
	v_dot4c_i32_i8_e32 v224, v97, v5
	v_dot4c_i32_i8_e32 v225, v92, v0
	;; [unrolled: 1-line block ×7, first 2 shown]
	v_fmac_f32_e32 v227, v131, v223
	v_mul_lo_u32 v224, v224, v215
	v_mov_b32_e32 v223, 0
	v_mad_u64_u32 v[224:225], s[20:21], v225, v216, v[224:225]
	v_dot4c_i32_i8_e32 v223, v108, v12
	v_mov_b32_e32 v226, 0
	v_cvt_f32_i32_e32 v224, v224
	v_dot4c_i32_i8_e32 v223, v109, v13
	v_dot4c_i32_i8_e32 v226, v120, v8
	;; [unrolled: 1-line block ×6, first 2 shown]
	v_fmac_f32_e32 v29, v204, v227
	v_dot4c_i32_i8_e32 v226, v117, v11
	v_fma_f32 v227, v130, v224, 0
	v_mul_lo_u32 v224, v223, v218
	s_nop 0
	v_mad_u64_u32 v[224:225], s[20:21], v226, v217, v[224:225]
	v_cvt_f32_i32_e32 v223, v224
	v_fmac_f32_e32 v227, v131, v223
	v_mov_b32_e32 v223, 0
	v_dot4c_i32_i8_e32 v223, v118, v12
	v_mov_b32_e32 v12, 0
	v_dot4c_i32_i8_e32 v12, v124, v8
	;; [unrolled: 2-line block ×3, first 2 shown]
	v_dot4c_i32_i8_e32 v8, v113, v5
	v_mov_b32_e32 v5, 0
	v_dot4c_i32_i8_e32 v5, v102, v0
	v_dot4c_i32_i8_e32 v8, v110, v6
	;; [unrolled: 1-line block ×7, first 2 shown]
	v_mul_lo_u32 v4, v8, v219
	v_dot4c_i32_i8_e32 v223, v114, v14
	v_mad_u64_u32 v[0:1], s[20:21], v5, v220, v[4:5]
	v_cvt_f32_i32_e32 v0, v0
	v_dot4c_i32_i8_e32 v12, v125, v9
	v_dot4c_i32_i8_e32 v223, v115, v15
	;; [unrolled: 1-line block ×4, first 2 shown]
	v_fma_f32 v2, v130, v0, 0
	v_mul_lo_u32 v0, v223, v222
	v_mov_b32_e32 v223, 0
	v_mad_u64_u32 v[0:1], s[20:21], v12, v221, v[0:1]
	v_cvt_f32_i32_e32 v0, v0
	v_fmac_f32_e32 v27, v205, v227
	v_fmac_f32_e32 v2, v131, v0
	v_or_b32_e32 v0, s1, v187
	v_lshlrev_b32_e32 v12, 2, v0
	v_lshrrev_b32_e32 v130, 1, v0
	v_fmac_f32_e32 v25, v206, v2
	ds_read_b128 v[0:3], v12 offset:33280
	ds_read_b128 v[4:7], v12 offset:33296
	;; [unrolled: 1-line block ×4, first 2 shown]
	ds_read_b64 v[130:131], v130 offset:43584
	s_add_i32 s1, s0, 8
	s_cmp_lt_u32 s0, 24
	s_mov_b32 s0, s1
	s_waitcnt lgkmcnt(1)
	v_dot4c_i32_i8_e32 v223, v128, v12
	v_dot4c_i32_i8_e32 v223, v129, v13
	;; [unrolled: 1-line block ×3, first 2 shown]
	v_mov_b32_e32 v126, 0
	v_dot4c_i32_i8_e32 v126, v84, v8
	v_dot4c_i32_i8_e32 v126, v85, v9
	;; [unrolled: 1-line block ×3, first 2 shown]
	v_mov_b32_e32 v82, 0
	v_dot4c_i32_i8_e32 v82, v72, v4
	v_dot4c_i32_i8_e32 v82, v73, v5
	;; [unrolled: 1-line block ×4, first 2 shown]
	v_mov_b32_e32 v71, 0
	v_dot4c_i32_i8_e32 v71, v68, v0
	v_dot4c_i32_i8_e32 v71, v69, v1
	;; [unrolled: 1-line block ×3, first 2 shown]
	v_mul_lo_u32 v70, v82, v207
	v_dot4c_i32_i8_e32 v71, v67, v3
	v_dot4c_i32_i8_e32 v223, v127, v15
	v_dot4c_i32_i8_e32 v126, v83, v11
	v_mov_b32_e32 v69, 0
	v_mad_u64_u32 v[66:67], s[20:21], v71, v208, v[70:71]
	v_cvt_f32_i32_e32 v66, v66
	v_dot4c_i32_i8_e32 v69, v104, v8
	v_dot4c_i32_i8_e32 v69, v105, v9
	;; [unrolled: 1-line block ×3, first 2 shown]
	s_waitcnt lgkmcnt(0)
	v_fma_f32 v68, v130, v66, 0
	v_mul_lo_u32 v66, v223, v210
	v_mad_u64_u32 v[66:67], s[20:21], v126, v209, v[66:67]
	v_cvt_f32_i32_e32 v66, v66
	v_mov_b32_e32 v67, 0
	v_dot4c_i32_i8_e32 v67, v76, v0
	v_dot4c_i32_i8_e32 v67, v77, v1
	v_fmac_f32_e32 v68, v131, v66
	v_mov_b32_e32 v66, 0
	v_dot4c_i32_i8_e32 v66, v80, v4
	v_dot4c_i32_i8_e32 v66, v81, v5
	v_dot4c_i32_i8_e32 v66, v78, v6
	v_dot4c_i32_i8_e32 v66, v79, v7
	v_dot4c_i32_i8_e32 v67, v74, v2
	v_dot4c_i32_i8_e32 v67, v75, v3
	v_fmac_f32_e32 v23, v203, v68
	v_mul_lo_u32 v66, v66, v211
	v_mov_b32_e32 v68, 0
	v_mad_u64_u32 v[66:67], s[20:21], v67, v212, v[66:67]
	v_dot4c_i32_i8_e32 v68, v88, v12
	v_cvt_f32_i32_e32 v66, v66
	v_dot4c_i32_i8_e32 v68, v89, v13
	v_dot4c_i32_i8_e32 v68, v86, v14
	;; [unrolled: 1-line block ×4, first 2 shown]
	v_fma_f32 v70, v130, v66, 0
	s_nop 0
	v_mul_lo_u32 v66, v68, v214
	v_mad_u64_u32 v[66:67], s[20:21], v69, v213, v[66:67]
	v_cvt_f32_i32_e32 v66, v66
	v_mov_b32_e32 v67, 0
	v_dot4c_i32_i8_e32 v67, v92, v0
	v_dot4c_i32_i8_e32 v67, v93, v1
	v_fmac_f32_e32 v70, v131, v66
	v_mov_b32_e32 v66, 0
	v_dot4c_i32_i8_e32 v66, v96, v4
	v_dot4c_i32_i8_e32 v66, v97, v5
	;; [unrolled: 1-line block ×6, first 2 shown]
	v_mov_b32_e32 v68, 0
	v_mul_lo_u32 v66, v66, v215
	v_dot4c_i32_i8_e32 v68, v108, v12
	v_mad_u64_u32 v[66:67], s[20:21], v67, v216, v[66:67]
	v_mov_b32_e32 v69, 0
	v_cvt_f32_i32_e32 v66, v66
	v_dot4c_i32_i8_e32 v68, v109, v13
	v_dot4c_i32_i8_e32 v69, v120, v8
	;; [unrolled: 1-line block ×6, first 2 shown]
	v_fmac_f32_e32 v21, v204, v70
	v_dot4c_i32_i8_e32 v69, v117, v11
	v_fma_f32 v70, v130, v66, 0
	v_mul_lo_u32 v66, v68, v218
	s_nop 0
	v_mad_u64_u32 v[66:67], s[20:21], v69, v217, v[66:67]
	v_cvt_f32_i32_e32 v66, v66
	v_fmac_f32_e32 v70, v131, v66
	v_mov_b32_e32 v66, 0
	v_dot4c_i32_i8_e32 v66, v118, v12
	v_mov_b32_e32 v12, 0
	v_dot4c_i32_i8_e32 v12, v124, v8
	v_mov_b32_e32 v8, 0
	v_dot4c_i32_i8_e32 v8, v112, v4
	v_dot4c_i32_i8_e32 v8, v113, v5
	v_mov_b32_e32 v5, 0
	v_dot4c_i32_i8_e32 v5, v102, v0
	v_dot4c_i32_i8_e32 v8, v110, v6
	;; [unrolled: 1-line block ×7, first 2 shown]
	v_mul_lo_u32 v4, v8, v219
	v_dot4c_i32_i8_e32 v66, v114, v14
	v_mad_u64_u32 v[0:1], s[20:21], v5, v220, v[4:5]
	v_cvt_f32_i32_e32 v0, v0
	v_dot4c_i32_i8_e32 v12, v125, v9
	v_dot4c_i32_i8_e32 v66, v115, v15
	;; [unrolled: 1-line block ×4, first 2 shown]
	v_fma_f32 v2, v130, v0, 0
	v_mul_lo_u32 v0, v66, v222
	v_fmac_f32_e32 v19, v205, v70
	v_mad_u64_u32 v[0:1], s[20:21], v12, v221, v[0:1]
	v_cvt_f32_i32_e32 v0, v0
	v_fmac_f32_e32 v2, v131, v0
	v_fmac_f32_e32 v17, v206, v2
	s_cbranch_scc1 .LBB155_8
; %bb.9:                                ;   in Loop: Header=BB155_5 Depth=1
	s_add_i32 s14, s14, 1
	s_cmp_eq_u32 s14, s4
	s_barrier
	s_cbranch_scc0 .LBB155_5
; %bb.10:
	v_mov_b32_e32 v1, v132
.LBB155_11:
	v_cmp_gt_u32_e32 vcc, s8, v135
	s_and_saveexec_b64 s[0:1], vcc
	s_cbranch_execz .LBB155_62
; %bb.12:
	v_add_u32_e32 v0, s6, v59
	v_mul_lo_u32 v5, v135, s10
	v_cmp_gt_u32_e32 vcc, s10, v0
	s_and_saveexec_b64 s[2:3], vcc
	s_cbranch_execz .LBB155_14
; %bb.13:
	v_add_u32_e32 v2, v0, v5
	v_mov_b32_e32 v3, 0
	v_cvt_f16_f32_e32 v6, v163
	v_lshlrev_b64 v[2:3], 1, v[2:3]
	s_waitcnt lgkmcnt(0)
	v_mov_b32_e32 v4, s13
	v_add_co_u32_e64 v2, s[0:1], s12, v2
	v_addc_co_u32_e64 v3, s[0:1], v4, v3, s[0:1]
	global_store_short v[2:3], v6, off
.LBB155_14:
	s_or_b64 exec, exec, s[2:3]
	v_add_u32_e32 v2, 32, v0
	v_cmp_gt_u32_e64 s[0:1], s10, v2
	s_and_saveexec_b64 s[4:5], s[0:1]
	s_cbranch_execz .LBB155_16
; %bb.15:
	v_add_u32_e32 v6, v2, v5
	v_mov_b32_e32 v7, 0
	v_cvt_f16_f32_e32 v4, v160
	v_lshlrev_b64 v[6:7], 1, v[6:7]
	s_waitcnt lgkmcnt(0)
	v_mov_b32_e32 v3, s13
	v_add_co_u32_e64 v6, s[2:3], s12, v6
	v_addc_co_u32_e64 v7, s[2:3], v3, v7, s[2:3]
	global_store_short v[6:7], v4, off
.LBB155_16:
	s_or_b64 exec, exec, s[4:5]
	v_add_u32_e32 v3, 64, v0
	v_cmp_gt_u32_e64 s[2:3], s10, v3
	s_and_saveexec_b64 s[6:7], s[2:3]
	;; [unrolled: 16-line block ×3, first 2 shown]
	s_cbranch_execz .LBB155_20
; %bb.19:
	v_add_u32_e32 v6, v4, v5
	v_mov_b32_e32 v7, 0
	v_cvt_f16_f32_e32 v8, v148
	v_lshlrev_b64 v[6:7], 1, v[6:7]
	s_waitcnt lgkmcnt(0)
	v_mov_b32_e32 v5, s13
	v_add_co_u32_e64 v6, s[6:7], s12, v6
	v_addc_co_u32_e64 v7, s[6:7], v5, v7, s[6:7]
	global_store_short v[6:7], v8, off
.LBB155_20:
	s_or_b64 exec, exec, s[14:15]
	v_add3_u32 v5, v1, s11, 8
	v_cmp_gt_u32_e64 s[6:7], s8, v5
	s_and_b64 exec, exec, s[6:7]
	s_cbranch_execz .LBB155_62
; %bb.21:
	v_mul_lo_u32 v5, v5, s10
	s_and_saveexec_b64 s[14:15], vcc
	s_cbranch_execnz .LBB155_63
; %bb.22:
	s_or_b64 exec, exec, s[14:15]
	s_and_saveexec_b64 s[14:15], s[0:1]
	s_cbranch_execnz .LBB155_64
.LBB155_23:
	s_or_b64 exec, exec, s[14:15]
	s_and_saveexec_b64 s[14:15], s[2:3]
	s_cbranch_execnz .LBB155_65
.LBB155_24:
	s_or_b64 exec, exec, s[14:15]
	s_and_saveexec_b64 s[14:15], s[4:5]
	s_cbranch_execz .LBB155_26
.LBB155_25:
	v_add_u32_e32 v6, v5, v4
	v_mov_b32_e32 v7, 0
	v_cvt_f16_f32_e32 v8, v134
	v_lshlrev_b64 v[6:7], 1, v[6:7]
	s_waitcnt lgkmcnt(0)
	v_mov_b32_e32 v5, s13
	v_add_co_u32_e64 v6, s[6:7], s12, v6
	v_addc_co_u32_e64 v7, s[6:7], v5, v7, s[6:7]
	global_store_short v[6:7], v8, off
.LBB155_26:
	s_or_b64 exec, exec, s[14:15]
	v_add3_u32 v5, v1, s11, 16
	v_cmp_gt_u32_e64 s[6:7], s8, v5
	s_and_b64 exec, exec, s[6:7]
	s_cbranch_execz .LBB155_62
; %bb.27:
	v_mul_lo_u32 v5, v5, s10
	s_and_saveexec_b64 s[14:15], vcc
	s_cbranch_execnz .LBB155_66
; %bb.28:
	s_or_b64 exec, exec, s[14:15]
	s_and_saveexec_b64 s[14:15], s[0:1]
	s_cbranch_execnz .LBB155_67
.LBB155_29:
	s_or_b64 exec, exec, s[14:15]
	s_and_saveexec_b64 s[14:15], s[2:3]
	s_cbranch_execnz .LBB155_68
.LBB155_30:
	s_or_b64 exec, exec, s[14:15]
	s_and_saveexec_b64 s[14:15], s[4:5]
	s_cbranch_execz .LBB155_32
.LBB155_31:
	v_add_u32_e32 v6, v5, v4
	v_mov_b32_e32 v7, 0
	v_cvt_f16_f32_e32 v8, v57
	v_lshlrev_b64 v[6:7], 1, v[6:7]
	s_waitcnt lgkmcnt(0)
	v_mov_b32_e32 v5, s13
	v_add_co_u32_e64 v6, s[6:7], s12, v6
	v_addc_co_u32_e64 v7, s[6:7], v5, v7, s[6:7]
	global_store_short v[6:7], v8, off
.LBB155_32:
	s_or_b64 exec, exec, s[14:15]
	v_add3_u32 v5, v1, s11, 24
	v_cmp_gt_u32_e64 s[6:7], s8, v5
	s_and_b64 exec, exec, s[6:7]
	s_cbranch_execz .LBB155_62
; %bb.33:
	v_mul_lo_u32 v5, v5, s10
	s_and_saveexec_b64 s[14:15], vcc
	s_cbranch_execnz .LBB155_69
; %bb.34:
	s_or_b64 exec, exec, s[14:15]
	s_and_saveexec_b64 s[14:15], s[0:1]
	s_cbranch_execnz .LBB155_70
.LBB155_35:
	s_or_b64 exec, exec, s[14:15]
	s_and_saveexec_b64 s[14:15], s[2:3]
	s_cbranch_execnz .LBB155_71
.LBB155_36:
	s_or_b64 exec, exec, s[14:15]
	s_and_saveexec_b64 s[14:15], s[4:5]
	s_cbranch_execz .LBB155_38
.LBB155_37:
	v_add_u32_e32 v6, v5, v4
	v_mov_b32_e32 v7, 0
	v_cvt_f16_f32_e32 v8, v49
	v_lshlrev_b64 v[6:7], 1, v[6:7]
	s_waitcnt lgkmcnt(0)
	v_mov_b32_e32 v5, s13
	v_add_co_u32_e64 v6, s[6:7], s12, v6
	v_addc_co_u32_e64 v7, s[6:7], v5, v7, s[6:7]
	global_store_short v[6:7], v8, off
.LBB155_38:
	s_or_b64 exec, exec, s[14:15]
	v_add3_u32 v5, v1, s11, 32
	v_cmp_gt_u32_e64 s[6:7], s8, v5
	s_and_b64 exec, exec, s[6:7]
	s_cbranch_execz .LBB155_62
; %bb.39:
	v_mul_lo_u32 v5, v5, s10
	s_and_saveexec_b64 s[14:15], vcc
	s_cbranch_execnz .LBB155_72
; %bb.40:
	s_or_b64 exec, exec, s[14:15]
	s_and_saveexec_b64 s[14:15], s[0:1]
	s_cbranch_execnz .LBB155_73
.LBB155_41:
	s_or_b64 exec, exec, s[14:15]
	s_and_saveexec_b64 s[14:15], s[2:3]
	s_cbranch_execnz .LBB155_74
.LBB155_42:
	s_or_b64 exec, exec, s[14:15]
	s_and_saveexec_b64 s[14:15], s[4:5]
	s_cbranch_execz .LBB155_44
.LBB155_43:
	v_add_u32_e32 v6, v5, v4
	v_mov_b32_e32 v7, 0
	v_cvt_f16_f32_e32 v8, v41
	v_lshlrev_b64 v[6:7], 1, v[6:7]
	s_waitcnt lgkmcnt(0)
	v_mov_b32_e32 v5, s13
	v_add_co_u32_e64 v6, s[6:7], s12, v6
	v_addc_co_u32_e64 v7, s[6:7], v5, v7, s[6:7]
	global_store_short v[6:7], v8, off
.LBB155_44:
	s_or_b64 exec, exec, s[14:15]
	v_add3_u32 v5, v1, s11, 40
	v_cmp_gt_u32_e64 s[6:7], s8, v5
	s_and_b64 exec, exec, s[6:7]
	s_cbranch_execz .LBB155_62
; %bb.45:
	v_mul_lo_u32 v5, v5, s10
	s_and_saveexec_b64 s[14:15], vcc
	s_cbranch_execnz .LBB155_75
; %bb.46:
	s_or_b64 exec, exec, s[14:15]
	s_and_saveexec_b64 s[14:15], s[0:1]
	s_cbranch_execnz .LBB155_76
.LBB155_47:
	s_or_b64 exec, exec, s[14:15]
	s_and_saveexec_b64 s[14:15], s[2:3]
	s_cbranch_execnz .LBB155_77
.LBB155_48:
	s_or_b64 exec, exec, s[14:15]
	s_and_saveexec_b64 s[14:15], s[4:5]
	s_cbranch_execz .LBB155_50
.LBB155_49:
	v_add_u32_e32 v6, v5, v4
	v_mov_b32_e32 v7, 0
	v_cvt_f16_f32_e32 v8, v33
	v_lshlrev_b64 v[6:7], 1, v[6:7]
	s_waitcnt lgkmcnt(0)
	v_mov_b32_e32 v5, s13
	v_add_co_u32_e64 v6, s[6:7], s12, v6
	v_addc_co_u32_e64 v7, s[6:7], v5, v7, s[6:7]
	global_store_short v[6:7], v8, off
.LBB155_50:
	s_or_b64 exec, exec, s[14:15]
	v_add3_u32 v5, v1, s11, 48
	v_cmp_gt_u32_e64 s[6:7], s8, v5
	s_and_b64 exec, exec, s[6:7]
	s_cbranch_execz .LBB155_62
; %bb.51:
	v_mul_lo_u32 v5, v5, s10
	s_and_saveexec_b64 s[14:15], vcc
	s_cbranch_execnz .LBB155_78
; %bb.52:
	s_or_b64 exec, exec, s[14:15]
	s_and_saveexec_b64 s[14:15], s[0:1]
	s_cbranch_execnz .LBB155_79
.LBB155_53:
	s_or_b64 exec, exec, s[14:15]
	s_and_saveexec_b64 s[14:15], s[2:3]
	s_cbranch_execnz .LBB155_80
.LBB155_54:
	s_or_b64 exec, exec, s[14:15]
	s_and_saveexec_b64 s[14:15], s[4:5]
	s_cbranch_execz .LBB155_56
.LBB155_55:
	v_add_u32_e32 v6, v5, v4
	v_mov_b32_e32 v7, 0
	v_cvt_f16_f32_e32 v8, v25
	v_lshlrev_b64 v[6:7], 1, v[6:7]
	s_waitcnt lgkmcnt(0)
	v_mov_b32_e32 v5, s13
	v_add_co_u32_e64 v6, s[6:7], s12, v6
	v_addc_co_u32_e64 v7, s[6:7], v5, v7, s[6:7]
	global_store_short v[6:7], v8, off
.LBB155_56:
	s_or_b64 exec, exec, s[14:15]
	v_add3_u32 v1, v1, s11, 56
	v_cmp_gt_u32_e64 s[6:7], s8, v1
	s_and_b64 exec, exec, s[6:7]
	s_cbranch_execz .LBB155_62
; %bb.57:
	v_mul_lo_u32 v1, v1, s10
	s_and_saveexec_b64 s[6:7], vcc
	s_cbranch_execnz .LBB155_81
; %bb.58:
	s_or_b64 exec, exec, s[6:7]
	s_and_saveexec_b64 s[6:7], s[0:1]
	s_cbranch_execnz .LBB155_82
.LBB155_59:
	s_or_b64 exec, exec, s[6:7]
	s_and_saveexec_b64 s[0:1], s[2:3]
	s_cbranch_execnz .LBB155_83
.LBB155_60:
	s_or_b64 exec, exec, s[0:1]
	s_and_b64 exec, exec, s[4:5]
	s_cbranch_execz .LBB155_62
.LBB155_61:
	v_add_u32_e32 v0, v1, v4
	v_mov_b32_e32 v1, 0
	v_cvt_f16_f32_e32 v3, v17
	v_lshlrev_b64 v[0:1], 1, v[0:1]
	s_waitcnt lgkmcnt(0)
	v_mov_b32_e32 v2, s13
	v_add_co_u32_e32 v0, vcc, s12, v0
	v_addc_co_u32_e32 v1, vcc, v2, v1, vcc
	global_store_short v[0:1], v3, off
.LBB155_62:
	s_endpgm
.LBB155_63:
	v_add_u32_e32 v6, v5, v0
	v_mov_b32_e32 v7, 0
	v_cvt_f16_f32_e32 v9, v138
	v_lshlrev_b64 v[6:7], 1, v[6:7]
	s_waitcnt lgkmcnt(0)
	v_mov_b32_e32 v8, s13
	v_add_co_u32_e64 v6, s[6:7], s12, v6
	v_addc_co_u32_e64 v7, s[6:7], v8, v7, s[6:7]
	global_store_short v[6:7], v9, off
	s_or_b64 exec, exec, s[14:15]
	s_and_saveexec_b64 s[14:15], s[0:1]
	s_cbranch_execz .LBB155_23
.LBB155_64:
	v_add_u32_e32 v6, v5, v2
	v_mov_b32_e32 v7, 0
	v_cvt_f16_f32_e32 v9, v137
	v_lshlrev_b64 v[6:7], 1, v[6:7]
	s_waitcnt lgkmcnt(0)
	v_mov_b32_e32 v8, s13
	v_add_co_u32_e64 v6, s[6:7], s12, v6
	v_addc_co_u32_e64 v7, s[6:7], v8, v7, s[6:7]
	global_store_short v[6:7], v9, off
	s_or_b64 exec, exec, s[14:15]
	s_and_saveexec_b64 s[14:15], s[2:3]
	s_cbranch_execz .LBB155_24
.LBB155_65:
	v_add_u32_e32 v6, v5, v3
	v_mov_b32_e32 v7, 0
	v_cvt_f16_f32_e32 v9, v136
	v_lshlrev_b64 v[6:7], 1, v[6:7]
	s_waitcnt lgkmcnt(0)
	v_mov_b32_e32 v8, s13
	v_add_co_u32_e64 v6, s[6:7], s12, v6
	v_addc_co_u32_e64 v7, s[6:7], v8, v7, s[6:7]
	global_store_short v[6:7], v9, off
	s_or_b64 exec, exec, s[14:15]
	s_and_saveexec_b64 s[14:15], s[4:5]
	s_cbranch_execnz .LBB155_25
	s_branch .LBB155_26
.LBB155_66:
	v_add_u32_e32 v6, v5, v0
	v_mov_b32_e32 v7, 0
	v_cvt_f16_f32_e32 v9, v133
	v_lshlrev_b64 v[6:7], 1, v[6:7]
	s_waitcnt lgkmcnt(0)
	v_mov_b32_e32 v8, s13
	v_add_co_u32_e64 v6, s[6:7], s12, v6
	v_addc_co_u32_e64 v7, s[6:7], v8, v7, s[6:7]
	global_store_short v[6:7], v9, off
	s_or_b64 exec, exec, s[14:15]
	s_and_saveexec_b64 s[14:15], s[0:1]
	s_cbranch_execz .LBB155_29
.LBB155_67:
	v_add_u32_e32 v6, v5, v2
	v_mov_b32_e32 v7, 0
	v_cvt_f16_f32_e32 v9, v65
	v_lshlrev_b64 v[6:7], 1, v[6:7]
	s_waitcnt lgkmcnt(0)
	v_mov_b32_e32 v8, s13
	v_add_co_u32_e64 v6, s[6:7], s12, v6
	v_addc_co_u32_e64 v7, s[6:7], v8, v7, s[6:7]
	global_store_short v[6:7], v9, off
	s_or_b64 exec, exec, s[14:15]
	s_and_saveexec_b64 s[14:15], s[2:3]
	s_cbranch_execz .LBB155_30
.LBB155_68:
	v_add_u32_e32 v6, v5, v3
	v_mov_b32_e32 v7, 0
	v_cvt_f16_f32_e32 v9, v61
	v_lshlrev_b64 v[6:7], 1, v[6:7]
	s_waitcnt lgkmcnt(0)
	v_mov_b32_e32 v8, s13
	v_add_co_u32_e64 v6, s[6:7], s12, v6
	v_addc_co_u32_e64 v7, s[6:7], v8, v7, s[6:7]
	global_store_short v[6:7], v9, off
	s_or_b64 exec, exec, s[14:15]
	s_and_saveexec_b64 s[14:15], s[4:5]
	s_cbranch_execnz .LBB155_31
	s_branch .LBB155_32
.LBB155_69:
	v_add_u32_e32 v6, v5, v0
	v_mov_b32_e32 v7, 0
	v_cvt_f16_f32_e32 v9, v55
	v_lshlrev_b64 v[6:7], 1, v[6:7]
	s_waitcnt lgkmcnt(0)
	v_mov_b32_e32 v8, s13
	v_add_co_u32_e64 v6, s[6:7], s12, v6
	v_addc_co_u32_e64 v7, s[6:7], v8, v7, s[6:7]
	global_store_short v[6:7], v9, off
	s_or_b64 exec, exec, s[14:15]
	s_and_saveexec_b64 s[14:15], s[0:1]
	s_cbranch_execz .LBB155_35
.LBB155_70:
	v_add_u32_e32 v6, v5, v2
	v_mov_b32_e32 v7, 0
	v_cvt_f16_f32_e32 v9, v53
	v_lshlrev_b64 v[6:7], 1, v[6:7]
	s_waitcnt lgkmcnt(0)
	v_mov_b32_e32 v8, s13
	v_add_co_u32_e64 v6, s[6:7], s12, v6
	v_addc_co_u32_e64 v7, s[6:7], v8, v7, s[6:7]
	global_store_short v[6:7], v9, off
	s_or_b64 exec, exec, s[14:15]
	s_and_saveexec_b64 s[14:15], s[2:3]
	s_cbranch_execz .LBB155_36
.LBB155_71:
	v_add_u32_e32 v6, v5, v3
	v_mov_b32_e32 v7, 0
	v_cvt_f16_f32_e32 v9, v51
	v_lshlrev_b64 v[6:7], 1, v[6:7]
	s_waitcnt lgkmcnt(0)
	v_mov_b32_e32 v8, s13
	v_add_co_u32_e64 v6, s[6:7], s12, v6
	v_addc_co_u32_e64 v7, s[6:7], v8, v7, s[6:7]
	global_store_short v[6:7], v9, off
	s_or_b64 exec, exec, s[14:15]
	s_and_saveexec_b64 s[14:15], s[4:5]
	s_cbranch_execnz .LBB155_37
	s_branch .LBB155_38
.LBB155_72:
	v_add_u32_e32 v6, v5, v0
	v_mov_b32_e32 v7, 0
	v_cvt_f16_f32_e32 v9, v47
	v_lshlrev_b64 v[6:7], 1, v[6:7]
	s_waitcnt lgkmcnt(0)
	v_mov_b32_e32 v8, s13
	v_add_co_u32_e64 v6, s[6:7], s12, v6
	v_addc_co_u32_e64 v7, s[6:7], v8, v7, s[6:7]
	global_store_short v[6:7], v9, off
	s_or_b64 exec, exec, s[14:15]
	s_and_saveexec_b64 s[14:15], s[0:1]
	s_cbranch_execz .LBB155_41
.LBB155_73:
	v_add_u32_e32 v6, v5, v2
	v_mov_b32_e32 v7, 0
	v_cvt_f16_f32_e32 v9, v45
	v_lshlrev_b64 v[6:7], 1, v[6:7]
	s_waitcnt lgkmcnt(0)
	v_mov_b32_e32 v8, s13
	v_add_co_u32_e64 v6, s[6:7], s12, v6
	v_addc_co_u32_e64 v7, s[6:7], v8, v7, s[6:7]
	global_store_short v[6:7], v9, off
	s_or_b64 exec, exec, s[14:15]
	s_and_saveexec_b64 s[14:15], s[2:3]
	s_cbranch_execz .LBB155_42
.LBB155_74:
	v_add_u32_e32 v6, v5, v3
	v_mov_b32_e32 v7, 0
	v_cvt_f16_f32_e32 v9, v43
	v_lshlrev_b64 v[6:7], 1, v[6:7]
	s_waitcnt lgkmcnt(0)
	v_mov_b32_e32 v8, s13
	v_add_co_u32_e64 v6, s[6:7], s12, v6
	v_addc_co_u32_e64 v7, s[6:7], v8, v7, s[6:7]
	global_store_short v[6:7], v9, off
	s_or_b64 exec, exec, s[14:15]
	s_and_saveexec_b64 s[14:15], s[4:5]
	s_cbranch_execnz .LBB155_43
	s_branch .LBB155_44
.LBB155_75:
	v_add_u32_e32 v6, v5, v0
	v_mov_b32_e32 v7, 0
	v_cvt_f16_f32_e32 v9, v39
	v_lshlrev_b64 v[6:7], 1, v[6:7]
	s_waitcnt lgkmcnt(0)
	v_mov_b32_e32 v8, s13
	v_add_co_u32_e64 v6, s[6:7], s12, v6
	v_addc_co_u32_e64 v7, s[6:7], v8, v7, s[6:7]
	global_store_short v[6:7], v9, off
	s_or_b64 exec, exec, s[14:15]
	s_and_saveexec_b64 s[14:15], s[0:1]
	s_cbranch_execz .LBB155_47
.LBB155_76:
	v_add_u32_e32 v6, v5, v2
	v_mov_b32_e32 v7, 0
	v_cvt_f16_f32_e32 v9, v37
	v_lshlrev_b64 v[6:7], 1, v[6:7]
	s_waitcnt lgkmcnt(0)
	v_mov_b32_e32 v8, s13
	v_add_co_u32_e64 v6, s[6:7], s12, v6
	v_addc_co_u32_e64 v7, s[6:7], v8, v7, s[6:7]
	global_store_short v[6:7], v9, off
	s_or_b64 exec, exec, s[14:15]
	s_and_saveexec_b64 s[14:15], s[2:3]
	s_cbranch_execz .LBB155_48
.LBB155_77:
	v_add_u32_e32 v6, v5, v3
	v_mov_b32_e32 v7, 0
	v_cvt_f16_f32_e32 v9, v35
	v_lshlrev_b64 v[6:7], 1, v[6:7]
	s_waitcnt lgkmcnt(0)
	v_mov_b32_e32 v8, s13
	v_add_co_u32_e64 v6, s[6:7], s12, v6
	v_addc_co_u32_e64 v7, s[6:7], v8, v7, s[6:7]
	global_store_short v[6:7], v9, off
	s_or_b64 exec, exec, s[14:15]
	s_and_saveexec_b64 s[14:15], s[4:5]
	s_cbranch_execnz .LBB155_49
	s_branch .LBB155_50
.LBB155_78:
	v_add_u32_e32 v6, v5, v0
	v_mov_b32_e32 v7, 0
	v_cvt_f16_f32_e32 v9, v31
	v_lshlrev_b64 v[6:7], 1, v[6:7]
	s_waitcnt lgkmcnt(0)
	v_mov_b32_e32 v8, s13
	v_add_co_u32_e64 v6, s[6:7], s12, v6
	v_addc_co_u32_e64 v7, s[6:7], v8, v7, s[6:7]
	global_store_short v[6:7], v9, off
	s_or_b64 exec, exec, s[14:15]
	s_and_saveexec_b64 s[14:15], s[0:1]
	s_cbranch_execz .LBB155_53
.LBB155_79:
	v_add_u32_e32 v6, v5, v2
	v_mov_b32_e32 v7, 0
	v_cvt_f16_f32_e32 v9, v29
	v_lshlrev_b64 v[6:7], 1, v[6:7]
	s_waitcnt lgkmcnt(0)
	v_mov_b32_e32 v8, s13
	v_add_co_u32_e64 v6, s[6:7], s12, v6
	v_addc_co_u32_e64 v7, s[6:7], v8, v7, s[6:7]
	global_store_short v[6:7], v9, off
	s_or_b64 exec, exec, s[14:15]
	s_and_saveexec_b64 s[14:15], s[2:3]
	s_cbranch_execz .LBB155_54
.LBB155_80:
	v_add_u32_e32 v6, v5, v3
	v_mov_b32_e32 v7, 0
	v_cvt_f16_f32_e32 v9, v27
	v_lshlrev_b64 v[6:7], 1, v[6:7]
	s_waitcnt lgkmcnt(0)
	v_mov_b32_e32 v8, s13
	v_add_co_u32_e64 v6, s[6:7], s12, v6
	v_addc_co_u32_e64 v7, s[6:7], v8, v7, s[6:7]
	global_store_short v[6:7], v9, off
	s_or_b64 exec, exec, s[14:15]
	s_and_saveexec_b64 s[14:15], s[4:5]
	s_cbranch_execnz .LBB155_55
	s_branch .LBB155_56
.LBB155_81:
	v_add_u32_e32 v6, v1, v0
	v_mov_b32_e32 v7, 0
	v_cvt_f16_f32_e32 v5, v23
	v_lshlrev_b64 v[6:7], 1, v[6:7]
	s_waitcnt lgkmcnt(0)
	v_mov_b32_e32 v0, s13
	v_add_co_u32_e32 v6, vcc, s12, v6
	v_addc_co_u32_e32 v7, vcc, v0, v7, vcc
	global_store_short v[6:7], v5, off
	s_or_b64 exec, exec, s[6:7]
	s_and_saveexec_b64 s[6:7], s[0:1]
	s_cbranch_execz .LBB155_59
.LBB155_82:
	v_add_u32_e32 v6, v1, v2
	v_mov_b32_e32 v7, 0
	v_cvt_f16_f32_e32 v2, v21
	v_lshlrev_b64 v[6:7], 1, v[6:7]
	s_waitcnt lgkmcnt(0)
	v_mov_b32_e32 v0, s13
	v_add_co_u32_e32 v6, vcc, s12, v6
	v_addc_co_u32_e32 v7, vcc, v0, v7, vcc
	global_store_short v[6:7], v2, off
	s_or_b64 exec, exec, s[6:7]
	s_and_saveexec_b64 s[0:1], s[2:3]
	s_cbranch_execz .LBB155_60
.LBB155_83:
	v_add_u32_e32 v2, v1, v3
	v_mov_b32_e32 v3, 0
	v_cvt_f16_f32_e32 v5, v19
	v_lshlrev_b64 v[2:3], 1, v[2:3]
	s_waitcnt lgkmcnt(0)
	v_mov_b32_e32 v0, s13
	v_add_co_u32_e32 v2, vcc, s12, v2
	v_addc_co_u32_e32 v3, vcc, v0, v3, vcc
	global_store_short v[2:3], v5, off
	s_or_b64 exec, exec, s[0:1]
	s_and_b64 exec, exec, s[4:5]
	s_cbranch_execnz .LBB155_61
	s_branch .LBB155_62
	.section	.rodata,"a",@progbits
	.p2align	6, 0x0
	.amdhsa_kernel _ZL12mul_mat_q6_KIN3c104HalfELb0EEvPKvS3_PT_iiiii
		.amdhsa_group_segment_fixed_size 45136
		.amdhsa_private_segment_fixed_size 0
		.amdhsa_kernarg_size 44
		.amdhsa_user_sgpr_count 6
		.amdhsa_user_sgpr_private_segment_buffer 1
		.amdhsa_user_sgpr_dispatch_ptr 0
		.amdhsa_user_sgpr_queue_ptr 0
		.amdhsa_user_sgpr_kernarg_segment_ptr 1
		.amdhsa_user_sgpr_dispatch_id 0
		.amdhsa_user_sgpr_flat_scratch_init 0
		.amdhsa_user_sgpr_kernarg_preload_length 0
		.amdhsa_user_sgpr_kernarg_preload_offset 0
		.amdhsa_user_sgpr_private_segment_size 0
		.amdhsa_uses_dynamic_stack 0
		.amdhsa_system_sgpr_private_segment_wavefront_offset 0
		.amdhsa_system_sgpr_workgroup_id_x 1
		.amdhsa_system_sgpr_workgroup_id_y 1
		.amdhsa_system_sgpr_workgroup_id_z 0
		.amdhsa_system_sgpr_workgroup_info 0
		.amdhsa_system_vgpr_workitem_id 1
		.amdhsa_next_free_vgpr 229
		.amdhsa_next_free_sgpr 26
		.amdhsa_accum_offset 232
		.amdhsa_reserve_vcc 1
		.amdhsa_reserve_flat_scratch 0
		.amdhsa_float_round_mode_32 0
		.amdhsa_float_round_mode_16_64 0
		.amdhsa_float_denorm_mode_32 3
		.amdhsa_float_denorm_mode_16_64 3
		.amdhsa_dx10_clamp 1
		.amdhsa_ieee_mode 1
		.amdhsa_fp16_overflow 0
		.amdhsa_tg_split 0
		.amdhsa_exception_fp_ieee_invalid_op 0
		.amdhsa_exception_fp_denorm_src 0
		.amdhsa_exception_fp_ieee_div_zero 0
		.amdhsa_exception_fp_ieee_overflow 0
		.amdhsa_exception_fp_ieee_underflow 0
		.amdhsa_exception_fp_ieee_inexact 0
		.amdhsa_exception_int_div_zero 0
	.end_amdhsa_kernel
	.section	.text._ZL12mul_mat_q6_KIN3c104HalfELb0EEvPKvS3_PT_iiiii,"axG",@progbits,_ZL12mul_mat_q6_KIN3c104HalfELb0EEvPKvS3_PT_iiiii,comdat
.Lfunc_end155:
	.size	_ZL12mul_mat_q6_KIN3c104HalfELb0EEvPKvS3_PT_iiiii, .Lfunc_end155-_ZL12mul_mat_q6_KIN3c104HalfELb0EEvPKvS3_PT_iiiii
                                        ; -- End function
	.section	.AMDGPU.csdata,"",@progbits
; Kernel info:
; codeLenInByte = 20052
; NumSgprs: 30
; NumVgprs: 229
; NumAgprs: 0
; TotalNumVgprs: 229
; ScratchSize: 0
; MemoryBound: 0
; FloatMode: 240
; IeeeMode: 1
; LDSByteSize: 45136 bytes/workgroup (compile time only)
; SGPRBlocks: 3
; VGPRBlocks: 28
; NumSGPRsForWavesPerEU: 30
; NumVGPRsForWavesPerEU: 229
; AccumOffset: 232
; Occupancy: 1
; WaveLimiterHint : 0
; COMPUTE_PGM_RSRC2:SCRATCH_EN: 0
; COMPUTE_PGM_RSRC2:USER_SGPR: 6
; COMPUTE_PGM_RSRC2:TRAP_HANDLER: 0
; COMPUTE_PGM_RSRC2:TGID_X_EN: 1
; COMPUTE_PGM_RSRC2:TGID_Y_EN: 1
; COMPUTE_PGM_RSRC2:TGID_Z_EN: 0
; COMPUTE_PGM_RSRC2:TIDIG_COMP_CNT: 1
; COMPUTE_PGM_RSRC3_GFX90A:ACCUM_OFFSET: 57
; COMPUTE_PGM_RSRC3_GFX90A:TG_SPLIT: 0
	.section	.text._ZL12mul_mat_q6_KIN3c104HalfELb1EEvPKvS3_PT_iiiii,"axG",@progbits,_ZL12mul_mat_q6_KIN3c104HalfELb1EEvPKvS3_PT_iiiii,comdat
	.globl	_ZL12mul_mat_q6_KIN3c104HalfELb1EEvPKvS3_PT_iiiii ; -- Begin function _ZL12mul_mat_q6_KIN3c104HalfELb1EEvPKvS3_PT_iiiii
	.p2align	8
	.type	_ZL12mul_mat_q6_KIN3c104HalfELb1EEvPKvS3_PT_iiiii,@function
_ZL12mul_mat_q6_KIN3c104HalfELb1EEvPKvS3_PT_iiiii: ; @_ZL12mul_mat_q6_KIN3c104HalfELb1EEvPKvS3_PT_iiiii
; %bb.0:
	s_load_dwordx4 s[8:11], s[4:5], 0x18
	s_load_dword s14, s[4:5], 0x28
	s_lshl_b32 s15, s7, 6
	v_bfe_u32 v59, v0, 10, 10
	s_waitcnt lgkmcnt(0)
	s_cmpk_gt_i32 s8, 0xff
	s_cbranch_scc1 .LBB156_2
; %bb.1:
	v_bfe_u32 v1, v0, 10, 10
	v_and_b32_e32 v55, 0x3ff, v0
	v_add_u32_e32 v71, s15, v1
	s_mov_b64 s[0:1], 0
	s_mov_b32 s2, 0
	s_branch .LBB156_3
.LBB156_2:
	s_mov_b64 s[0:1], -1
                                        ; implicit-def: $sgpr2
                                        ; implicit-def: $vgpr1
                                        ; implicit-def: $vgpr55
                                        ; implicit-def: $vgpr71
.LBB156_3:
	s_load_dwordx2 s[12:13], s[4:5], 0x10
	s_lshl_b32 s6, s6, 7
	s_andn2_b64 vcc, exec, s[0:1]
	v_mov_b32_e32 v17, s2
	v_mov_b32_e32 v25, s2
	;; [unrolled: 1-line block ×32, first 2 shown]
	s_cbranch_vccnz .LBB156_11
; %bb.4:
	v_and_b32_e32 v55, 0x3ff, v0
	s_load_dwordx4 s[0:3], s[4:5], 0x0
	s_ashr_i32 s4, s8, 31
	v_and_b32_e32 v4, 31, v55
	s_lshr_b32 s4, s4, 24
	v_and_b32_e32 v0, 7, v55
	v_cmp_lt_u32_e32 vcc, 15, v4
	s_add_i32 s4, s8, s4
	s_ashr_i32 s5, s11, 31
	v_lshlrev_b32_e32 v0, 2, v0
	v_cndmask_b32_e64 v1, 0, 1, vcc
	s_ashr_i32 s4, s4, 8
	s_lshr_b32 s5, s5, 27
	v_lshl_or_b32 v20, v1, 5, v0
	v_add_u16_e32 v0, -16, v4
	v_cmp_gt_u32_e32 vcc, 16, v4
	s_add_i32 s5, s11, s5
	s_mul_i32 s7, s4, s6
	v_cndmask_b32_e32 v0, v0, v4, vcc
	s_ashr_i32 s11, s5, 5
	s_mul_hi_i32 s8, s7, 0xd2
	s_mulk_i32 s7, 0xd2
	v_cmp_lt_u16_e32 vcc, 7, v0
	s_waitcnt lgkmcnt(0)
	s_add_u32 s7, s0, s7
	v_cndmask_b32_e64 v0, 0, 1, vcc
	s_addc_u32 s8, s1, s8
	s_not_b32 s0, s6
	v_lshlrev_b32_e32 v75, 1, v0
	v_and_b32_e32 v0, 15, v55
	s_add_i32 s1, s0, s9
	v_lshlrev_b32_e32 v0, 2, v0
	v_min_i32_e32 v2, s1, v59
	v_lshl_or_b32 v0, v1, 7, v0
	s_movk_i32 s0, 0x104
	v_add_u32_e32 v5, 8, v59
	v_mad_u64_u32 v[24:25], s[16:17], v2, s0, v[0:1]
	v_min_i32_e32 v1, s1, v5
	v_add_u32_e32 v6, 16, v59
	v_mul_lo_u32 v26, v1, s4
	v_mad_u64_u32 v[28:29], s[16:17], v1, s0, v[0:1]
	v_min_i32_e32 v1, s1, v6
	v_add_u32_e32 v7, 24, v59
	v_mul_lo_u32 v30, v1, s4
	;; [unrolled: 4-line block ×6, first 2 shown]
	v_mad_u64_u32 v[48:49], s[16:17], v1, s0, v[0:1]
	v_min_i32_e32 v1, s1, v11
	v_mul_lo_u32 v50, v1, s4
	v_mad_u64_u32 v[52:53], s[16:17], v1, s0, v[0:1]
	v_add_u32_e32 v1, 64, v59
	v_min_i32_e32 v1, s1, v1
	v_mul_lo_u32 v54, v1, s4
	v_mad_u64_u32 v[56:57], s[16:17], v1, s0, v[0:1]
	v_add_u32_e32 v1, 0x48, v59
	;; [unrolled: 4-line block ×8, first 2 shown]
	v_min_i32_e32 v1, s1, v1
	v_lshlrev_b32_e32 v83, 5, v59
	v_mad_u64_u32 v[84:85], s[16:17], v1, s0, v[0:1]
	v_add_u32_e32 v0, v83, v55
	v_and_b32_e32 v0, 0x7f, v0
	v_min_i32_e32 v0, s1, v0
	v_mul_lo_u32 v82, v1, s4
	v_ashrrev_i32_e32 v1, 31, v0
	v_lshrrev_b32_e32 v1, 27, v1
	v_add_u32_e32 v1, v0, v1
	v_ashrrev_i32_e32 v1, 5, v1
	v_mul_lo_u32 v86, v0, s4
	v_lshlrev_b32_e32 v1, 2, v1
	v_lshlrev_b32_e32 v0, 2, v0
	s_mov_b32 s18, 0xae40
	v_add3_u32 v87, v1, v0, s18
	v_lshrrev_b32_e32 v0, 2, v55
	v_lshl_add_u32 v1, v59, 3, v0
	v_mul_lo_u32 v22, v2, s4
	v_and_b32_e32 v2, 0x7f, v1
	v_min_i32_e32 v3, s1, v2
	v_ashrrev_i32_e32 v12, 31, v3
	v_xor_b32_e32 v2, 64, v2
	v_lshrrev_b32_e32 v12, 29, v12
	v_min_i32_e32 v2, s1, v2
	v_mul_lo_u32 v90, v3, s4
	v_add_u32_e32 v12, v3, v12
	v_lshlrev_b32_e32 v13, 4, v3
	v_ashrrev_i32_e32 v3, 31, v2
	v_lshlrev_b32_e32 v17, 2, v55
	v_lshrrev_b32_e32 v3, 29, v3
	v_and_b32_e32 v19, 28, v17
	v_and_b32_e32 v1, 63, v1
	;; [unrolled: 1-line block ×3, first 2 shown]
	v_add_u32_e32 v3, v2, v3
	s_add_i32 s1, s10, -1
	v_add_co_u32_e32 v94, vcc, s2, v19
	v_or_b32_e32 v19, s15, v1
	v_lshlrev_b32_e32 v88, 2, v0
	v_ashrrev_i32_e32 v3, 3, v3
	v_min_i32_e32 v19, s1, v19
	s_mov_b32 s19, 0xa200
	v_lshlrev_b32_e32 v3, 2, v3
	v_add_u32_e32 v71, s15, v59
	v_mad_u64_u32 v[96:97], s[16:17], v19, s11, v[0:1]
	v_lshl_or_b32 v0, v1, 4, v88
	v_mul_lo_u32 v92, v2, s4
	v_add3_u32 v14, v3, v88, s19
	v_lshlrev_b32_e32 v15, 4, v2
	v_cvt_f64_i32_e32 v[2:3], s1
	v_add_u32_e32 v91, 0xaa40, v0
	v_cvt_f64_u32_e32 v[0:1], v71
	v_min_f64 v[0:1], v[0:1], v[2:3]
	v_cvt_i32_f64_e32 v0, v[0:1]
	v_mul_lo_u32 v164, s11, v0
	v_or_b32_e32 v0, v83, v4
	v_mov_b32_e32 v19, 0x8200
	v_lshl_add_u32 v165, v0, 2, v19
	v_add_u32_e32 v0, 8, v71
	v_cvt_f64_u32_e32 v[0:1], v0
	v_min_f64 v[0:1], v[0:1], v[2:3]
	v_cvt_i32_f64_e32 v0, v[0:1]
	v_lshlrev_b32_e32 v167, 5, v5
	v_mul_lo_u32 v166, s11, v0
	v_or_b32_e32 v0, v167, v4
	v_lshl_add_u32 v168, v0, 2, v19
	v_add_u32_e32 v0, 16, v71
	v_cvt_f64_u32_e32 v[0:1], v0
	v_min_f64 v[0:1], v[0:1], v[2:3]
	v_cvt_i32_f64_e32 v0, v[0:1]
	v_lshlrev_b32_e32 v170, 5, v6
	v_mul_lo_u32 v169, s11, v0
	v_or_b32_e32 v0, v170, v4
	;; [unrolled: 8-line block ×6, first 2 shown]
	v_lshl_add_u32 v183, v0, 2, v19
	v_add_u32_e32 v0, 56, v71
	v_cvt_f64_u32_e32 v[0:1], v0
	v_min_f64 v[0:1], v[0:1], v[2:3]
	v_cvt_i32_f64_e32 v0, v[0:1]
	v_lshlrev_b32_e32 v185, 5, v11
	v_lshrrev_b32_e32 v16, 5, v55
	v_mul_lo_u32 v184, s11, v0
	v_or_b32_e32 v0, v185, v4
	v_lshl_add_u32 v186, v0, 2, v19
	v_lshlrev_b32_e32 v0, 2, v16
	v_add3_u32 v187, v0, v17, s18
	v_add_u32_e32 v0, 32, v55
	v_lshrrev_b32_e32 v188, 3, v0
	v_and_b32_e32 v1, 60, v188
	v_add3_u32 v189, v17, v1, s18
	v_add_u32_e32 v1, 64, v55
	v_lshrrev_b32_e32 v2, 3, v1
	v_and_b32_e32 v2, 60, v2
	v_add3_u32 v190, v17, v2, s18
	v_add_u32_e32 v2, 0x60, v55
	v_lshrrev_b32_e32 v3, 3, v2
	v_lshrrev_b32_e32 v97, 3, v55
	v_and_b32_e32 v3, 60, v3
	v_lshlrev_b32_e32 v18, 2, v4
	v_add3_u32 v191, v17, v3, s18
	v_lshlrev_b32_e32 v3, 2, v97
	v_lshlrev_b32_e32 v4, 4, v55
	v_add3_u32 v192, v4, v3, s19
	v_lshlrev_b32_e32 v3, 2, v188
	v_lshlrev_b32_e32 v0, 4, v0
	v_add3_u32 v194, v3, v0, s19
	v_mov_b32_e32 v0, 0x2080
	v_mad_u32_u24 v195, v55, s0, v0
	v_lshrrev_b32_e32 v0, 1, v1
	v_and_b32_e32 v0, 0xfc, v0
	v_lshlrev_b32_e32 v1, 4, v1
	v_add3_u32 v196, v1, v0, s19
	v_mov_b32_e32 v0, 0x4100
	v_ashrrev_i32_e32 v12, 3, v12
	v_mad_u32_u24 v197, v55, s0, v0
	v_lshrrev_b32_e32 v0, 1, v2
	v_lshlrev_b32_e32 v12, 2, v12
	v_and_b32_e32 v0, 0xfc, v0
	v_lshlrev_b32_e32 v1, 4, v2
	v_add3_u32 v12, v12, v88, s19
	v_mov_b32_e32 v21, s3
	v_add3_u32 v198, v1, v0, s19
	v_mov_b32_e32 v0, 0x6180
	s_movk_i32 s5, 0xd2
	s_mov_b32 s9, 0
	v_addc_co_u32_e32 v95, vcc, 0, v21, vcc
	v_mul_u32_u24_e32 v193, 0x104, v55
	v_mad_u32_u24 v199, v55, s0, v0
	s_mov_b32 s11, 0xf0f0f0f
	s_mov_b32 s16, 0x30303030
	s_movk_i32 s17, 0x3f00
	s_movk_i32 s18, 0xe000
	v_add_u32_e32 v200, v12, v13
	v_add_u32_e32 v201, v14, v15
	v_mov_b32_e32 v202, 8
	v_mov_b32_e32 v93, 0
	;; [unrolled: 1-line block ×33, first 2 shown]
.LBB156_5:                              ; =>This Loop Header: Depth=1
                                        ;     Child Loop BB156_6 Depth 2
                                        ;     Child Loop BB156_8 Depth 2
	s_mul_i32 s0, s9, 0xd2
	s_mul_hi_u32 s1, s9, 0xd2
	s_add_u32 s0, s7, s0
	s_addc_u32 s1, s8, s1
	v_pk_mov_b32 v[0:1], s[0:1], s[0:1] op_sel:[0,1]
	v_mad_u64_u32 v[2:3], s[20:21], v16, s5, v[0:1]
	v_mad_i64_i32 v[4:5], s[20:21], v22, s5, v[2:3]
	v_add_co_u32_e32 v6, vcc, v4, v18
	v_addc_co_u32_e32 v7, vcc, 0, v5, vcc
	v_add_co_u32_e32 v4, vcc, v4, v20
	v_addc_co_u32_e32 v5, vcc, 0, v5, vcc
	v_mad_i64_i32 v[8:9], s[20:21], v26, s5, v[2:3]
	v_add_co_u32_e32 v10, vcc, v8, v18
	v_addc_co_u32_e32 v11, vcc, 0, v9, vcc
	global_load_dword v12, v[6:7], off
	global_load_dword v13, v[4:5], off offset:128
	s_nop 0
	global_load_dword v10, v[10:11], off
	v_add_co_u32_e32 v4, vcc, v8, v20
	v_addc_co_u32_e32 v5, vcc, 0, v9, vcc
	global_load_dword v8, v[4:5], off offset:128
	v_mad_i64_i32 v[4:5], s[20:21], v30, s5, v[2:3]
	v_add_co_u32_e32 v6, vcc, v4, v18
	v_addc_co_u32_e32 v7, vcc, 0, v5, vcc
	v_add_co_u32_e32 v4, vcc, v4, v20
	v_addc_co_u32_e32 v5, vcc, 0, v5, vcc
	global_load_dword v9, v[6:7], off
	global_load_dword v11, v[4:5], off offset:128
	v_mad_i64_i32 v[4:5], s[20:21], v34, s5, v[2:3]
	v_add_co_u32_e32 v6, vcc, v4, v18
	v_addc_co_u32_e32 v7, vcc, 0, v5, vcc
	v_add_co_u32_e32 v4, vcc, v4, v20
	v_addc_co_u32_e32 v5, vcc, 0, v5, vcc
	global_load_dword v14, v[6:7], off
	global_load_dword v15, v[4:5], off offset:128
	s_lshl_b32 s19, s9, 3
	v_mad_i64_i32 v[0:1], s[20:21], v86, s5, v[0:1]
	v_add_u32_e32 v203, s19, v96
	s_waitcnt vmcnt(7)
	v_and_b32_e32 v4, 0xf0f0f0f, v12
	s_waitcnt vmcnt(6)
	v_ashrrev_i32_e32 v6, v75, v13
	v_lshrrev_b32_e32 v5, 4, v12
	v_lshlrev_b32_e32 v12, 4, v6
	v_and_b32_e32 v6, 0x30303030, v6
	s_waitcnt vmcnt(5)
	v_and_b32_e32 v7, 0xf0f0f0f, v10
	v_and_or_b32 v4, v12, s16, v4
	s_waitcnt vmcnt(4)
	v_ashrrev_i32_e32 v8, v75, v8
	v_lshlrev_b32_e32 v13, 4, v8
	v_and_or_b32 v5, v5, s11, v6
	v_and_or_b32 v6, v13, s16, v7
	v_and_b32_e32 v7, 0x3f00, v4
	v_lshlrev_b16_e32 v12, 8, v4
	v_and_b32_sdwa v13, v4, s17 dst_sel:DWORD dst_unused:UNUSED_PAD src0_sel:WORD_1 src1_sel:DWORD
	v_lshlrev_b16_sdwa v4, v202, v4 dst_sel:DWORD dst_unused:UNUSED_PAD src0_sel:DWORD src1_sel:WORD_1
	v_and_b32_e32 v98, 0x3f00, v5
	v_lshlrev_b16_e32 v99, 8, v5
	v_and_b32_sdwa v100, v5, s17 dst_sel:DWORD dst_unused:UNUSED_PAD src0_sel:WORD_1 src1_sel:DWORD
	v_lshlrev_b16_sdwa v5, v202, v5 dst_sel:DWORD dst_unused:UNUSED_PAD src0_sel:DWORD src1_sel:WORD_1
	v_add_u16_e32 v12, 0xe000, v12
	v_add_u16_e32 v4, 0xe000, v4
	;; [unrolled: 1-line block ×4, first 2 shown]
	v_or_b32_sdwa v7, v7, v12 dst_sel:DWORD dst_unused:UNUSED_PAD src0_sel:DWORD src1_sel:BYTE_1
	v_or_b32_sdwa v4, v13, v4 dst_sel:DWORD dst_unused:UNUSED_PAD src0_sel:DWORD src1_sel:BYTE_1
	;; [unrolled: 1-line block ×4, first 2 shown]
	v_add_u16_e32 v7, 0xe000, v7
	v_add_u16_sdwa v4, v4, s18 dst_sel:WORD_1 dst_unused:UNUSED_PAD src0_sel:DWORD src1_sel:DWORD
	v_add_u16_e32 v12, 0xe000, v12
	v_add_u16_sdwa v5, v5, s18 dst_sel:WORD_1 dst_unused:UNUSED_PAD src0_sel:DWORD src1_sel:DWORD
	v_or_b32_e32 v4, v7, v4
	v_or_b32_e32 v5, v12, v5
	ds_write2_b32 v24, v4, v5 offset1:16
	v_lshlrev_b16_sdwa v5, v202, v6 dst_sel:DWORD dst_unused:UNUSED_PAD src0_sel:DWORD src1_sel:WORD_1
	v_lshrrev_b32_e32 v10, 4, v10
	v_and_b32_e32 v8, 0x30303030, v8
	v_and_b32_sdwa v4, v6, s17 dst_sel:DWORD dst_unused:UNUSED_PAD src0_sel:WORD_1 src1_sel:DWORD
	v_add_u16_e32 v5, 0xe000, v5
	v_or_b32_sdwa v4, v4, v5 dst_sel:DWORD dst_unused:UNUSED_PAD src0_sel:DWORD src1_sel:BYTE_1
	v_and_or_b32 v5, v10, s11, v8
	v_lshlrev_b16_e32 v7, 8, v5
	v_and_b32_e32 v101, 0x3f00, v6
	v_lshlrev_b16_e32 v102, 8, v6
	v_and_b32_e32 v6, 0x3f00, v5
	v_add_u16_e32 v7, 0xe000, v7
	v_or_b32_sdwa v6, v6, v7 dst_sel:DWORD dst_unused:UNUSED_PAD src0_sel:DWORD src1_sel:BYTE_1
	v_and_b32_sdwa v7, v5, s17 dst_sel:DWORD dst_unused:UNUSED_PAD src0_sel:WORD_1 src1_sel:DWORD
	v_lshlrev_b16_sdwa v5, v202, v5 dst_sel:DWORD dst_unused:UNUSED_PAD src0_sel:DWORD src1_sel:WORD_1
	v_add_u16_e32 v102, 0xe000, v102
	v_add_u16_e32 v5, 0xe000, v5
	v_or_b32_sdwa v13, v101, v102 dst_sel:DWORD dst_unused:UNUSED_PAD src0_sel:DWORD src1_sel:BYTE_1
	v_or_b32_sdwa v5, v7, v5 dst_sel:DWORD dst_unused:UNUSED_PAD src0_sel:DWORD src1_sel:BYTE_1
	v_add_u16_e32 v13, 0xe000, v13
	v_add_u16_sdwa v4, v4, s18 dst_sel:WORD_1 dst_unused:UNUSED_PAD src0_sel:DWORD src1_sel:DWORD
	v_add_u16_e32 v6, 0xe000, v6
	v_add_u16_sdwa v5, v5, s18 dst_sel:WORD_1 dst_unused:UNUSED_PAD src0_sel:DWORD src1_sel:DWORD
	v_or_b32_e32 v4, v13, v4
	v_or_b32_e32 v5, v6, v5
	s_waitcnt vmcnt(2)
	v_ashrrev_i32_e32 v6, v75, v11
	ds_write2_b32 v28, v4, v5 offset1:16
	v_and_b32_e32 v4, 0xf0f0f0f, v9
	v_lshlrev_b32_e32 v7, 4, v6
	v_and_or_b32 v4, v7, s16, v4
	v_lshlrev_b16_e32 v8, 8, v4
	v_and_b32_e32 v7, 0x3f00, v4
	v_add_u16_e32 v8, 0xe000, v8
	v_or_b32_sdwa v7, v7, v8 dst_sel:DWORD dst_unused:UNUSED_PAD src0_sel:DWORD src1_sel:BYTE_1
	v_and_b32_sdwa v8, v4, s17 dst_sel:DWORD dst_unused:UNUSED_PAD src0_sel:WORD_1 src1_sel:DWORD
	v_lshlrev_b16_sdwa v4, v202, v4 dst_sel:DWORD dst_unused:UNUSED_PAD src0_sel:DWORD src1_sel:WORD_1
	v_add_u16_e32 v4, 0xe000, v4
	v_or_b32_sdwa v4, v8, v4 dst_sel:DWORD dst_unused:UNUSED_PAD src0_sel:DWORD src1_sel:BYTE_1
	v_lshrrev_b32_e32 v5, 4, v9
	v_and_b32_e32 v6, 0x30303030, v6
	v_add_u16_e32 v7, 0xe000, v7
	v_add_u16_sdwa v4, v4, s18 dst_sel:WORD_1 dst_unused:UNUSED_PAD src0_sel:DWORD src1_sel:DWORD
	v_or_b32_e32 v8, v7, v4
	v_and_or_b32 v9, v5, s11, v6
	v_mad_i64_i32 v[4:5], s[20:21], v38, s5, v[2:3]
	v_add_co_u32_e32 v6, vcc, v4, v18
	v_addc_co_u32_e32 v7, vcc, 0, v5, vcc
	v_add_co_u32_e32 v4, vcc, v4, v20
	v_addc_co_u32_e32 v5, vcc, 0, v5, vcc
	global_load_dword v11, v[6:7], off
	global_load_dword v12, v[4:5], off offset:128
	v_lshlrev_b16_e32 v4, 8, v9
	v_lshlrev_b16_sdwa v6, v202, v9 dst_sel:DWORD dst_unused:UNUSED_PAD src0_sel:DWORD src1_sel:WORD_1
	v_and_b32_e32 v10, 0x3f00, v9
	v_add_u16_e32 v4, 0xe000, v4
	v_and_b32_sdwa v5, v9, s17 dst_sel:DWORD dst_unused:UNUSED_PAD src0_sel:WORD_1 src1_sel:DWORD
	v_add_u16_e32 v6, 0xe000, v6
	v_or_b32_sdwa v4, v10, v4 dst_sel:DWORD dst_unused:UNUSED_PAD src0_sel:DWORD src1_sel:BYTE_1
	v_or_b32_sdwa v5, v5, v6 dst_sel:DWORD dst_unused:UNUSED_PAD src0_sel:DWORD src1_sel:BYTE_1
	v_add_u16_e32 v4, 0xe000, v4
	v_add_u16_sdwa v5, v5, s18 dst_sel:WORD_1 dst_unused:UNUSED_PAD src0_sel:DWORD src1_sel:DWORD
	v_or_b32_e32 v4, v4, v5
	s_waitcnt vmcnt(2)
	v_ashrrev_i32_e32 v5, v75, v15
	ds_write2_b32 v32, v8, v4 offset1:16
	v_and_b32_e32 v4, 0xf0f0f0f, v14
	v_lshlrev_b32_e32 v6, 4, v5
	v_and_b32_e32 v9, 0x30303030, v5
	v_and_or_b32 v10, v6, s16, v4
	v_mad_i64_i32 v[4:5], s[20:21], v42, s5, v[2:3]
	v_add_co_u32_e32 v6, vcc, v4, v18
	v_addc_co_u32_e32 v7, vcc, 0, v5, vcc
	v_add_co_u32_e32 v4, vcc, v4, v20
	v_addc_co_u32_e32 v5, vcc, 0, v5, vcc
	v_lshrrev_b32_e32 v8, 4, v14
	global_load_dword v14, v[6:7], off
	global_load_dword v15, v[4:5], off offset:128
	v_lshlrev_b16_e32 v4, 8, v10
	v_lshlrev_b16_sdwa v6, v202, v10 dst_sel:DWORD dst_unused:UNUSED_PAD src0_sel:DWORD src1_sel:WORD_1
	v_and_b32_e32 v13, 0x3f00, v10
	v_add_u16_e32 v4, 0xe000, v4
	v_and_b32_sdwa v5, v10, s17 dst_sel:DWORD dst_unused:UNUSED_PAD src0_sel:WORD_1 src1_sel:DWORD
	v_add_u16_e32 v6, 0xe000, v6
	v_or_b32_sdwa v4, v13, v4 dst_sel:DWORD dst_unused:UNUSED_PAD src0_sel:DWORD src1_sel:BYTE_1
	v_or_b32_sdwa v5, v5, v6 dst_sel:DWORD dst_unused:UNUSED_PAD src0_sel:DWORD src1_sel:BYTE_1
	v_add_u16_e32 v4, 0xe000, v4
	v_add_u16_sdwa v5, v5, s18 dst_sel:WORD_1 dst_unused:UNUSED_PAD src0_sel:DWORD src1_sel:DWORD
	v_or_b32_e32 v10, v4, v5
	v_and_or_b32 v4, v8, s11, v9
	v_lshlrev_b16_e32 v6, 8, v4
	v_and_b32_e32 v5, 0x3f00, v4
	v_add_u16_e32 v6, 0xe000, v6
	v_or_b32_sdwa v5, v5, v6 dst_sel:DWORD dst_unused:UNUSED_PAD src0_sel:DWORD src1_sel:BYTE_1
	v_add_u16_e32 v8, 0xe000, v5
	v_and_b32_sdwa v9, v4, s17 dst_sel:DWORD dst_unused:UNUSED_PAD src0_sel:WORD_1 src1_sel:DWORD
	v_lshlrev_b16_sdwa v13, v202, v4 dst_sel:DWORD dst_unused:UNUSED_PAD src0_sel:DWORD src1_sel:WORD_1
	v_mad_i64_i32 v[4:5], s[20:21], v46, s5, v[2:3]
	v_add_co_u32_e32 v6, vcc, v4, v18
	v_addc_co_u32_e32 v7, vcc, 0, v5, vcc
	v_add_co_u32_e32 v4, vcc, v4, v20
	v_addc_co_u32_e32 v5, vcc, 0, v5, vcc
	global_load_dword v98, v[6:7], off
	global_load_dword v99, v[4:5], off offset:128
	v_add_u16_e32 v4, 0xe000, v13
	v_or_b32_sdwa v4, v9, v4 dst_sel:DWORD dst_unused:UNUSED_PAD src0_sel:DWORD src1_sel:BYTE_1
	v_add_u16_sdwa v4, v4, s18 dst_sel:WORD_1 dst_unused:UNUSED_PAD src0_sel:DWORD src1_sel:DWORD
	v_or_b32_e32 v4, v8, v4
	ds_write2_b32 v36, v10, v4 offset1:16
	v_mad_i64_i32 v[4:5], s[20:21], v50, s5, v[2:3]
	v_add_co_u32_e32 v6, vcc, v4, v18
	v_addc_co_u32_e32 v7, vcc, 0, v5, vcc
	v_add_co_u32_e32 v4, vcc, v4, v20
	v_addc_co_u32_e32 v5, vcc, 0, v5, vcc
	global_load_dword v8, v[6:7], off
	global_load_dword v9, v[4:5], off offset:128
	s_waitcnt vmcnt(7)
	v_and_b32_e32 v4, 0xf0f0f0f, v11
	s_waitcnt vmcnt(6)
	v_ashrrev_i32_e32 v6, v75, v12
	v_lshlrev_b32_e32 v7, 4, v6
	v_and_or_b32 v4, v7, s16, v4
	v_lshlrev_b16_e32 v10, 8, v4
	v_and_b32_e32 v7, 0x3f00, v4
	v_add_u16_e32 v10, 0xe000, v10
	v_or_b32_sdwa v7, v7, v10 dst_sel:DWORD dst_unused:UNUSED_PAD src0_sel:DWORD src1_sel:BYTE_1
	v_and_b32_sdwa v10, v4, s17 dst_sel:DWORD dst_unused:UNUSED_PAD src0_sel:WORD_1 src1_sel:DWORD
	v_lshlrev_b16_sdwa v4, v202, v4 dst_sel:DWORD dst_unused:UNUSED_PAD src0_sel:DWORD src1_sel:WORD_1
	v_add_u16_e32 v4, 0xe000, v4
	v_lshrrev_b32_e32 v5, 4, v11
	v_and_b32_e32 v6, 0x30303030, v6
	v_or_b32_sdwa v4, v10, v4 dst_sel:DWORD dst_unused:UNUSED_PAD src0_sel:DWORD src1_sel:BYTE_1
	v_add_u16_e32 v7, 0xe000, v7
	v_add_u16_sdwa v4, v4, s18 dst_sel:WORD_1 dst_unused:UNUSED_PAD src0_sel:DWORD src1_sel:DWORD
	v_and_or_b32 v5, v5, s11, v6
	v_or_b32_e32 v4, v7, v4
	v_lshlrev_b16_e32 v7, 8, v5
	v_and_b32_e32 v6, 0x3f00, v5
	v_add_u16_e32 v7, 0xe000, v7
	v_or_b32_sdwa v6, v6, v7 dst_sel:DWORD dst_unused:UNUSED_PAD src0_sel:DWORD src1_sel:BYTE_1
	v_and_b32_sdwa v7, v5, s17 dst_sel:DWORD dst_unused:UNUSED_PAD src0_sel:WORD_1 src1_sel:DWORD
	v_lshlrev_b16_sdwa v5, v202, v5 dst_sel:DWORD dst_unused:UNUSED_PAD src0_sel:DWORD src1_sel:WORD_1
	v_add_u16_e32 v5, 0xe000, v5
	v_or_b32_sdwa v5, v7, v5 dst_sel:DWORD dst_unused:UNUSED_PAD src0_sel:DWORD src1_sel:BYTE_1
	v_add_u16_e32 v6, 0xe000, v6
	v_add_u16_sdwa v5, v5, s18 dst_sel:WORD_1 dst_unused:UNUSED_PAD src0_sel:DWORD src1_sel:DWORD
	v_or_b32_e32 v5, v6, v5
	ds_write2_b32 v40, v4, v5 offset1:16
	s_waitcnt vmcnt(5)
	v_and_b32_e32 v4, 0xf0f0f0f, v14
	s_waitcnt vmcnt(4)
	v_ashrrev_i32_e32 v6, v75, v15
	v_lshlrev_b32_e32 v7, 4, v6
	v_and_or_b32 v4, v7, s16, v4
	v_lshlrev_b16_e32 v10, 8, v4
	v_and_b32_e32 v7, 0x3f00, v4
	v_add_u16_e32 v10, 0xe000, v10
	v_or_b32_sdwa v7, v7, v10 dst_sel:DWORD dst_unused:UNUSED_PAD src0_sel:DWORD src1_sel:BYTE_1
	v_and_b32_sdwa v10, v4, s17 dst_sel:DWORD dst_unused:UNUSED_PAD src0_sel:WORD_1 src1_sel:DWORD
	v_lshlrev_b16_sdwa v4, v202, v4 dst_sel:DWORD dst_unused:UNUSED_PAD src0_sel:DWORD src1_sel:WORD_1
	v_add_u16_e32 v4, 0xe000, v4
	v_lshrrev_b32_e32 v5, 4, v14
	v_and_b32_e32 v6, 0x30303030, v6
	v_or_b32_sdwa v4, v10, v4 dst_sel:DWORD dst_unused:UNUSED_PAD src0_sel:DWORD src1_sel:BYTE_1
	v_add_u16_e32 v7, 0xe000, v7
	v_add_u16_sdwa v4, v4, s18 dst_sel:WORD_1 dst_unused:UNUSED_PAD src0_sel:DWORD src1_sel:DWORD
	v_and_or_b32 v5, v5, s11, v6
	v_or_b32_e32 v4, v7, v4
	v_lshlrev_b16_e32 v7, 8, v5
	v_and_b32_e32 v6, 0x3f00, v5
	v_add_u16_e32 v7, 0xe000, v7
	v_or_b32_sdwa v6, v6, v7 dst_sel:DWORD dst_unused:UNUSED_PAD src0_sel:DWORD src1_sel:BYTE_1
	v_and_b32_sdwa v7, v5, s17 dst_sel:DWORD dst_unused:UNUSED_PAD src0_sel:WORD_1 src1_sel:DWORD
	v_lshlrev_b16_sdwa v5, v202, v5 dst_sel:DWORD dst_unused:UNUSED_PAD src0_sel:DWORD src1_sel:WORD_1
	v_add_u16_e32 v5, 0xe000, v5
	v_or_b32_sdwa v5, v7, v5 dst_sel:DWORD dst_unused:UNUSED_PAD src0_sel:DWORD src1_sel:BYTE_1
	v_add_u16_e32 v6, 0xe000, v6
	v_add_u16_sdwa v5, v5, s18 dst_sel:WORD_1 dst_unused:UNUSED_PAD src0_sel:DWORD src1_sel:DWORD
	v_or_b32_e32 v5, v6, v5
	ds_write2_b32 v44, v4, v5 offset1:16
	s_waitcnt vmcnt(3)
	v_and_b32_e32 v4, 0xf0f0f0f, v98
	s_waitcnt vmcnt(2)
	v_ashrrev_i32_e32 v6, v75, v99
	v_lshlrev_b32_e32 v7, 4, v6
	v_and_or_b32 v4, v7, s16, v4
	v_lshlrev_b16_e32 v10, 8, v4
	v_and_b32_e32 v7, 0x3f00, v4
	v_add_u16_e32 v10, 0xe000, v10
	v_or_b32_sdwa v7, v7, v10 dst_sel:DWORD dst_unused:UNUSED_PAD src0_sel:DWORD src1_sel:BYTE_1
	v_and_b32_sdwa v10, v4, s17 dst_sel:DWORD dst_unused:UNUSED_PAD src0_sel:WORD_1 src1_sel:DWORD
	v_lshlrev_b16_sdwa v4, v202, v4 dst_sel:DWORD dst_unused:UNUSED_PAD src0_sel:DWORD src1_sel:WORD_1
	v_add_u16_e32 v4, 0xe000, v4
	v_or_b32_sdwa v4, v10, v4 dst_sel:DWORD dst_unused:UNUSED_PAD src0_sel:DWORD src1_sel:BYTE_1
	v_lshrrev_b32_e32 v5, 4, v98
	v_and_b32_e32 v6, 0x30303030, v6
	v_add_u16_e32 v7, 0xe000, v7
	v_add_u16_sdwa v4, v4, s18 dst_sel:WORD_1 dst_unused:UNUSED_PAD src0_sel:DWORD src1_sel:DWORD
	v_or_b32_e32 v10, v7, v4
	v_and_or_b32 v11, v5, s11, v6
	v_mad_i64_i32 v[4:5], s[20:21], v54, s5, v[2:3]
	v_add_co_u32_e32 v6, vcc, v4, v18
	v_addc_co_u32_e32 v7, vcc, 0, v5, vcc
	v_add_co_u32_e32 v4, vcc, v4, v20
	v_addc_co_u32_e32 v5, vcc, 0, v5, vcc
	global_load_dword v13, v[6:7], off
	global_load_dword v14, v[4:5], off offset:128
	v_lshlrev_b16_e32 v4, 8, v11
	v_lshlrev_b16_sdwa v6, v202, v11 dst_sel:DWORD dst_unused:UNUSED_PAD src0_sel:DWORD src1_sel:WORD_1
	v_and_b32_e32 v12, 0x3f00, v11
	v_add_u16_e32 v4, 0xe000, v4
	v_and_b32_sdwa v5, v11, s17 dst_sel:DWORD dst_unused:UNUSED_PAD src0_sel:WORD_1 src1_sel:DWORD
	v_add_u16_e32 v6, 0xe000, v6
	v_or_b32_sdwa v4, v12, v4 dst_sel:DWORD dst_unused:UNUSED_PAD src0_sel:DWORD src1_sel:BYTE_1
	v_or_b32_sdwa v5, v5, v6 dst_sel:DWORD dst_unused:UNUSED_PAD src0_sel:DWORD src1_sel:BYTE_1
	v_add_u16_e32 v4, 0xe000, v4
	v_add_u16_sdwa v5, v5, s18 dst_sel:WORD_1 dst_unused:UNUSED_PAD src0_sel:DWORD src1_sel:DWORD
	v_or_b32_e32 v4, v4, v5
	s_waitcnt vmcnt(2)
	v_ashrrev_i32_e32 v5, v75, v9
	ds_write2_b32 v48, v10, v4 offset1:16
	v_and_b32_e32 v4, 0xf0f0f0f, v8
	v_lshlrev_b32_e32 v6, 4, v5
	v_and_b32_e32 v9, 0x30303030, v5
	v_and_or_b32 v10, v6, s16, v4
	v_mad_i64_i32 v[4:5], s[20:21], v58, s5, v[2:3]
	v_add_co_u32_e32 v6, vcc, v4, v18
	v_addc_co_u32_e32 v7, vcc, 0, v5, vcc
	v_add_co_u32_e32 v4, vcc, v4, v20
	v_addc_co_u32_e32 v5, vcc, 0, v5, vcc
	global_load_dword v12, v[6:7], off
	global_load_dword v15, v[4:5], off offset:128
	v_lshlrev_b16_e32 v4, 8, v10
	v_lshlrev_b16_sdwa v6, v202, v10 dst_sel:DWORD dst_unused:UNUSED_PAD src0_sel:DWORD src1_sel:WORD_1
	v_and_b32_e32 v11, 0x3f00, v10
	v_add_u16_e32 v4, 0xe000, v4
	v_and_b32_sdwa v5, v10, s17 dst_sel:DWORD dst_unused:UNUSED_PAD src0_sel:WORD_1 src1_sel:DWORD
	v_add_u16_e32 v6, 0xe000, v6
	v_or_b32_sdwa v4, v11, v4 dst_sel:DWORD dst_unused:UNUSED_PAD src0_sel:DWORD src1_sel:BYTE_1
	v_or_b32_sdwa v5, v5, v6 dst_sel:DWORD dst_unused:UNUSED_PAD src0_sel:DWORD src1_sel:BYTE_1
	v_lshrrev_b32_e32 v8, 4, v8
	v_add_u16_e32 v4, 0xe000, v4
	v_add_u16_sdwa v5, v5, s18 dst_sel:WORD_1 dst_unused:UNUSED_PAD src0_sel:DWORD src1_sel:DWORD
	v_or_b32_e32 v10, v4, v5
	v_and_or_b32 v4, v8, s11, v9
	v_lshlrev_b16_e32 v6, 8, v4
	v_and_b32_e32 v5, 0x3f00, v4
	v_add_u16_e32 v6, 0xe000, v6
	v_or_b32_sdwa v5, v5, v6 dst_sel:DWORD dst_unused:UNUSED_PAD src0_sel:DWORD src1_sel:BYTE_1
	v_add_u16_e32 v8, 0xe000, v5
	v_and_b32_sdwa v9, v4, s17 dst_sel:DWORD dst_unused:UNUSED_PAD src0_sel:WORD_1 src1_sel:DWORD
	v_lshlrev_b16_sdwa v11, v202, v4 dst_sel:DWORD dst_unused:UNUSED_PAD src0_sel:DWORD src1_sel:WORD_1
	v_mad_i64_i32 v[4:5], s[20:21], v62, s5, v[2:3]
	v_add_co_u32_e32 v6, vcc, v4, v18
	v_addc_co_u32_e32 v7, vcc, 0, v5, vcc
	v_add_co_u32_e32 v4, vcc, v4, v20
	v_addc_co_u32_e32 v5, vcc, 0, v5, vcc
	global_load_dword v98, v[6:7], off
	global_load_dword v99, v[4:5], off offset:128
	v_add_u16_e32 v4, 0xe000, v11
	v_or_b32_sdwa v4, v9, v4 dst_sel:DWORD dst_unused:UNUSED_PAD src0_sel:DWORD src1_sel:BYTE_1
	v_add_u16_sdwa v4, v4, s18 dst_sel:WORD_1 dst_unused:UNUSED_PAD src0_sel:DWORD src1_sel:DWORD
	v_or_b32_e32 v4, v8, v4
	ds_write2_b32 v52, v10, v4 offset1:16
	v_mad_i64_i32 v[4:5], s[20:21], v66, s5, v[2:3]
	v_add_co_u32_e32 v6, vcc, v4, v18
	v_addc_co_u32_e32 v7, vcc, 0, v5, vcc
	v_add_co_u32_e32 v4, vcc, v4, v20
	v_addc_co_u32_e32 v5, vcc, 0, v5, vcc
	global_load_dword v8, v[6:7], off
	global_load_dword v9, v[4:5], off offset:128
	s_waitcnt vmcnt(7)
	v_and_b32_e32 v4, 0xf0f0f0f, v13
	s_waitcnt vmcnt(6)
	v_ashrrev_i32_e32 v6, v75, v14
	v_lshlrev_b32_e32 v7, 4, v6
	v_and_or_b32 v4, v7, s16, v4
	v_lshlrev_b16_e32 v10, 8, v4
	v_and_b32_e32 v7, 0x3f00, v4
	v_add_u16_e32 v10, 0xe000, v10
	v_or_b32_sdwa v7, v7, v10 dst_sel:DWORD dst_unused:UNUSED_PAD src0_sel:DWORD src1_sel:BYTE_1
	v_and_b32_sdwa v10, v4, s17 dst_sel:DWORD dst_unused:UNUSED_PAD src0_sel:WORD_1 src1_sel:DWORD
	v_lshlrev_b16_sdwa v4, v202, v4 dst_sel:DWORD dst_unused:UNUSED_PAD src0_sel:DWORD src1_sel:WORD_1
	v_add_u16_e32 v4, 0xe000, v4
	v_lshrrev_b32_e32 v5, 4, v13
	v_and_b32_e32 v6, 0x30303030, v6
	v_or_b32_sdwa v4, v10, v4 dst_sel:DWORD dst_unused:UNUSED_PAD src0_sel:DWORD src1_sel:BYTE_1
	v_add_u16_e32 v7, 0xe000, v7
	v_add_u16_sdwa v4, v4, s18 dst_sel:WORD_1 dst_unused:UNUSED_PAD src0_sel:DWORD src1_sel:DWORD
	v_and_or_b32 v5, v5, s11, v6
	v_or_b32_e32 v4, v7, v4
	v_lshlrev_b16_e32 v7, 8, v5
	v_and_b32_e32 v6, 0x3f00, v5
	v_add_u16_e32 v7, 0xe000, v7
	v_or_b32_sdwa v6, v6, v7 dst_sel:DWORD dst_unused:UNUSED_PAD src0_sel:DWORD src1_sel:BYTE_1
	v_and_b32_sdwa v7, v5, s17 dst_sel:DWORD dst_unused:UNUSED_PAD src0_sel:WORD_1 src1_sel:DWORD
	v_lshlrev_b16_sdwa v5, v202, v5 dst_sel:DWORD dst_unused:UNUSED_PAD src0_sel:DWORD src1_sel:WORD_1
	v_add_u16_e32 v5, 0xe000, v5
	v_or_b32_sdwa v5, v7, v5 dst_sel:DWORD dst_unused:UNUSED_PAD src0_sel:DWORD src1_sel:BYTE_1
	v_add_u16_e32 v6, 0xe000, v6
	v_add_u16_sdwa v5, v5, s18 dst_sel:WORD_1 dst_unused:UNUSED_PAD src0_sel:DWORD src1_sel:DWORD
	v_or_b32_e32 v5, v6, v5
	ds_write2_b32 v56, v4, v5 offset1:16
	s_waitcnt vmcnt(4)
	v_ashrrev_i32_e32 v6, v75, v15
	v_and_b32_e32 v4, 0xf0f0f0f, v12
	v_lshlrev_b32_e32 v7, 4, v6
	v_and_or_b32 v4, v7, s16, v4
	v_lshlrev_b16_e32 v10, 8, v4
	v_and_b32_e32 v7, 0x3f00, v4
	v_add_u16_e32 v10, 0xe000, v10
	v_or_b32_sdwa v7, v7, v10 dst_sel:DWORD dst_unused:UNUSED_PAD src0_sel:DWORD src1_sel:BYTE_1
	v_and_b32_sdwa v10, v4, s17 dst_sel:DWORD dst_unused:UNUSED_PAD src0_sel:WORD_1 src1_sel:DWORD
	v_lshlrev_b16_sdwa v4, v202, v4 dst_sel:DWORD dst_unused:UNUSED_PAD src0_sel:DWORD src1_sel:WORD_1
	v_add_u16_e32 v4, 0xe000, v4
	v_lshrrev_b32_e32 v5, 4, v12
	v_and_b32_e32 v6, 0x30303030, v6
	v_or_b32_sdwa v4, v10, v4 dst_sel:DWORD dst_unused:UNUSED_PAD src0_sel:DWORD src1_sel:BYTE_1
	v_add_u16_e32 v7, 0xe000, v7
	v_add_u16_sdwa v4, v4, s18 dst_sel:WORD_1 dst_unused:UNUSED_PAD src0_sel:DWORD src1_sel:DWORD
	v_and_or_b32 v5, v5, s11, v6
	v_or_b32_e32 v4, v7, v4
	v_lshlrev_b16_e32 v7, 8, v5
	v_and_b32_e32 v6, 0x3f00, v5
	v_add_u16_e32 v7, 0xe000, v7
	v_or_b32_sdwa v6, v6, v7 dst_sel:DWORD dst_unused:UNUSED_PAD src0_sel:DWORD src1_sel:BYTE_1
	v_and_b32_sdwa v7, v5, s17 dst_sel:DWORD dst_unused:UNUSED_PAD src0_sel:WORD_1 src1_sel:DWORD
	v_lshlrev_b16_sdwa v5, v202, v5 dst_sel:DWORD dst_unused:UNUSED_PAD src0_sel:DWORD src1_sel:WORD_1
	v_add_u16_e32 v5, 0xe000, v5
	v_or_b32_sdwa v5, v7, v5 dst_sel:DWORD dst_unused:UNUSED_PAD src0_sel:DWORD src1_sel:BYTE_1
	v_add_u16_e32 v6, 0xe000, v6
	v_add_u16_sdwa v5, v5, s18 dst_sel:WORD_1 dst_unused:UNUSED_PAD src0_sel:DWORD src1_sel:DWORD
	v_or_b32_e32 v5, v6, v5
	ds_write2_b32 v60, v4, v5 offset1:16
	s_waitcnt vmcnt(3)
	v_and_b32_e32 v4, 0xf0f0f0f, v98
	s_waitcnt vmcnt(2)
	v_ashrrev_i32_e32 v6, v75, v99
	v_lshlrev_b32_e32 v7, 4, v6
	v_and_or_b32 v4, v7, s16, v4
	v_lshlrev_b16_e32 v10, 8, v4
	v_and_b32_e32 v7, 0x3f00, v4
	v_add_u16_e32 v10, 0xe000, v10
	v_or_b32_sdwa v7, v7, v10 dst_sel:DWORD dst_unused:UNUSED_PAD src0_sel:DWORD src1_sel:BYTE_1
	v_and_b32_sdwa v10, v4, s17 dst_sel:DWORD dst_unused:UNUSED_PAD src0_sel:WORD_1 src1_sel:DWORD
	v_lshlrev_b16_sdwa v4, v202, v4 dst_sel:DWORD dst_unused:UNUSED_PAD src0_sel:DWORD src1_sel:WORD_1
	v_add_u16_e32 v4, 0xe000, v4
	v_or_b32_sdwa v4, v10, v4 dst_sel:DWORD dst_unused:UNUSED_PAD src0_sel:DWORD src1_sel:BYTE_1
	v_lshrrev_b32_e32 v5, 4, v98
	v_and_b32_e32 v6, 0x30303030, v6
	v_add_u16_e32 v7, 0xe000, v7
	v_add_u16_sdwa v4, v4, s18 dst_sel:WORD_1 dst_unused:UNUSED_PAD src0_sel:DWORD src1_sel:DWORD
	v_or_b32_e32 v10, v7, v4
	v_and_or_b32 v11, v5, s11, v6
	v_mad_i64_i32 v[4:5], s[20:21], v70, s5, v[2:3]
	v_add_co_u32_e32 v6, vcc, v4, v18
	v_addc_co_u32_e32 v7, vcc, 0, v5, vcc
	v_add_co_u32_e32 v4, vcc, v4, v20
	v_addc_co_u32_e32 v5, vcc, 0, v5, vcc
	global_load_dword v13, v[6:7], off
	global_load_dword v14, v[4:5], off offset:128
	v_lshlrev_b16_e32 v4, 8, v11
	v_lshlrev_b16_sdwa v6, v202, v11 dst_sel:DWORD dst_unused:UNUSED_PAD src0_sel:DWORD src1_sel:WORD_1
	v_and_b32_e32 v12, 0x3f00, v11
	v_add_u16_e32 v4, 0xe000, v4
	v_and_b32_sdwa v5, v11, s17 dst_sel:DWORD dst_unused:UNUSED_PAD src0_sel:WORD_1 src1_sel:DWORD
	v_add_u16_e32 v6, 0xe000, v6
	v_or_b32_sdwa v4, v12, v4 dst_sel:DWORD dst_unused:UNUSED_PAD src0_sel:DWORD src1_sel:BYTE_1
	v_or_b32_sdwa v5, v5, v6 dst_sel:DWORD dst_unused:UNUSED_PAD src0_sel:DWORD src1_sel:BYTE_1
	v_add_u16_e32 v4, 0xe000, v4
	v_add_u16_sdwa v5, v5, s18 dst_sel:WORD_1 dst_unused:UNUSED_PAD src0_sel:DWORD src1_sel:DWORD
	v_or_b32_e32 v4, v4, v5
	s_waitcnt vmcnt(2)
	v_ashrrev_i32_e32 v5, v75, v9
	ds_write2_b32 v64, v10, v4 offset1:16
	v_and_b32_e32 v4, 0xf0f0f0f, v8
	v_lshlrev_b32_e32 v6, 4, v5
	v_and_b32_e32 v9, 0x30303030, v5
	v_and_or_b32 v10, v6, s16, v4
	v_mad_i64_i32 v[4:5], s[20:21], v74, s5, v[2:3]
	v_add_co_u32_e32 v6, vcc, v4, v18
	v_addc_co_u32_e32 v7, vcc, 0, v5, vcc
	v_add_co_u32_e32 v4, vcc, v4, v20
	v_addc_co_u32_e32 v5, vcc, 0, v5, vcc
	global_load_dword v12, v[6:7], off
	global_load_dword v15, v[4:5], off offset:128
	v_lshlrev_b16_e32 v4, 8, v10
	v_lshlrev_b16_sdwa v6, v202, v10 dst_sel:DWORD dst_unused:UNUSED_PAD src0_sel:DWORD src1_sel:WORD_1
	v_and_b32_e32 v11, 0x3f00, v10
	v_add_u16_e32 v4, 0xe000, v4
	v_and_b32_sdwa v5, v10, s17 dst_sel:DWORD dst_unused:UNUSED_PAD src0_sel:WORD_1 src1_sel:DWORD
	v_add_u16_e32 v6, 0xe000, v6
	v_or_b32_sdwa v4, v11, v4 dst_sel:DWORD dst_unused:UNUSED_PAD src0_sel:DWORD src1_sel:BYTE_1
	v_or_b32_sdwa v5, v5, v6 dst_sel:DWORD dst_unused:UNUSED_PAD src0_sel:DWORD src1_sel:BYTE_1
	v_lshrrev_b32_e32 v8, 4, v8
	v_add_u16_e32 v4, 0xe000, v4
	v_add_u16_sdwa v5, v5, s18 dst_sel:WORD_1 dst_unused:UNUSED_PAD src0_sel:DWORD src1_sel:DWORD
	v_or_b32_e32 v4, v4, v5
	v_and_or_b32 v5, v8, s11, v9
	v_lshlrev_b16_e32 v7, 8, v5
	v_and_b32_e32 v6, 0x3f00, v5
	v_add_u16_e32 v7, 0xe000, v7
	v_or_b32_sdwa v6, v6, v7 dst_sel:DWORD dst_unused:UNUSED_PAD src0_sel:DWORD src1_sel:BYTE_1
	v_and_b32_sdwa v7, v5, s17 dst_sel:DWORD dst_unused:UNUSED_PAD src0_sel:WORD_1 src1_sel:DWORD
	v_lshlrev_b16_sdwa v5, v202, v5 dst_sel:DWORD dst_unused:UNUSED_PAD src0_sel:DWORD src1_sel:WORD_1
	v_add_u16_e32 v5, 0xe000, v5
	v_or_b32_sdwa v5, v7, v5 dst_sel:DWORD dst_unused:UNUSED_PAD src0_sel:DWORD src1_sel:BYTE_1
	v_add_u16_e32 v6, 0xe000, v6
	v_add_u16_sdwa v5, v5, s18 dst_sel:WORD_1 dst_unused:UNUSED_PAD src0_sel:DWORD src1_sel:DWORD
	v_or_b32_e32 v5, v6, v5
	ds_write2_b32 v68, v4, v5 offset1:16
	v_mad_i64_i32 v[4:5], s[20:21], v78, s5, v[2:3]
	v_add_co_u32_e32 v6, vcc, v4, v18
	v_addc_co_u32_e32 v7, vcc, 0, v5, vcc
	v_add_co_u32_e32 v4, vcc, v4, v20
	v_addc_co_u32_e32 v5, vcc, 0, v5, vcc
	v_mad_i64_i32 v[2:3], s[20:21], v82, s5, v[2:3]
	v_add_co_u32_e32 v8, vcc, v2, v18
	v_addc_co_u32_e32 v9, vcc, 0, v3, vcc
	v_add_co_u32_e32 v2, vcc, v2, v20
	v_addc_co_u32_e32 v3, vcc, 0, v3, vcc
	global_load_dword v100, v[6:7], off
	global_load_dword v101, v[4:5], off offset:128
	global_load_dword v102, v[8:9], off
	global_load_dword v103, v[2:3], off offset:128
	s_mov_b32 s21, 0
	s_waitcnt vmcnt(7)
	v_and_b32_e32 v2, 0xf0f0f0f, v13
	s_waitcnt vmcnt(6)
	v_ashrrev_i32_e32 v4, v75, v14
	v_lshlrev_b32_e32 v5, 4, v4
	v_and_or_b32 v2, v5, s16, v2
	v_lshlrev_b16_e32 v6, 8, v2
	v_and_b32_e32 v5, 0x3f00, v2
	v_add_u16_e32 v6, 0xe000, v6
	v_or_b32_sdwa v5, v5, v6 dst_sel:DWORD dst_unused:UNUSED_PAD src0_sel:DWORD src1_sel:BYTE_1
	v_and_b32_sdwa v6, v2, s17 dst_sel:DWORD dst_unused:UNUSED_PAD src0_sel:WORD_1 src1_sel:DWORD
	v_lshlrev_b16_sdwa v2, v202, v2 dst_sel:DWORD dst_unused:UNUSED_PAD src0_sel:DWORD src1_sel:WORD_1
	v_add_u16_e32 v2, 0xe000, v2
	v_lshrrev_b32_e32 v3, 4, v13
	v_and_b32_e32 v4, 0x30303030, v4
	v_or_b32_sdwa v2, v6, v2 dst_sel:DWORD dst_unused:UNUSED_PAD src0_sel:DWORD src1_sel:BYTE_1
	v_add_u16_e32 v5, 0xe000, v5
	v_add_u16_sdwa v2, v2, s18 dst_sel:WORD_1 dst_unused:UNUSED_PAD src0_sel:DWORD src1_sel:DWORD
	v_and_or_b32 v3, v3, s11, v4
	v_or_b32_e32 v2, v5, v2
	v_lshlrev_b16_e32 v5, 8, v3
	v_and_b32_e32 v4, 0x3f00, v3
	v_add_u16_e32 v5, 0xe000, v5
	v_or_b32_sdwa v4, v4, v5 dst_sel:DWORD dst_unused:UNUSED_PAD src0_sel:DWORD src1_sel:BYTE_1
	v_and_b32_sdwa v5, v3, s17 dst_sel:DWORD dst_unused:UNUSED_PAD src0_sel:WORD_1 src1_sel:DWORD
	v_lshlrev_b16_sdwa v3, v202, v3 dst_sel:DWORD dst_unused:UNUSED_PAD src0_sel:DWORD src1_sel:WORD_1
	v_add_u16_e32 v3, 0xe000, v3
	v_or_b32_sdwa v3, v5, v3 dst_sel:DWORD dst_unused:UNUSED_PAD src0_sel:DWORD src1_sel:BYTE_1
	v_add_u16_e32 v4, 0xe000, v4
	v_add_u16_sdwa v3, v3, s18 dst_sel:WORD_1 dst_unused:UNUSED_PAD src0_sel:DWORD src1_sel:DWORD
	v_or_b32_e32 v3, v4, v3
	ds_write2_b32 v72, v2, v3 offset1:16
	s_waitcnt vmcnt(4)
	v_ashrrev_i32_e32 v4, v75, v15
	v_and_b32_e32 v2, 0xf0f0f0f, v12
	v_lshlrev_b32_e32 v5, 4, v4
	v_and_or_b32 v2, v5, s16, v2
	v_lshlrev_b16_e32 v6, 8, v2
	v_and_b32_e32 v5, 0x3f00, v2
	v_add_u16_e32 v6, 0xe000, v6
	v_or_b32_sdwa v5, v5, v6 dst_sel:DWORD dst_unused:UNUSED_PAD src0_sel:DWORD src1_sel:BYTE_1
	v_and_b32_sdwa v6, v2, s17 dst_sel:DWORD dst_unused:UNUSED_PAD src0_sel:WORD_1 src1_sel:DWORD
	v_lshlrev_b16_sdwa v2, v202, v2 dst_sel:DWORD dst_unused:UNUSED_PAD src0_sel:DWORD src1_sel:WORD_1
	v_lshrrev_b32_e32 v3, 4, v12
	v_and_b32_e32 v4, 0x30303030, v4
	v_add_u16_e32 v2, 0xe000, v2
	v_or_b32_sdwa v2, v6, v2 dst_sel:DWORD dst_unused:UNUSED_PAD src0_sel:DWORD src1_sel:BYTE_1
	v_and_or_b32 v105, v3, s11, v4
	v_add_u16_e32 v5, 0xe000, v5
	v_add_u16_sdwa v2, v2, s18 dst_sel:WORD_1 dst_unused:UNUSED_PAD src0_sel:DWORD src1_sel:DWORD
	v_lshlrev_b16_e32 v3, 8, v105
	v_or_b32_e32 v104, v5, v2
	v_and_b32_e32 v2, 0x3f00, v105
	v_add_u16_e32 v3, 0xe000, v3
	v_or_b32_sdwa v2, v2, v3 dst_sel:DWORD dst_unused:UNUSED_PAD src0_sel:DWORD src1_sel:BYTE_1
	v_add_u16_e32 v106, 0xe000, v2
	v_mov_b32_e32 v3, s1
	v_add_co_u32_e32 v2, vcc, s0, v88
	v_addc_co_u32_e32 v3, vcc, 0, v3, vcc
	v_mad_i64_i32 v[4:5], s[0:1], v90, s5, v[2:3]
	v_mad_i64_i32 v[2:3], s[0:1], v92, s5, v[2:3]
	v_add_u32_e32 v14, s19, v97
	global_load_ushort v107, v[0:1], off offset:208
	global_load_dword v108, v[4:5], off offset:192
	global_load_dword v109, v[2:3], off offset:192
	v_add_u32_e32 v0, v14, v164
	v_add_u32_e32 v2, v14, v166
	v_add_u32_e32 v4, v14, v169
	v_add_u32_e32 v6, v14, v172
	v_add_u32_e32 v8, v14, v175
	v_mad_i64_i32 v[0:1], s[0:1], v0, 36, v[94:95]
	v_mad_i64_i32 v[2:3], s[0:1], v2, 36, v[94:95]
	;; [unrolled: 1-line block ×5, first 2 shown]
	v_add_u32_e32 v10, v14, v178
	v_add_u32_e32 v12, v14, v181
	;; [unrolled: 1-line block ×3, first 2 shown]
	v_mad_i64_i32 v[10:11], s[0:1], v10, 36, v[94:95]
	v_mad_i64_i32 v[12:13], s[0:1], v12, 36, v[94:95]
	;; [unrolled: 1-line block ×3, first 2 shown]
	v_mad_u64_u32 v[98:99], s[0:1], v203, 36, s[2:3]
	global_load_dword v0, v[0:1], off offset:4
	s_nop 0
	global_load_dword v1, v[2:3], off offset:4
	s_nop 0
	global_load_dword v2, v[4:5], off offset:4
	global_load_dword v3, v[6:7], off offset:4
	s_nop 0
	global_load_dword v4, v[8:9], off offset:4
	global_load_dword v5, v[98:99], off
	global_load_dword v6, v[10:11], off offset:4
	global_load_dword v7, v[12:13], off offset:4
	s_nop 0
	global_load_dword v8, v[14:15], off offset:4
	v_lshlrev_b16_sdwa v10, v202, v105 dst_sel:DWORD dst_unused:UNUSED_PAD src0_sel:DWORD src1_sel:WORD_1
	v_and_b32_sdwa v9, v105, s17 dst_sel:DWORD dst_unused:UNUSED_PAD src0_sel:WORD_1 src1_sel:DWORD
	v_add_u16_e32 v10, 0xe000, v10
	v_or_b32_sdwa v9, v9, v10 dst_sel:DWORD dst_unused:UNUSED_PAD src0_sel:DWORD src1_sel:BYTE_1
	v_add_u16_sdwa v9, v9, s18 dst_sel:WORD_1 dst_unused:UNUSED_PAD src0_sel:DWORD src1_sel:DWORD
	v_or_b32_e32 v9, v106, v9
	s_waitcnt vmcnt(14)
	v_ashrrev_i32_e32 v11, v75, v101
	ds_write2_b32 v76, v104, v9 offset1:16
	v_and_b32_e32 v9, 0xf0f0f0f, v100
	v_lshlrev_b32_e32 v12, 4, v11
	v_and_or_b32 v9, v12, s16, v9
	v_lshlrev_b16_e32 v13, 8, v9
	v_and_b32_e32 v12, 0x3f00, v9
	v_add_u16_e32 v13, 0xe000, v13
	v_or_b32_sdwa v12, v12, v13 dst_sel:DWORD dst_unused:UNUSED_PAD src0_sel:DWORD src1_sel:BYTE_1
	v_and_b32_sdwa v13, v9, s17 dst_sel:DWORD dst_unused:UNUSED_PAD src0_sel:WORD_1 src1_sel:DWORD
	v_lshlrev_b16_sdwa v9, v202, v9 dst_sel:DWORD dst_unused:UNUSED_PAD src0_sel:DWORD src1_sel:WORD_1
	v_add_u16_e32 v9, 0xe000, v9
	v_lshrrev_b32_e32 v10, 4, v100
	v_and_b32_e32 v11, 0x30303030, v11
	v_or_b32_sdwa v9, v13, v9 dst_sel:DWORD dst_unused:UNUSED_PAD src0_sel:DWORD src1_sel:BYTE_1
	v_add_u16_e32 v12, 0xe000, v12
	v_add_u16_sdwa v9, v9, s18 dst_sel:WORD_1 dst_unused:UNUSED_PAD src0_sel:DWORD src1_sel:DWORD
	v_and_or_b32 v10, v10, s11, v11
	v_or_b32_e32 v9, v12, v9
	v_lshlrev_b16_e32 v12, 8, v10
	v_and_b32_e32 v11, 0x3f00, v10
	v_add_u16_e32 v12, 0xe000, v12
	v_or_b32_sdwa v11, v11, v12 dst_sel:DWORD dst_unused:UNUSED_PAD src0_sel:DWORD src1_sel:BYTE_1
	v_and_b32_sdwa v12, v10, s17 dst_sel:DWORD dst_unused:UNUSED_PAD src0_sel:WORD_1 src1_sel:DWORD
	v_lshlrev_b16_sdwa v10, v202, v10 dst_sel:DWORD dst_unused:UNUSED_PAD src0_sel:DWORD src1_sel:WORD_1
	v_add_u16_e32 v10, 0xe000, v10
	v_or_b32_sdwa v10, v12, v10 dst_sel:DWORD dst_unused:UNUSED_PAD src0_sel:DWORD src1_sel:BYTE_1
	v_add_u16_e32 v11, 0xe000, v11
	v_add_u16_sdwa v10, v10, s18 dst_sel:WORD_1 dst_unused:UNUSED_PAD src0_sel:DWORD src1_sel:DWORD
	v_or_b32_e32 v10, v11, v10
	s_waitcnt vmcnt(12)
	v_ashrrev_i32_e32 v11, v75, v103
	ds_write2_b32 v80, v9, v10 offset1:16
	v_and_b32_e32 v9, 0xf0f0f0f, v102
	v_lshlrev_b32_e32 v12, 4, v11
	v_and_or_b32 v9, v12, s16, v9
	v_lshlrev_b16_e32 v13, 8, v9
	v_and_b32_e32 v12, 0x3f00, v9
	v_add_u16_e32 v13, 0xe000, v13
	v_or_b32_sdwa v12, v12, v13 dst_sel:DWORD dst_unused:UNUSED_PAD src0_sel:DWORD src1_sel:BYTE_1
	v_and_b32_sdwa v13, v9, s17 dst_sel:DWORD dst_unused:UNUSED_PAD src0_sel:WORD_1 src1_sel:DWORD
	v_lshlrev_b16_sdwa v9, v202, v9 dst_sel:DWORD dst_unused:UNUSED_PAD src0_sel:DWORD src1_sel:WORD_1
	v_add_u16_e32 v9, 0xe000, v9
	v_lshrrev_b32_e32 v10, 4, v102
	v_and_b32_e32 v11, 0x30303030, v11
	v_or_b32_sdwa v9, v13, v9 dst_sel:DWORD dst_unused:UNUSED_PAD src0_sel:DWORD src1_sel:BYTE_1
	v_add_u16_e32 v12, 0xe000, v12
	v_add_u16_sdwa v9, v9, s18 dst_sel:WORD_1 dst_unused:UNUSED_PAD src0_sel:DWORD src1_sel:DWORD
	v_and_or_b32 v10, v10, s11, v11
	v_or_b32_e32 v9, v12, v9
	v_lshlrev_b16_e32 v12, 8, v10
	v_and_b32_e32 v11, 0x3f00, v10
	v_add_u16_e32 v12, 0xe000, v12
	v_or_b32_sdwa v11, v11, v12 dst_sel:DWORD dst_unused:UNUSED_PAD src0_sel:DWORD src1_sel:BYTE_1
	v_and_b32_sdwa v12, v10, s17 dst_sel:DWORD dst_unused:UNUSED_PAD src0_sel:WORD_1 src1_sel:DWORD
	v_lshlrev_b16_sdwa v10, v202, v10 dst_sel:DWORD dst_unused:UNUSED_PAD src0_sel:DWORD src1_sel:WORD_1
	v_add_u16_e32 v10, 0xe000, v10
	v_or_b32_sdwa v10, v12, v10 dst_sel:DWORD dst_unused:UNUSED_PAD src0_sel:DWORD src1_sel:BYTE_1
	s_waitcnt vmcnt(11)
	v_cvt_f32_f16_e32 v12, v107
	v_add_u16_e32 v11, 0xe000, v11
	v_add_u16_sdwa v10, v10, s18 dst_sel:WORD_1 dst_unused:UNUSED_PAD src0_sel:DWORD src1_sel:DWORD
	v_or_b32_e32 v10, v11, v10
	ds_write2_b32 v84, v9, v10 offset1:16
	ds_write_b32 v87, v12
	s_waitcnt vmcnt(10)
	ds_write_b32 v200, v108
	s_waitcnt vmcnt(9)
	;; [unrolled: 2-line block ×8, first 2 shown]
	v_cvt_f32_f16_e32 v0, v5
	s_waitcnt vmcnt(2)
	ds_write_b32 v180, v6
	s_waitcnt vmcnt(1)
	ds_write_b32 v183, v7
	;; [unrolled: 2-line block ×3, first 2 shown]
	ds_write_b32 v91, v0
	s_waitcnt lgkmcnt(0)
	s_barrier
	ds_read_b32 v204, v187
	ds_read_b32 v205, v189 offset:128
	ds_read_b32 v206, v190 offset:256
	;; [unrolled: 1-line block ×3, first 2 shown]
	s_mov_b64 s[0:1], -1
.LBB156_6:                              ;   Parent Loop BB156_5 Depth=1
                                        ; =>  This Inner Loop Header: Depth=2
	s_lshl_b32 s20, s21, 1
	v_or_b32_e32 v0, s20, v83
	v_lshlrev_b32_e32 v12, 2, v0
	s_lshr_b32 s22, s21, 1
	s_lshl_b32 s21, s21, 3
	v_lshrrev_b32_e32 v98, 1, v0
	ds_read_b128 v[0:3], v12 offset:33280
	ds_read_b128 v[4:7], v12 offset:33296
	;; [unrolled: 1-line block ×4, first 2 shown]
	ds_read_b64 v[162:163], v98 offset:43584
	v_add_u32_e32 v106, s22, v192
	v_add_u32_e32 v107, s21, v193
	ds_read2_b32 v[102:103], v107 offset0:6 offset1:7
	ds_read2_b32 v[104:105], v107 offset0:4 offset1:5
	;; [unrolled: 1-line block ×3, first 2 shown]
	ds_read2_b32 v[100:101], v107 offset1:1
	ds_read_b32 v108, v106
	ds_read2_b32 v[158:159], v107 offset0:14 offset1:15
	ds_read2_b32 v[160:161], v107 offset0:12 offset1:13
	v_mov_b32_e32 v106, 0
	ds_read2_b32 v[114:115], v107 offset0:10 offset1:11
	ds_read2_b32 v[116:117], v107 offset0:8 offset1:9
	s_waitcnt lgkmcnt(7)
	v_dot4c_i32_i8_e32 v106, v104, v4
	v_mov_b32_e32 v107, 0
	v_dot4c_i32_i8_e32 v106, v105, v5
	s_waitcnt lgkmcnt(5)
	v_dot4c_i32_i8_e32 v107, v100, v0
	v_dot4c_i32_i8_e32 v106, v102, v6
	;; [unrolled: 1-line block ×4, first 2 shown]
	s_waitcnt lgkmcnt(4)
	v_bfe_i32 v208, v108, 8, 8
	v_dot4c_i32_i8_e32 v107, v98, v2
	v_dot4c_i32_i8_e32 v107, v99, v3
	v_mul_lo_u32 v106, v106, v208
	v_bfe_i32 v209, v108, 0, 8
	v_mov_b32_e32 v109, 0
	v_mad_u64_u32 v[106:107], s[24:25], v107, v209, v[106:107]
	s_waitcnt lgkmcnt(2)
	v_dot4c_i32_i8_e32 v109, v160, v12
	v_mov_b32_e32 v110, 0
	v_cvt_f32_i32_e32 v106, v106
	v_dot4c_i32_i8_e32 v109, v161, v13
	s_waitcnt lgkmcnt(0)
	v_dot4c_i32_i8_e32 v110, v116, v8
	v_dot4c_i32_i8_e32 v109, v158, v14
	;; [unrolled: 1-line block ×5, first 2 shown]
	v_ashrrev_i32_e32 v211, 24, v108
	v_dot4c_i32_i8_e32 v110, v115, v11
	v_fma_f32 v111, v162, v106, 0
	v_bfe_i32 v210, v108, 16, 8
	v_mul_lo_u32 v106, v109, v211
	v_mad_u64_u32 v[106:107], s[24:25], v110, v210, v[106:107]
	v_cvt_f32_i32_e32 v106, v106
	v_add_u32_e32 v118, s22, v194
	v_add_u32_e32 v122, s21, v195
	v_mov_b32_e32 v123, 0
	v_fmac_f32_e32 v111, v163, v106
	v_fmac_f32_e32 v93, v204, v111
	ds_read2_b32 v[110:111], v122 offset0:6 offset1:7
	ds_read2_b32 v[112:113], v122 offset0:4 offset1:5
	;; [unrolled: 1-line block ×3, first 2 shown]
	ds_read2_b32 v[108:109], v122 offset1:1
	ds_read_b32 v124, v118
	ds_read2_b32 v[118:119], v122 offset0:14 offset1:15
	ds_read2_b32 v[120:121], v122 offset0:12 offset1:13
	;; [unrolled: 1-line block ×4, first 2 shown]
	v_mov_b32_e32 v122, 0
	s_waitcnt lgkmcnt(7)
	v_dot4c_i32_i8_e32 v122, v112, v4
	v_dot4c_i32_i8_e32 v122, v113, v5
	s_waitcnt lgkmcnt(5)
	v_dot4c_i32_i8_e32 v123, v108, v0
	v_dot4c_i32_i8_e32 v122, v110, v6
	;; [unrolled: 1-line block ×4, first 2 shown]
	s_waitcnt lgkmcnt(4)
	v_bfe_i32 v212, v124, 8, 8
	v_dot4c_i32_i8_e32 v123, v106, v2
	v_dot4c_i32_i8_e32 v123, v107, v3
	v_mul_lo_u32 v122, v122, v212
	v_bfe_i32 v213, v124, 0, 8
	v_mov_b32_e32 v125, 0
	v_mad_u64_u32 v[122:123], s[24:25], v123, v213, v[122:123]
	s_waitcnt lgkmcnt(2)
	v_dot4c_i32_i8_e32 v125, v120, v12
	v_mov_b32_e32 v126, 0
	v_cvt_f32_i32_e32 v122, v122
	v_dot4c_i32_i8_e32 v125, v121, v13
	s_waitcnt lgkmcnt(0)
	v_dot4c_i32_i8_e32 v126, v136, v8
	v_dot4c_i32_i8_e32 v125, v118, v14
	;; [unrolled: 1-line block ×5, first 2 shown]
	v_ashrrev_i32_e32 v215, 24, v124
	v_dot4c_i32_i8_e32 v126, v133, v11
	v_fma_f32 v127, v162, v122, 0
	v_bfe_i32 v214, v124, 16, 8
	v_mul_lo_u32 v122, v125, v215
	v_mad_u64_u32 v[122:123], s[24:25], v126, v214, v[122:123]
	v_cvt_f32_i32_e32 v122, v122
	v_add_u32_e32 v130, s22, v196
	v_add_u32_e32 v131, s21, v197
	v_mov_b32_e32 v135, 0
	v_fmac_f32_e32 v127, v163, v122
	v_fmac_f32_e32 v89, v205, v127
	ds_read2_b32 v[126:127], v131 offset0:6 offset1:7
	ds_read2_b32 v[128:129], v131 offset0:4 offset1:5
	ds_read2_b32 v[122:123], v131 offset0:2 offset1:3
	ds_read2_b32 v[124:125], v131 offset1:1
	ds_read_b32 v134, v130
	ds_read2_b32 v[138:139], v131 offset0:14 offset1:15
	ds_read2_b32 v[140:141], v131 offset0:12 offset1:13
	v_mov_b32_e32 v130, 0
	ds_read2_b32 v[148:149], v131 offset0:10 offset1:11
	ds_read2_b32 v[152:153], v131 offset0:8 offset1:9
	s_waitcnt lgkmcnt(7)
	v_dot4c_i32_i8_e32 v130, v128, v4
	v_mov_b32_e32 v131, 0
	v_dot4c_i32_i8_e32 v130, v129, v5
	s_waitcnt lgkmcnt(5)
	v_dot4c_i32_i8_e32 v131, v124, v0
	v_dot4c_i32_i8_e32 v130, v126, v6
	v_dot4c_i32_i8_e32 v131, v125, v1
	v_dot4c_i32_i8_e32 v130, v127, v7
	s_waitcnt lgkmcnt(4)
	v_bfe_i32 v216, v134, 8, 8
	v_dot4c_i32_i8_e32 v131, v122, v2
	v_dot4c_i32_i8_e32 v131, v123, v3
	v_mul_lo_u32 v130, v130, v216
	v_bfe_i32 v217, v134, 0, 8
	s_waitcnt lgkmcnt(2)
	v_dot4c_i32_i8_e32 v135, v140, v12
	v_mad_u64_u32 v[130:131], s[24:25], v131, v217, v[130:131]
	v_mov_b32_e32 v142, 0
	v_cvt_f32_i32_e32 v130, v130
	v_dot4c_i32_i8_e32 v135, v141, v13
	s_waitcnt lgkmcnt(0)
	v_dot4c_i32_i8_e32 v142, v152, v8
	v_dot4c_i32_i8_e32 v135, v138, v14
	;; [unrolled: 1-line block ×5, first 2 shown]
	v_ashrrev_i32_e32 v219, 24, v134
	v_dot4c_i32_i8_e32 v142, v149, v11
	v_fma_f32 v143, v162, v130, 0
	v_bfe_i32 v218, v134, 16, 8
	v_mul_lo_u32 v130, v135, v219
	v_mad_u64_u32 v[130:131], s[24:25], v142, v218, v[130:131]
	v_cvt_f32_i32_e32 v130, v130
	v_add_u32_e32 v146, s22, v198
	v_add_u32_e32 v156, s21, v199
	v_mov_b32_e32 v224, 0
	v_fmac_f32_e32 v143, v163, v130
	v_fmac_f32_e32 v85, v206, v143
	ds_read2_b32 v[142:143], v156 offset0:6 offset1:7
	ds_read2_b32 v[144:145], v156 offset0:4 offset1:5
	;; [unrolled: 1-line block ×3, first 2 shown]
	ds_read2_b32 v[134:135], v156 offset1:1
	ds_read_b32 v223, v146
	ds_read2_b32 v[146:147], v156 offset0:14 offset1:15
	ds_read2_b32 v[150:151], v156 offset0:12 offset1:13
	;; [unrolled: 1-line block ×4, first 2 shown]
	v_mov_b32_e32 v225, 0
	s_waitcnt lgkmcnt(4)
	v_bfe_i32 v220, v223, 8, 8
	v_bfe_i32 v221, v223, 0, 8
	s_waitcnt lgkmcnt(2)
	v_dot4c_i32_i8_e32 v224, v150, v12
	v_mov_b32_e32 v12, 0
	s_waitcnt lgkmcnt(0)
	v_dot4c_i32_i8_e32 v12, v156, v8
	v_mov_b32_e32 v8, 0
	v_dot4c_i32_i8_e32 v8, v144, v4
	v_dot4c_i32_i8_e32 v8, v145, v5
	v_mov_b32_e32 v5, 0
	v_dot4c_i32_i8_e32 v5, v134, v0
	v_dot4c_i32_i8_e32 v8, v142, v6
	;; [unrolled: 1-line block ×7, first 2 shown]
	v_mul_lo_u32 v4, v8, v220
	v_dot4c_i32_i8_e32 v224, v146, v14
	v_mad_u64_u32 v[0:1], s[22:23], v5, v221, v[4:5]
	v_cvt_f32_i32_e32 v0, v0
	v_dot4c_i32_i8_e32 v12, v157, v9
	v_dot4c_i32_i8_e32 v224, v147, v15
	;; [unrolled: 1-line block ×3, first 2 shown]
	v_bfe_i32 v222, v223, 16, 8
	v_ashrrev_i32_e32 v223, 24, v223
	v_dot4c_i32_i8_e32 v12, v155, v11
	v_fma_f32 v2, v162, v0, 0
	v_mul_lo_u32 v0, v224, v223
	v_mov_b32_e32 v224, 0
	v_mad_u64_u32 v[0:1], s[22:23], v12, v222, v[0:1]
	v_cvt_f32_i32_e32 v0, v0
	v_mov_b32_e32 v226, 0
	v_mov_b32_e32 v227, 0
	s_and_b64 vcc, exec, s[0:1]
	v_fmac_f32_e32 v2, v163, v0
	v_or_b32_e32 v0, s20, v167
	v_lshlrev_b32_e32 v12, 2, v0
	v_lshrrev_b32_e32 v162, 1, v0
	v_fmac_f32_e32 v81, v207, v2
	ds_read_b128 v[0:3], v12 offset:33280
	ds_read_b128 v[4:7], v12 offset:33296
	;; [unrolled: 1-line block ×4, first 2 shown]
	ds_read_b64 v[162:163], v162 offset:43584
	s_waitcnt lgkmcnt(4)
	v_dot4c_i32_i8_e32 v225, v100, v0
	s_waitcnt lgkmcnt(3)
	v_dot4c_i32_i8_e32 v224, v104, v4
	v_dot4c_i32_i8_e32 v224, v105, v5
	;; [unrolled: 1-line block ×7, first 2 shown]
	s_waitcnt lgkmcnt(1)
	v_dot4c_i32_i8_e32 v226, v160, v12
	v_mul_lo_u32 v224, v224, v208
	v_dot4c_i32_i8_e32 v226, v161, v13
	v_mad_u64_u32 v[224:225], s[22:23], v225, v209, v[224:225]
	v_cvt_f32_i32_e32 v224, v224
	v_dot4c_i32_i8_e32 v227, v116, v8
	v_dot4c_i32_i8_e32 v226, v158, v14
	v_dot4c_i32_i8_e32 v227, v117, v9
	v_dot4c_i32_i8_e32 v226, v159, v15
	v_dot4c_i32_i8_e32 v227, v114, v10
	v_dot4c_i32_i8_e32 v227, v115, v11
	s_waitcnt lgkmcnt(0)
	v_fma_f32 v228, v162, v224, 0
	v_mul_lo_u32 v224, v226, v211
	v_mov_b32_e32 v226, 0
	v_mad_u64_u32 v[224:225], s[22:23], v227, v210, v[224:225]
	v_cvt_f32_i32_e32 v224, v224
	v_mov_b32_e32 v225, 0
	v_dot4c_i32_i8_e32 v225, v108, v0
	v_dot4c_i32_i8_e32 v225, v109, v1
	v_fmac_f32_e32 v228, v163, v224
	v_mov_b32_e32 v224, 0
	v_dot4c_i32_i8_e32 v224, v112, v4
	v_dot4c_i32_i8_e32 v224, v113, v5
	;; [unrolled: 1-line block ×7, first 2 shown]
	v_mul_lo_u32 v224, v224, v212
	v_mov_b32_e32 v227, 0
	v_mad_u64_u32 v[224:225], s[22:23], v225, v213, v[224:225]
	v_cvt_f32_i32_e32 v224, v224
	v_dot4c_i32_i8_e32 v226, v121, v13
	v_dot4c_i32_i8_e32 v227, v136, v8
	;; [unrolled: 1-line block ×6, first 2 shown]
	v_fmac_f32_e32 v79, v204, v228
	v_dot4c_i32_i8_e32 v227, v133, v11
	v_fma_f32 v228, v162, v224, 0
	v_mul_lo_u32 v224, v226, v215
	v_mov_b32_e32 v226, 0
	v_mad_u64_u32 v[224:225], s[22:23], v227, v214, v[224:225]
	v_cvt_f32_i32_e32 v224, v224
	v_mov_b32_e32 v225, 0
	v_dot4c_i32_i8_e32 v225, v124, v0
	v_dot4c_i32_i8_e32 v225, v125, v1
	v_fmac_f32_e32 v228, v163, v224
	v_mov_b32_e32 v224, 0
	v_dot4c_i32_i8_e32 v224, v128, v4
	v_dot4c_i32_i8_e32 v224, v129, v5
	;; [unrolled: 1-line block ×7, first 2 shown]
	v_mul_lo_u32 v224, v224, v216
	v_mov_b32_e32 v227, 0
	v_mad_u64_u32 v[224:225], s[22:23], v225, v217, v[224:225]
	v_cvt_f32_i32_e32 v224, v224
	v_dot4c_i32_i8_e32 v226, v141, v13
	v_dot4c_i32_i8_e32 v227, v152, v8
	;; [unrolled: 1-line block ×6, first 2 shown]
	v_fmac_f32_e32 v77, v205, v228
	v_dot4c_i32_i8_e32 v227, v149, v11
	v_fma_f32 v228, v162, v224, 0
	v_mul_lo_u32 v224, v226, v219
	v_mov_b32_e32 v226, 0
	v_mad_u64_u32 v[224:225], s[22:23], v227, v218, v[224:225]
	v_cvt_f32_i32_e32 v224, v224
	v_mov_b32_e32 v225, 0
	v_mov_b32_e32 v227, 0
	s_mov_b64 s[0:1], 0
	v_fmac_f32_e32 v228, v163, v224
	v_mov_b32_e32 v224, 0
	v_dot4c_i32_i8_e32 v224, v150, v12
	v_mov_b32_e32 v12, 0
	v_dot4c_i32_i8_e32 v12, v156, v8
	;; [unrolled: 2-line block ×3, first 2 shown]
	v_dot4c_i32_i8_e32 v8, v145, v5
	v_mov_b32_e32 v5, 0
	v_dot4c_i32_i8_e32 v5, v134, v0
	v_dot4c_i32_i8_e32 v8, v142, v6
	;; [unrolled: 1-line block ×7, first 2 shown]
	v_mul_lo_u32 v4, v8, v220
	v_dot4c_i32_i8_e32 v224, v146, v14
	v_mad_u64_u32 v[0:1], s[22:23], v5, v221, v[4:5]
	v_cvt_f32_i32_e32 v0, v0
	v_dot4c_i32_i8_e32 v12, v157, v9
	v_dot4c_i32_i8_e32 v224, v147, v15
	;; [unrolled: 1-line block ×4, first 2 shown]
	v_fma_f32 v2, v162, v0, 0
	v_mul_lo_u32 v0, v224, v223
	v_mov_b32_e32 v224, 0
	v_mad_u64_u32 v[0:1], s[22:23], v12, v222, v[0:1]
	v_cvt_f32_i32_e32 v0, v0
	v_fmac_f32_e32 v73, v206, v228
	v_fmac_f32_e32 v2, v163, v0
	v_or_b32_e32 v0, s20, v170
	v_lshlrev_b32_e32 v12, 2, v0
	v_lshrrev_b32_e32 v162, 1, v0
	v_fmac_f32_e32 v69, v207, v2
	ds_read_b128 v[0:3], v12 offset:33280
	ds_read_b128 v[4:7], v12 offset:33296
	;; [unrolled: 1-line block ×4, first 2 shown]
	ds_read_b64 v[162:163], v162 offset:43584
	s_waitcnt lgkmcnt(4)
	v_dot4c_i32_i8_e32 v225, v100, v0
	s_waitcnt lgkmcnt(3)
	v_dot4c_i32_i8_e32 v224, v104, v4
	v_dot4c_i32_i8_e32 v224, v105, v5
	;; [unrolled: 1-line block ×7, first 2 shown]
	s_waitcnt lgkmcnt(1)
	v_dot4c_i32_i8_e32 v226, v160, v12
	v_mul_lo_u32 v224, v224, v208
	v_dot4c_i32_i8_e32 v226, v161, v13
	v_mad_u64_u32 v[224:225], s[22:23], v225, v209, v[224:225]
	v_cvt_f32_i32_e32 v224, v224
	v_dot4c_i32_i8_e32 v227, v116, v8
	v_dot4c_i32_i8_e32 v226, v158, v14
	;; [unrolled: 1-line block ×6, first 2 shown]
	s_waitcnt lgkmcnt(0)
	v_fma_f32 v228, v162, v224, 0
	v_mul_lo_u32 v224, v226, v211
	v_mov_b32_e32 v226, 0
	v_mad_u64_u32 v[224:225], s[22:23], v227, v210, v[224:225]
	v_cvt_f32_i32_e32 v224, v224
	v_mov_b32_e32 v225, 0
	v_dot4c_i32_i8_e32 v225, v108, v0
	v_dot4c_i32_i8_e32 v225, v109, v1
	v_fmac_f32_e32 v228, v163, v224
	v_mov_b32_e32 v224, 0
	v_dot4c_i32_i8_e32 v224, v112, v4
	v_dot4c_i32_i8_e32 v224, v113, v5
	;; [unrolled: 1-line block ×7, first 2 shown]
	v_mul_lo_u32 v224, v224, v212
	v_mov_b32_e32 v227, 0
	v_mad_u64_u32 v[224:225], s[22:23], v225, v213, v[224:225]
	v_cvt_f32_i32_e32 v224, v224
	v_dot4c_i32_i8_e32 v226, v121, v13
	v_dot4c_i32_i8_e32 v227, v136, v8
	;; [unrolled: 1-line block ×6, first 2 shown]
	v_fmac_f32_e32 v67, v204, v228
	v_dot4c_i32_i8_e32 v227, v133, v11
	v_fma_f32 v228, v162, v224, 0
	v_mul_lo_u32 v224, v226, v215
	v_mov_b32_e32 v226, 0
	v_mad_u64_u32 v[224:225], s[22:23], v227, v214, v[224:225]
	v_cvt_f32_i32_e32 v224, v224
	v_mov_b32_e32 v225, 0
	v_dot4c_i32_i8_e32 v225, v124, v0
	v_dot4c_i32_i8_e32 v225, v125, v1
	v_fmac_f32_e32 v228, v163, v224
	v_mov_b32_e32 v224, 0
	v_dot4c_i32_i8_e32 v224, v128, v4
	v_dot4c_i32_i8_e32 v224, v129, v5
	;; [unrolled: 1-line block ×7, first 2 shown]
	v_mul_lo_u32 v224, v224, v216
	v_mov_b32_e32 v227, 0
	v_mad_u64_u32 v[224:225], s[22:23], v225, v217, v[224:225]
	v_cvt_f32_i32_e32 v224, v224
	v_dot4c_i32_i8_e32 v226, v141, v13
	v_dot4c_i32_i8_e32 v227, v152, v8
	;; [unrolled: 1-line block ×6, first 2 shown]
	v_fmac_f32_e32 v65, v205, v228
	v_dot4c_i32_i8_e32 v227, v149, v11
	v_fma_f32 v228, v162, v224, 0
	v_mul_lo_u32 v224, v226, v219
	v_mov_b32_e32 v226, 0
	v_mad_u64_u32 v[224:225], s[22:23], v227, v218, v[224:225]
	v_cvt_f32_i32_e32 v224, v224
	v_mov_b32_e32 v225, 0
	v_mov_b32_e32 v227, 0
	v_fmac_f32_e32 v228, v163, v224
	v_mov_b32_e32 v224, 0
	v_dot4c_i32_i8_e32 v224, v150, v12
	v_mov_b32_e32 v12, 0
	v_dot4c_i32_i8_e32 v12, v156, v8
	;; [unrolled: 2-line block ×3, first 2 shown]
	v_dot4c_i32_i8_e32 v8, v145, v5
	v_mov_b32_e32 v5, 0
	v_dot4c_i32_i8_e32 v5, v134, v0
	v_dot4c_i32_i8_e32 v8, v142, v6
	;; [unrolled: 1-line block ×7, first 2 shown]
	v_mul_lo_u32 v4, v8, v220
	v_dot4c_i32_i8_e32 v224, v146, v14
	v_mad_u64_u32 v[0:1], s[22:23], v5, v221, v[4:5]
	v_cvt_f32_i32_e32 v0, v0
	v_dot4c_i32_i8_e32 v12, v157, v9
	v_dot4c_i32_i8_e32 v224, v147, v15
	;; [unrolled: 1-line block ×4, first 2 shown]
	v_fma_f32 v2, v162, v0, 0
	v_mul_lo_u32 v0, v224, v223
	v_mov_b32_e32 v224, 0
	v_mad_u64_u32 v[0:1], s[22:23], v12, v222, v[0:1]
	v_cvt_f32_i32_e32 v0, v0
	v_fmac_f32_e32 v63, v206, v228
	v_fmac_f32_e32 v2, v163, v0
	v_or_b32_e32 v0, s20, v173
	v_lshlrev_b32_e32 v12, 2, v0
	v_lshrrev_b32_e32 v162, 1, v0
	v_fmac_f32_e32 v61, v207, v2
	ds_read_b128 v[0:3], v12 offset:33280
	ds_read_b128 v[4:7], v12 offset:33296
	;; [unrolled: 1-line block ×4, first 2 shown]
	ds_read_b64 v[162:163], v162 offset:43584
	s_waitcnt lgkmcnt(4)
	v_dot4c_i32_i8_e32 v225, v100, v0
	s_waitcnt lgkmcnt(3)
	v_dot4c_i32_i8_e32 v224, v104, v4
	v_dot4c_i32_i8_e32 v224, v105, v5
	;; [unrolled: 1-line block ×7, first 2 shown]
	s_waitcnt lgkmcnt(1)
	v_dot4c_i32_i8_e32 v226, v160, v12
	v_mul_lo_u32 v224, v224, v208
	v_dot4c_i32_i8_e32 v226, v161, v13
	v_mad_u64_u32 v[224:225], s[22:23], v225, v209, v[224:225]
	v_cvt_f32_i32_e32 v224, v224
	v_dot4c_i32_i8_e32 v227, v116, v8
	v_dot4c_i32_i8_e32 v226, v158, v14
	;; [unrolled: 1-line block ×6, first 2 shown]
	s_waitcnt lgkmcnt(0)
	v_fma_f32 v228, v162, v224, 0
	v_mul_lo_u32 v224, v226, v211
	v_mov_b32_e32 v226, 0
	v_mad_u64_u32 v[224:225], s[22:23], v227, v210, v[224:225]
	v_cvt_f32_i32_e32 v224, v224
	v_mov_b32_e32 v225, 0
	v_dot4c_i32_i8_e32 v225, v108, v0
	v_dot4c_i32_i8_e32 v225, v109, v1
	v_fmac_f32_e32 v228, v163, v224
	v_mov_b32_e32 v224, 0
	v_dot4c_i32_i8_e32 v224, v112, v4
	v_dot4c_i32_i8_e32 v224, v113, v5
	;; [unrolled: 1-line block ×7, first 2 shown]
	v_mul_lo_u32 v224, v224, v212
	v_mov_b32_e32 v227, 0
	v_mad_u64_u32 v[224:225], s[22:23], v225, v213, v[224:225]
	v_cvt_f32_i32_e32 v224, v224
	v_dot4c_i32_i8_e32 v226, v121, v13
	v_dot4c_i32_i8_e32 v227, v136, v8
	;; [unrolled: 1-line block ×6, first 2 shown]
	v_fmac_f32_e32 v57, v204, v228
	v_dot4c_i32_i8_e32 v227, v133, v11
	v_fma_f32 v228, v162, v224, 0
	v_mul_lo_u32 v224, v226, v215
	v_mov_b32_e32 v226, 0
	v_mad_u64_u32 v[224:225], s[22:23], v227, v214, v[224:225]
	v_cvt_f32_i32_e32 v224, v224
	v_mov_b32_e32 v225, 0
	v_dot4c_i32_i8_e32 v225, v124, v0
	v_dot4c_i32_i8_e32 v225, v125, v1
	v_fmac_f32_e32 v228, v163, v224
	v_mov_b32_e32 v224, 0
	v_dot4c_i32_i8_e32 v224, v128, v4
	v_dot4c_i32_i8_e32 v224, v129, v5
	;; [unrolled: 1-line block ×7, first 2 shown]
	v_mul_lo_u32 v224, v224, v216
	v_mov_b32_e32 v227, 0
	v_mad_u64_u32 v[224:225], s[22:23], v225, v217, v[224:225]
	v_cvt_f32_i32_e32 v224, v224
	v_dot4c_i32_i8_e32 v226, v141, v13
	v_dot4c_i32_i8_e32 v227, v152, v8
	;; [unrolled: 1-line block ×6, first 2 shown]
	v_fmac_f32_e32 v53, v205, v228
	v_dot4c_i32_i8_e32 v227, v149, v11
	v_fma_f32 v228, v162, v224, 0
	v_mul_lo_u32 v224, v226, v219
	v_mov_b32_e32 v226, 0
	v_mad_u64_u32 v[224:225], s[22:23], v227, v218, v[224:225]
	v_cvt_f32_i32_e32 v224, v224
	v_mov_b32_e32 v225, 0
	v_mov_b32_e32 v227, 0
	v_fmac_f32_e32 v228, v163, v224
	v_mov_b32_e32 v224, 0
	v_dot4c_i32_i8_e32 v224, v150, v12
	v_mov_b32_e32 v12, 0
	v_dot4c_i32_i8_e32 v12, v156, v8
	;; [unrolled: 2-line block ×3, first 2 shown]
	v_dot4c_i32_i8_e32 v8, v145, v5
	v_mov_b32_e32 v5, 0
	v_dot4c_i32_i8_e32 v5, v134, v0
	v_dot4c_i32_i8_e32 v8, v142, v6
	;; [unrolled: 1-line block ×7, first 2 shown]
	v_mul_lo_u32 v4, v8, v220
	v_dot4c_i32_i8_e32 v224, v146, v14
	v_mad_u64_u32 v[0:1], s[22:23], v5, v221, v[4:5]
	v_cvt_f32_i32_e32 v0, v0
	v_dot4c_i32_i8_e32 v12, v157, v9
	v_dot4c_i32_i8_e32 v224, v147, v15
	;; [unrolled: 1-line block ×4, first 2 shown]
	v_fma_f32 v2, v162, v0, 0
	v_mul_lo_u32 v0, v224, v223
	v_mov_b32_e32 v224, 0
	v_mad_u64_u32 v[0:1], s[22:23], v12, v222, v[0:1]
	v_cvt_f32_i32_e32 v0, v0
	v_fmac_f32_e32 v51, v206, v228
	v_fmac_f32_e32 v2, v163, v0
	v_or_b32_e32 v0, s20, v176
	v_lshlrev_b32_e32 v12, 2, v0
	v_lshrrev_b32_e32 v162, 1, v0
	v_fmac_f32_e32 v49, v207, v2
	ds_read_b128 v[0:3], v12 offset:33280
	ds_read_b128 v[4:7], v12 offset:33296
	;; [unrolled: 1-line block ×4, first 2 shown]
	ds_read_b64 v[162:163], v162 offset:43584
	s_waitcnt lgkmcnt(4)
	v_dot4c_i32_i8_e32 v225, v100, v0
	s_waitcnt lgkmcnt(3)
	v_dot4c_i32_i8_e32 v224, v104, v4
	v_dot4c_i32_i8_e32 v224, v105, v5
	;; [unrolled: 1-line block ×7, first 2 shown]
	s_waitcnt lgkmcnt(1)
	v_dot4c_i32_i8_e32 v226, v160, v12
	v_mul_lo_u32 v224, v224, v208
	v_dot4c_i32_i8_e32 v226, v161, v13
	v_mad_u64_u32 v[224:225], s[22:23], v225, v209, v[224:225]
	v_cvt_f32_i32_e32 v224, v224
	v_dot4c_i32_i8_e32 v227, v116, v8
	v_dot4c_i32_i8_e32 v226, v158, v14
	;; [unrolled: 1-line block ×6, first 2 shown]
	s_waitcnt lgkmcnt(0)
	v_fma_f32 v228, v162, v224, 0
	v_mul_lo_u32 v224, v226, v211
	v_mov_b32_e32 v226, 0
	v_mad_u64_u32 v[224:225], s[22:23], v227, v210, v[224:225]
	v_cvt_f32_i32_e32 v224, v224
	v_mov_b32_e32 v225, 0
	v_dot4c_i32_i8_e32 v225, v108, v0
	v_dot4c_i32_i8_e32 v225, v109, v1
	v_fmac_f32_e32 v228, v163, v224
	v_mov_b32_e32 v224, 0
	v_dot4c_i32_i8_e32 v224, v112, v4
	v_dot4c_i32_i8_e32 v224, v113, v5
	;; [unrolled: 1-line block ×7, first 2 shown]
	v_mul_lo_u32 v224, v224, v212
	v_mov_b32_e32 v227, 0
	v_mad_u64_u32 v[224:225], s[22:23], v225, v213, v[224:225]
	v_cvt_f32_i32_e32 v224, v224
	v_dot4c_i32_i8_e32 v226, v121, v13
	v_dot4c_i32_i8_e32 v227, v136, v8
	;; [unrolled: 1-line block ×6, first 2 shown]
	v_fmac_f32_e32 v47, v204, v228
	v_dot4c_i32_i8_e32 v227, v133, v11
	v_fma_f32 v228, v162, v224, 0
	v_mul_lo_u32 v224, v226, v215
	v_mov_b32_e32 v226, 0
	v_mad_u64_u32 v[224:225], s[22:23], v227, v214, v[224:225]
	v_cvt_f32_i32_e32 v224, v224
	v_mov_b32_e32 v225, 0
	v_dot4c_i32_i8_e32 v225, v124, v0
	v_dot4c_i32_i8_e32 v225, v125, v1
	v_fmac_f32_e32 v228, v163, v224
	v_mov_b32_e32 v224, 0
	v_dot4c_i32_i8_e32 v224, v128, v4
	v_dot4c_i32_i8_e32 v224, v129, v5
	;; [unrolled: 1-line block ×7, first 2 shown]
	v_mul_lo_u32 v224, v224, v216
	v_mov_b32_e32 v227, 0
	v_mad_u64_u32 v[224:225], s[22:23], v225, v217, v[224:225]
	v_cvt_f32_i32_e32 v224, v224
	v_dot4c_i32_i8_e32 v226, v141, v13
	v_dot4c_i32_i8_e32 v227, v152, v8
	v_dot4c_i32_i8_e32 v226, v138, v14
	v_dot4c_i32_i8_e32 v227, v153, v9
	v_dot4c_i32_i8_e32 v226, v139, v15
	v_dot4c_i32_i8_e32 v227, v148, v10
	v_fmac_f32_e32 v45, v205, v228
	v_dot4c_i32_i8_e32 v227, v149, v11
	v_fma_f32 v228, v162, v224, 0
	v_mul_lo_u32 v224, v226, v219
	v_mov_b32_e32 v226, 0
	v_mad_u64_u32 v[224:225], s[22:23], v227, v218, v[224:225]
	v_cvt_f32_i32_e32 v224, v224
	v_mov_b32_e32 v225, 0
	v_mov_b32_e32 v227, 0
	v_fmac_f32_e32 v228, v163, v224
	v_mov_b32_e32 v224, 0
	v_dot4c_i32_i8_e32 v224, v150, v12
	v_mov_b32_e32 v12, 0
	v_dot4c_i32_i8_e32 v12, v156, v8
	;; [unrolled: 2-line block ×3, first 2 shown]
	v_dot4c_i32_i8_e32 v8, v145, v5
	v_mov_b32_e32 v5, 0
	v_dot4c_i32_i8_e32 v5, v134, v0
	v_dot4c_i32_i8_e32 v8, v142, v6
	;; [unrolled: 1-line block ×7, first 2 shown]
	v_mul_lo_u32 v4, v8, v220
	v_dot4c_i32_i8_e32 v224, v146, v14
	v_mad_u64_u32 v[0:1], s[22:23], v5, v221, v[4:5]
	v_cvt_f32_i32_e32 v0, v0
	v_dot4c_i32_i8_e32 v12, v157, v9
	v_dot4c_i32_i8_e32 v224, v147, v15
	;; [unrolled: 1-line block ×4, first 2 shown]
	v_fma_f32 v2, v162, v0, 0
	v_mul_lo_u32 v0, v224, v223
	v_mov_b32_e32 v224, 0
	v_mad_u64_u32 v[0:1], s[22:23], v12, v222, v[0:1]
	v_cvt_f32_i32_e32 v0, v0
	v_fmac_f32_e32 v43, v206, v228
	v_fmac_f32_e32 v2, v163, v0
	v_or_b32_e32 v0, s20, v179
	v_lshlrev_b32_e32 v12, 2, v0
	v_lshrrev_b32_e32 v162, 1, v0
	v_fmac_f32_e32 v41, v207, v2
	ds_read_b128 v[0:3], v12 offset:33280
	ds_read_b128 v[4:7], v12 offset:33296
	;; [unrolled: 1-line block ×4, first 2 shown]
	ds_read_b64 v[162:163], v162 offset:43584
	s_waitcnt lgkmcnt(4)
	v_dot4c_i32_i8_e32 v225, v100, v0
	s_waitcnt lgkmcnt(3)
	v_dot4c_i32_i8_e32 v224, v104, v4
	v_dot4c_i32_i8_e32 v224, v105, v5
	;; [unrolled: 1-line block ×7, first 2 shown]
	s_waitcnt lgkmcnt(1)
	v_dot4c_i32_i8_e32 v226, v160, v12
	v_mul_lo_u32 v224, v224, v208
	v_dot4c_i32_i8_e32 v226, v161, v13
	v_mad_u64_u32 v[224:225], s[22:23], v225, v209, v[224:225]
	v_cvt_f32_i32_e32 v224, v224
	v_dot4c_i32_i8_e32 v227, v116, v8
	v_dot4c_i32_i8_e32 v226, v158, v14
	;; [unrolled: 1-line block ×6, first 2 shown]
	s_waitcnt lgkmcnt(0)
	v_fma_f32 v228, v162, v224, 0
	v_mul_lo_u32 v224, v226, v211
	v_mov_b32_e32 v226, 0
	v_mad_u64_u32 v[224:225], s[22:23], v227, v210, v[224:225]
	v_cvt_f32_i32_e32 v224, v224
	v_mov_b32_e32 v225, 0
	v_dot4c_i32_i8_e32 v225, v108, v0
	v_dot4c_i32_i8_e32 v225, v109, v1
	v_fmac_f32_e32 v228, v163, v224
	v_mov_b32_e32 v224, 0
	v_dot4c_i32_i8_e32 v224, v112, v4
	v_dot4c_i32_i8_e32 v224, v113, v5
	;; [unrolled: 1-line block ×7, first 2 shown]
	v_mul_lo_u32 v224, v224, v212
	v_mov_b32_e32 v227, 0
	v_mad_u64_u32 v[224:225], s[22:23], v225, v213, v[224:225]
	v_cvt_f32_i32_e32 v224, v224
	v_dot4c_i32_i8_e32 v226, v121, v13
	v_dot4c_i32_i8_e32 v227, v136, v8
	v_dot4c_i32_i8_e32 v226, v118, v14
	v_dot4c_i32_i8_e32 v227, v137, v9
	v_dot4c_i32_i8_e32 v226, v119, v15
	v_dot4c_i32_i8_e32 v227, v132, v10
	v_fmac_f32_e32 v39, v204, v228
	v_dot4c_i32_i8_e32 v227, v133, v11
	v_fma_f32 v228, v162, v224, 0
	v_mul_lo_u32 v224, v226, v215
	v_mov_b32_e32 v226, 0
	v_mad_u64_u32 v[224:225], s[22:23], v227, v214, v[224:225]
	v_cvt_f32_i32_e32 v224, v224
	v_mov_b32_e32 v225, 0
	v_dot4c_i32_i8_e32 v225, v124, v0
	v_dot4c_i32_i8_e32 v225, v125, v1
	v_fmac_f32_e32 v228, v163, v224
	v_mov_b32_e32 v224, 0
	v_dot4c_i32_i8_e32 v224, v128, v4
	v_dot4c_i32_i8_e32 v224, v129, v5
	;; [unrolled: 1-line block ×7, first 2 shown]
	v_mul_lo_u32 v224, v224, v216
	v_mov_b32_e32 v227, 0
	v_mad_u64_u32 v[224:225], s[22:23], v225, v217, v[224:225]
	v_cvt_f32_i32_e32 v224, v224
	v_dot4c_i32_i8_e32 v226, v141, v13
	v_dot4c_i32_i8_e32 v227, v152, v8
	;; [unrolled: 1-line block ×6, first 2 shown]
	v_fmac_f32_e32 v37, v205, v228
	v_dot4c_i32_i8_e32 v227, v149, v11
	v_fma_f32 v228, v162, v224, 0
	v_mul_lo_u32 v224, v226, v219
	v_mov_b32_e32 v226, 0
	v_mad_u64_u32 v[224:225], s[22:23], v227, v218, v[224:225]
	v_cvt_f32_i32_e32 v224, v224
	v_mov_b32_e32 v225, 0
	v_mov_b32_e32 v227, 0
	v_fmac_f32_e32 v228, v163, v224
	v_mov_b32_e32 v224, 0
	v_dot4c_i32_i8_e32 v224, v150, v12
	v_mov_b32_e32 v12, 0
	v_dot4c_i32_i8_e32 v12, v156, v8
	;; [unrolled: 2-line block ×3, first 2 shown]
	v_dot4c_i32_i8_e32 v8, v145, v5
	v_mov_b32_e32 v5, 0
	v_dot4c_i32_i8_e32 v5, v134, v0
	v_dot4c_i32_i8_e32 v8, v142, v6
	;; [unrolled: 1-line block ×7, first 2 shown]
	v_mul_lo_u32 v4, v8, v220
	v_dot4c_i32_i8_e32 v224, v146, v14
	v_mad_u64_u32 v[0:1], s[22:23], v5, v221, v[4:5]
	v_cvt_f32_i32_e32 v0, v0
	v_dot4c_i32_i8_e32 v12, v157, v9
	v_dot4c_i32_i8_e32 v224, v147, v15
	;; [unrolled: 1-line block ×4, first 2 shown]
	v_fma_f32 v2, v162, v0, 0
	v_mul_lo_u32 v0, v224, v223
	v_mov_b32_e32 v224, 0
	v_mad_u64_u32 v[0:1], s[22:23], v12, v222, v[0:1]
	v_cvt_f32_i32_e32 v0, v0
	v_fmac_f32_e32 v35, v206, v228
	v_fmac_f32_e32 v2, v163, v0
	v_or_b32_e32 v0, s20, v182
	v_lshlrev_b32_e32 v12, 2, v0
	v_lshrrev_b32_e32 v162, 1, v0
	v_fmac_f32_e32 v33, v207, v2
	ds_read_b128 v[0:3], v12 offset:33280
	ds_read_b128 v[4:7], v12 offset:33296
	;; [unrolled: 1-line block ×4, first 2 shown]
	ds_read_b64 v[162:163], v162 offset:43584
	s_waitcnt lgkmcnt(4)
	v_dot4c_i32_i8_e32 v225, v100, v0
	s_waitcnt lgkmcnt(3)
	v_dot4c_i32_i8_e32 v224, v104, v4
	v_dot4c_i32_i8_e32 v224, v105, v5
	;; [unrolled: 1-line block ×7, first 2 shown]
	s_waitcnt lgkmcnt(1)
	v_dot4c_i32_i8_e32 v226, v160, v12
	v_mul_lo_u32 v224, v224, v208
	v_dot4c_i32_i8_e32 v226, v161, v13
	v_mad_u64_u32 v[224:225], s[22:23], v225, v209, v[224:225]
	v_cvt_f32_i32_e32 v224, v224
	v_dot4c_i32_i8_e32 v227, v116, v8
	v_dot4c_i32_i8_e32 v226, v158, v14
	;; [unrolled: 1-line block ×6, first 2 shown]
	s_waitcnt lgkmcnt(0)
	v_fma_f32 v228, v162, v224, 0
	v_mul_lo_u32 v224, v226, v211
	v_mov_b32_e32 v226, 0
	v_mad_u64_u32 v[224:225], s[22:23], v227, v210, v[224:225]
	v_cvt_f32_i32_e32 v224, v224
	v_mov_b32_e32 v225, 0
	v_dot4c_i32_i8_e32 v225, v108, v0
	v_dot4c_i32_i8_e32 v225, v109, v1
	v_fmac_f32_e32 v228, v163, v224
	v_mov_b32_e32 v224, 0
	v_dot4c_i32_i8_e32 v224, v112, v4
	v_dot4c_i32_i8_e32 v224, v113, v5
	;; [unrolled: 1-line block ×7, first 2 shown]
	v_mul_lo_u32 v224, v224, v212
	v_mov_b32_e32 v227, 0
	v_mad_u64_u32 v[224:225], s[22:23], v225, v213, v[224:225]
	v_cvt_f32_i32_e32 v224, v224
	v_dot4c_i32_i8_e32 v226, v121, v13
	v_dot4c_i32_i8_e32 v227, v136, v8
	;; [unrolled: 1-line block ×6, first 2 shown]
	v_fmac_f32_e32 v31, v204, v228
	v_dot4c_i32_i8_e32 v227, v133, v11
	v_fma_f32 v228, v162, v224, 0
	v_mul_lo_u32 v224, v226, v215
	v_mov_b32_e32 v226, 0
	v_mad_u64_u32 v[224:225], s[22:23], v227, v214, v[224:225]
	v_cvt_f32_i32_e32 v224, v224
	v_mov_b32_e32 v225, 0
	v_dot4c_i32_i8_e32 v225, v124, v0
	v_dot4c_i32_i8_e32 v225, v125, v1
	v_fmac_f32_e32 v228, v163, v224
	v_mov_b32_e32 v224, 0
	v_dot4c_i32_i8_e32 v224, v128, v4
	v_dot4c_i32_i8_e32 v224, v129, v5
	;; [unrolled: 1-line block ×7, first 2 shown]
	v_mul_lo_u32 v224, v224, v216
	v_mov_b32_e32 v227, 0
	v_mad_u64_u32 v[224:225], s[22:23], v225, v217, v[224:225]
	v_cvt_f32_i32_e32 v224, v224
	v_dot4c_i32_i8_e32 v226, v141, v13
	v_dot4c_i32_i8_e32 v227, v152, v8
	;; [unrolled: 1-line block ×6, first 2 shown]
	v_fmac_f32_e32 v29, v205, v228
	v_dot4c_i32_i8_e32 v227, v149, v11
	v_fma_f32 v228, v162, v224, 0
	v_mul_lo_u32 v224, v226, v219
	s_nop 0
	v_mad_u64_u32 v[224:225], s[22:23], v227, v218, v[224:225]
	v_cvt_f32_i32_e32 v224, v224
	v_fmac_f32_e32 v228, v163, v224
	v_mov_b32_e32 v224, 0
	v_dot4c_i32_i8_e32 v224, v150, v12
	v_mov_b32_e32 v12, 0
	v_dot4c_i32_i8_e32 v12, v156, v8
	;; [unrolled: 2-line block ×3, first 2 shown]
	v_dot4c_i32_i8_e32 v8, v145, v5
	v_mov_b32_e32 v5, 0
	v_dot4c_i32_i8_e32 v5, v134, v0
	v_dot4c_i32_i8_e32 v8, v142, v6
	;; [unrolled: 1-line block ×7, first 2 shown]
	v_mul_lo_u32 v4, v8, v220
	v_dot4c_i32_i8_e32 v224, v146, v14
	v_mad_u64_u32 v[0:1], s[22:23], v5, v221, v[4:5]
	v_cvt_f32_i32_e32 v0, v0
	v_dot4c_i32_i8_e32 v12, v157, v9
	v_dot4c_i32_i8_e32 v224, v147, v15
	;; [unrolled: 1-line block ×4, first 2 shown]
	v_fma_f32 v2, v162, v0, 0
	v_mul_lo_u32 v0, v224, v223
	v_mov_b32_e32 v224, 0
	v_mad_u64_u32 v[0:1], s[22:23], v12, v222, v[0:1]
	v_cvt_f32_i32_e32 v0, v0
	v_fmac_f32_e32 v27, v206, v228
	v_fmac_f32_e32 v2, v163, v0
	v_or_b32_e32 v0, s20, v185
	v_lshlrev_b32_e32 v12, 2, v0
	v_lshrrev_b32_e32 v162, 1, v0
	v_fmac_f32_e32 v25, v207, v2
	ds_read_b128 v[0:3], v12 offset:33280
	ds_read_b128 v[4:7], v12 offset:33296
	;; [unrolled: 1-line block ×4, first 2 shown]
	ds_read_b64 v[162:163], v162 offset:43584
	s_waitcnt lgkmcnt(1)
	v_dot4c_i32_i8_e32 v224, v160, v12
	v_dot4c_i32_i8_e32 v224, v161, v13
	;; [unrolled: 1-line block ×3, first 2 shown]
	v_mov_b32_e32 v158, 0
	v_dot4c_i32_i8_e32 v158, v116, v8
	v_dot4c_i32_i8_e32 v158, v117, v9
	;; [unrolled: 1-line block ×3, first 2 shown]
	v_mov_b32_e32 v114, 0
	v_dot4c_i32_i8_e32 v114, v104, v4
	v_dot4c_i32_i8_e32 v114, v105, v5
	;; [unrolled: 1-line block ×4, first 2 shown]
	v_mov_b32_e32 v103, 0
	v_dot4c_i32_i8_e32 v103, v100, v0
	v_dot4c_i32_i8_e32 v103, v101, v1
	;; [unrolled: 1-line block ×3, first 2 shown]
	v_mul_lo_u32 v102, v114, v208
	v_dot4c_i32_i8_e32 v103, v99, v3
	v_dot4c_i32_i8_e32 v224, v159, v15
	v_dot4c_i32_i8_e32 v158, v115, v11
	v_mov_b32_e32 v101, 0
	v_mad_u64_u32 v[98:99], s[20:21], v103, v209, v[102:103]
	v_cvt_f32_i32_e32 v98, v98
	v_dot4c_i32_i8_e32 v101, v136, v8
	v_dot4c_i32_i8_e32 v101, v137, v9
	;; [unrolled: 1-line block ×3, first 2 shown]
	s_waitcnt lgkmcnt(0)
	v_fma_f32 v100, v162, v98, 0
	v_mul_lo_u32 v98, v224, v211
	v_mad_u64_u32 v[98:99], s[20:21], v158, v210, v[98:99]
	v_cvt_f32_i32_e32 v98, v98
	v_mov_b32_e32 v99, 0
	v_dot4c_i32_i8_e32 v99, v108, v0
	v_dot4c_i32_i8_e32 v99, v109, v1
	v_fmac_f32_e32 v100, v163, v98
	v_mov_b32_e32 v98, 0
	v_dot4c_i32_i8_e32 v98, v112, v4
	v_dot4c_i32_i8_e32 v98, v113, v5
	v_dot4c_i32_i8_e32 v98, v110, v6
	v_dot4c_i32_i8_e32 v98, v111, v7
	v_dot4c_i32_i8_e32 v99, v106, v2
	v_dot4c_i32_i8_e32 v99, v107, v3
	v_fmac_f32_e32 v23, v204, v100
	v_mul_lo_u32 v98, v98, v212
	v_mov_b32_e32 v100, 0
	v_mad_u64_u32 v[98:99], s[20:21], v99, v213, v[98:99]
	v_dot4c_i32_i8_e32 v100, v120, v12
	v_cvt_f32_i32_e32 v98, v98
	v_dot4c_i32_i8_e32 v100, v121, v13
	v_dot4c_i32_i8_e32 v100, v118, v14
	;; [unrolled: 1-line block ×4, first 2 shown]
	v_fma_f32 v102, v162, v98, 0
	s_nop 0
	v_mul_lo_u32 v98, v100, v215
	v_mad_u64_u32 v[98:99], s[20:21], v101, v214, v[98:99]
	v_cvt_f32_i32_e32 v98, v98
	v_mov_b32_e32 v99, 0
	v_dot4c_i32_i8_e32 v99, v124, v0
	v_dot4c_i32_i8_e32 v99, v125, v1
	v_fmac_f32_e32 v102, v163, v98
	v_mov_b32_e32 v98, 0
	v_dot4c_i32_i8_e32 v98, v128, v4
	v_dot4c_i32_i8_e32 v98, v129, v5
	;; [unrolled: 1-line block ×6, first 2 shown]
	v_mov_b32_e32 v100, 0
	v_mul_lo_u32 v98, v98, v216
	v_dot4c_i32_i8_e32 v100, v140, v12
	v_mad_u64_u32 v[98:99], s[20:21], v99, v217, v[98:99]
	v_mov_b32_e32 v101, 0
	v_cvt_f32_i32_e32 v98, v98
	v_dot4c_i32_i8_e32 v100, v141, v13
	v_dot4c_i32_i8_e32 v101, v152, v8
	;; [unrolled: 1-line block ×6, first 2 shown]
	v_fmac_f32_e32 v21, v205, v102
	v_dot4c_i32_i8_e32 v101, v149, v11
	v_fma_f32 v102, v162, v98, 0
	v_mul_lo_u32 v98, v100, v219
	s_nop 0
	v_mad_u64_u32 v[98:99], s[20:21], v101, v218, v[98:99]
	v_cvt_f32_i32_e32 v98, v98
	v_fmac_f32_e32 v102, v163, v98
	v_mov_b32_e32 v98, 0
	v_dot4c_i32_i8_e32 v98, v150, v12
	v_mov_b32_e32 v12, 0
	v_dot4c_i32_i8_e32 v12, v156, v8
	v_mov_b32_e32 v8, 0
	v_dot4c_i32_i8_e32 v8, v144, v4
	v_dot4c_i32_i8_e32 v8, v145, v5
	v_mov_b32_e32 v5, 0
	v_dot4c_i32_i8_e32 v5, v134, v0
	v_dot4c_i32_i8_e32 v8, v142, v6
	;; [unrolled: 1-line block ×7, first 2 shown]
	v_mul_lo_u32 v4, v8, v220
	v_dot4c_i32_i8_e32 v98, v146, v14
	v_mad_u64_u32 v[0:1], s[20:21], v5, v221, v[4:5]
	v_cvt_f32_i32_e32 v0, v0
	v_dot4c_i32_i8_e32 v12, v157, v9
	v_dot4c_i32_i8_e32 v98, v147, v15
	;; [unrolled: 1-line block ×4, first 2 shown]
	v_fma_f32 v2, v162, v0, 0
	v_mul_lo_u32 v0, v98, v223
	v_fmac_f32_e32 v19, v206, v102
	v_mad_u64_u32 v[0:1], s[20:21], v12, v222, v[0:1]
	v_cvt_f32_i32_e32 v0, v0
	s_mov_b32 s21, 8
	v_fmac_f32_e32 v2, v163, v0
	v_fmac_f32_e32 v17, v207, v2
	s_cbranch_vccnz .LBB156_6
; %bb.7:                                ;   in Loop: Header=BB156_5 Depth=1
	v_add_u32_e32 v14, s19, v188
	v_add_u32_e32 v0, v14, v164
	;; [unrolled: 1-line block ×6, first 2 shown]
	v_mad_i64_i32 v[0:1], s[0:1], v0, 36, v[94:95]
	v_mad_i64_i32 v[2:3], s[0:1], v2, 36, v[94:95]
	;; [unrolled: 1-line block ×4, first 2 shown]
	v_add_u32_e32 v8, v14, v175
	v_add_u32_e32 v10, v14, v178
	;; [unrolled: 1-line block ×4, first 2 shown]
	v_mad_u64_u32 v[98:99], s[0:1], v98, 36, s[2:3]
	s_barrier
	v_mad_i64_i32 v[8:9], s[0:1], v8, 36, v[94:95]
	v_mad_i64_i32 v[10:11], s[0:1], v10, 36, v[94:95]
	;; [unrolled: 1-line block ×4, first 2 shown]
	global_load_dword v98, v[98:99], off
	s_nop 0
	global_load_dword v0, v[0:1], off offset:4
	s_nop 0
	global_load_dword v1, v[2:3], off offset:4
	;; [unrolled: 2-line block ×3, first 2 shown]
	global_load_dword v3, v[6:7], off offset:4
	s_nop 0
	global_load_dword v4, v[8:9], off offset:4
	global_load_dword v5, v[10:11], off offset:4
	;; [unrolled: 1-line block ×4, first 2 shown]
	s_mov_b32 s0, 16
	s_waitcnt vmcnt(8)
	v_cvt_f32_f16_e32 v8, v98
	s_waitcnt vmcnt(7)
	ds_write_b32 v165, v0
	s_waitcnt vmcnt(6)
	ds_write_b32 v168, v1
	s_waitcnt vmcnt(5)
	ds_write_b32 v171, v2
	s_waitcnt vmcnt(4)
	ds_write_b32 v174, v3
	s_waitcnt vmcnt(3)
	ds_write_b32 v177, v4
	s_waitcnt vmcnt(2)
	ds_write_b32 v180, v5
	s_waitcnt vmcnt(1)
	ds_write_b32 v183, v6
	s_waitcnt vmcnt(0)
	ds_write_b32 v186, v7
	ds_write_b32 v91, v8
	s_waitcnt lgkmcnt(0)
	s_barrier
	ds_read_b32 v203, v187
	ds_read_b32 v204, v189 offset:128
	ds_read_b32 v205, v190 offset:256
	;; [unrolled: 1-line block ×3, first 2 shown]
.LBB156_8:                              ;   Parent Loop BB156_5 Depth=1
                                        ; =>  This Inner Loop Header: Depth=2
	s_lshl_b32 s1, s0, 1
	s_and_b32 s1, s1, 16
	v_or_b32_e32 v0, s1, v83
	v_lshlrev_b32_e32 v12, 2, v0
	s_lshr_b32 s19, s0, 1
	s_lshl_b32 s20, s0, 3
	v_lshrrev_b32_e32 v98, 1, v0
	ds_read_b128 v[0:3], v12 offset:33280
	ds_read_b128 v[4:7], v12 offset:33296
	;; [unrolled: 1-line block ×4, first 2 shown]
	ds_read_b64 v[162:163], v98 offset:43584
	v_add_u32_e32 v106, s19, v192
	v_add_u32_e32 v107, s20, v193
	ds_read2_b32 v[102:103], v107 offset0:6 offset1:7
	ds_read2_b32 v[104:105], v107 offset0:4 offset1:5
	;; [unrolled: 1-line block ×3, first 2 shown]
	ds_read2_b32 v[100:101], v107 offset1:1
	ds_read_b32 v108, v106
	ds_read2_b32 v[158:159], v107 offset0:14 offset1:15
	ds_read2_b32 v[160:161], v107 offset0:12 offset1:13
	v_mov_b32_e32 v106, 0
	ds_read2_b32 v[114:115], v107 offset0:10 offset1:11
	ds_read2_b32 v[116:117], v107 offset0:8 offset1:9
	s_waitcnt lgkmcnt(7)
	v_dot4c_i32_i8_e32 v106, v104, v4
	v_mov_b32_e32 v107, 0
	v_dot4c_i32_i8_e32 v106, v105, v5
	s_waitcnt lgkmcnt(5)
	v_dot4c_i32_i8_e32 v107, v100, v0
	v_dot4c_i32_i8_e32 v106, v102, v6
	;; [unrolled: 1-line block ×4, first 2 shown]
	s_waitcnt lgkmcnt(4)
	v_bfe_i32 v207, v108, 8, 8
	v_dot4c_i32_i8_e32 v107, v98, v2
	v_dot4c_i32_i8_e32 v107, v99, v3
	v_mul_lo_u32 v106, v106, v207
	v_bfe_i32 v208, v108, 0, 8
	v_mov_b32_e32 v109, 0
	v_mad_u64_u32 v[106:107], s[22:23], v107, v208, v[106:107]
	s_waitcnt lgkmcnt(2)
	v_dot4c_i32_i8_e32 v109, v160, v12
	v_mov_b32_e32 v110, 0
	v_cvt_f32_i32_e32 v106, v106
	v_dot4c_i32_i8_e32 v109, v161, v13
	s_waitcnt lgkmcnt(0)
	v_dot4c_i32_i8_e32 v110, v116, v8
	v_dot4c_i32_i8_e32 v109, v158, v14
	v_dot4c_i32_i8_e32 v110, v117, v9
	v_dot4c_i32_i8_e32 v109, v159, v15
	v_dot4c_i32_i8_e32 v110, v114, v10
	v_ashrrev_i32_e32 v210, 24, v108
	v_dot4c_i32_i8_e32 v110, v115, v11
	v_fma_f32 v111, v162, v106, 0
	v_bfe_i32 v209, v108, 16, 8
	v_mul_lo_u32 v106, v109, v210
	v_mad_u64_u32 v[106:107], s[22:23], v110, v209, v[106:107]
	v_cvt_f32_i32_e32 v106, v106
	v_add_u32_e32 v118, s19, v194
	v_add_u32_e32 v122, s20, v195
	v_mov_b32_e32 v123, 0
	v_fmac_f32_e32 v111, v163, v106
	v_fmac_f32_e32 v93, v203, v111
	ds_read2_b32 v[110:111], v122 offset0:6 offset1:7
	ds_read2_b32 v[112:113], v122 offset0:4 offset1:5
	;; [unrolled: 1-line block ×3, first 2 shown]
	ds_read2_b32 v[108:109], v122 offset1:1
	ds_read_b32 v124, v118
	ds_read2_b32 v[118:119], v122 offset0:14 offset1:15
	ds_read2_b32 v[120:121], v122 offset0:12 offset1:13
	ds_read2_b32 v[132:133], v122 offset0:10 offset1:11
	ds_read2_b32 v[136:137], v122 offset0:8 offset1:9
	v_mov_b32_e32 v122, 0
	s_waitcnt lgkmcnt(7)
	v_dot4c_i32_i8_e32 v122, v112, v4
	v_dot4c_i32_i8_e32 v122, v113, v5
	s_waitcnt lgkmcnt(5)
	v_dot4c_i32_i8_e32 v123, v108, v0
	v_dot4c_i32_i8_e32 v122, v110, v6
	;; [unrolled: 1-line block ×4, first 2 shown]
	s_waitcnt lgkmcnt(4)
	v_bfe_i32 v211, v124, 8, 8
	v_dot4c_i32_i8_e32 v123, v106, v2
	v_dot4c_i32_i8_e32 v123, v107, v3
	v_mul_lo_u32 v122, v122, v211
	v_bfe_i32 v212, v124, 0, 8
	v_mov_b32_e32 v125, 0
	v_mad_u64_u32 v[122:123], s[22:23], v123, v212, v[122:123]
	s_waitcnt lgkmcnt(2)
	v_dot4c_i32_i8_e32 v125, v120, v12
	v_mov_b32_e32 v126, 0
	v_cvt_f32_i32_e32 v122, v122
	v_dot4c_i32_i8_e32 v125, v121, v13
	s_waitcnt lgkmcnt(0)
	v_dot4c_i32_i8_e32 v126, v136, v8
	v_dot4c_i32_i8_e32 v125, v118, v14
	v_dot4c_i32_i8_e32 v126, v137, v9
	v_dot4c_i32_i8_e32 v125, v119, v15
	v_dot4c_i32_i8_e32 v126, v132, v10
	v_ashrrev_i32_e32 v214, 24, v124
	v_dot4c_i32_i8_e32 v126, v133, v11
	v_fma_f32 v127, v162, v122, 0
	v_bfe_i32 v213, v124, 16, 8
	v_mul_lo_u32 v122, v125, v214
	v_mad_u64_u32 v[122:123], s[22:23], v126, v213, v[122:123]
	v_cvt_f32_i32_e32 v122, v122
	v_add_u32_e32 v130, s19, v196
	v_add_u32_e32 v131, s20, v197
	v_mov_b32_e32 v135, 0
	v_fmac_f32_e32 v127, v163, v122
	v_fmac_f32_e32 v89, v204, v127
	ds_read2_b32 v[126:127], v131 offset0:6 offset1:7
	ds_read2_b32 v[128:129], v131 offset0:4 offset1:5
	;; [unrolled: 1-line block ×3, first 2 shown]
	ds_read2_b32 v[124:125], v131 offset1:1
	ds_read_b32 v134, v130
	ds_read2_b32 v[138:139], v131 offset0:14 offset1:15
	ds_read2_b32 v[140:141], v131 offset0:12 offset1:13
	v_mov_b32_e32 v130, 0
	ds_read2_b32 v[148:149], v131 offset0:10 offset1:11
	ds_read2_b32 v[152:153], v131 offset0:8 offset1:9
	s_waitcnt lgkmcnt(7)
	v_dot4c_i32_i8_e32 v130, v128, v4
	v_mov_b32_e32 v131, 0
	v_dot4c_i32_i8_e32 v130, v129, v5
	s_waitcnt lgkmcnt(5)
	v_dot4c_i32_i8_e32 v131, v124, v0
	v_dot4c_i32_i8_e32 v130, v126, v6
	;; [unrolled: 1-line block ×4, first 2 shown]
	s_waitcnt lgkmcnt(4)
	v_bfe_i32 v215, v134, 8, 8
	v_dot4c_i32_i8_e32 v131, v122, v2
	v_dot4c_i32_i8_e32 v131, v123, v3
	v_mul_lo_u32 v130, v130, v215
	v_bfe_i32 v216, v134, 0, 8
	s_waitcnt lgkmcnt(2)
	v_dot4c_i32_i8_e32 v135, v140, v12
	v_mad_u64_u32 v[130:131], s[22:23], v131, v216, v[130:131]
	v_mov_b32_e32 v142, 0
	v_cvt_f32_i32_e32 v130, v130
	v_dot4c_i32_i8_e32 v135, v141, v13
	s_waitcnt lgkmcnt(0)
	v_dot4c_i32_i8_e32 v142, v152, v8
	v_dot4c_i32_i8_e32 v135, v138, v14
	;; [unrolled: 1-line block ×5, first 2 shown]
	v_ashrrev_i32_e32 v218, 24, v134
	v_dot4c_i32_i8_e32 v142, v149, v11
	v_fma_f32 v143, v162, v130, 0
	v_bfe_i32 v217, v134, 16, 8
	v_mul_lo_u32 v130, v135, v218
	v_mad_u64_u32 v[130:131], s[22:23], v142, v217, v[130:131]
	v_cvt_f32_i32_e32 v130, v130
	v_add_u32_e32 v146, s19, v198
	v_add_u32_e32 v156, s20, v199
	v_mov_b32_e32 v223, 0
	v_fmac_f32_e32 v143, v163, v130
	v_fmac_f32_e32 v85, v205, v143
	ds_read2_b32 v[142:143], v156 offset0:6 offset1:7
	ds_read2_b32 v[144:145], v156 offset0:4 offset1:5
	;; [unrolled: 1-line block ×3, first 2 shown]
	ds_read2_b32 v[134:135], v156 offset1:1
	ds_read_b32 v222, v146
	ds_read2_b32 v[146:147], v156 offset0:14 offset1:15
	ds_read2_b32 v[150:151], v156 offset0:12 offset1:13
	ds_read2_b32 v[154:155], v156 offset0:10 offset1:11
	ds_read2_b32 v[156:157], v156 offset0:8 offset1:9
	v_mov_b32_e32 v224, 0
	s_waitcnt lgkmcnt(4)
	v_bfe_i32 v219, v222, 8, 8
	v_bfe_i32 v220, v222, 0, 8
	s_waitcnt lgkmcnt(2)
	v_dot4c_i32_i8_e32 v223, v150, v12
	v_mov_b32_e32 v12, 0
	s_waitcnt lgkmcnt(0)
	v_dot4c_i32_i8_e32 v12, v156, v8
	v_mov_b32_e32 v8, 0
	v_dot4c_i32_i8_e32 v8, v144, v4
	v_dot4c_i32_i8_e32 v8, v145, v5
	v_mov_b32_e32 v5, 0
	v_dot4c_i32_i8_e32 v5, v134, v0
	v_dot4c_i32_i8_e32 v8, v142, v6
	;; [unrolled: 1-line block ×7, first 2 shown]
	v_mul_lo_u32 v4, v8, v219
	v_dot4c_i32_i8_e32 v223, v146, v14
	v_mad_u64_u32 v[0:1], s[20:21], v5, v220, v[4:5]
	v_cvt_f32_i32_e32 v0, v0
	v_dot4c_i32_i8_e32 v12, v157, v9
	v_dot4c_i32_i8_e32 v223, v147, v15
	;; [unrolled: 1-line block ×3, first 2 shown]
	v_bfe_i32 v221, v222, 16, 8
	v_ashrrev_i32_e32 v222, 24, v222
	v_dot4c_i32_i8_e32 v12, v155, v11
	v_fma_f32 v2, v162, v0, 0
	v_mul_lo_u32 v0, v223, v222
	v_mov_b32_e32 v225, 0
	v_mad_u64_u32 v[0:1], s[20:21], v12, v221, v[0:1]
	v_cvt_f32_i32_e32 v0, v0
	v_mov_b32_e32 v223, 0
	v_mov_b32_e32 v226, 0
	v_fmac_f32_e32 v2, v163, v0
	v_or_b32_e32 v0, s1, v167
	v_lshlrev_b32_e32 v12, 2, v0
	v_lshrrev_b32_e32 v162, 1, v0
	v_fmac_f32_e32 v81, v206, v2
	ds_read_b128 v[0:3], v12 offset:33280
	ds_read_b128 v[4:7], v12 offset:33296
	;; [unrolled: 1-line block ×4, first 2 shown]
	ds_read_b64 v[162:163], v162 offset:43584
	s_waitcnt lgkmcnt(4)
	v_dot4c_i32_i8_e32 v225, v100, v0
	s_waitcnt lgkmcnt(3)
	v_dot4c_i32_i8_e32 v224, v104, v4
	v_dot4c_i32_i8_e32 v224, v105, v5
	;; [unrolled: 1-line block ×7, first 2 shown]
	s_waitcnt lgkmcnt(1)
	v_dot4c_i32_i8_e32 v223, v160, v12
	v_mul_lo_u32 v224, v224, v207
	v_dot4c_i32_i8_e32 v223, v161, v13
	v_mad_u64_u32 v[224:225], s[20:21], v225, v208, v[224:225]
	v_cvt_f32_i32_e32 v224, v224
	v_dot4c_i32_i8_e32 v226, v116, v8
	v_dot4c_i32_i8_e32 v223, v158, v14
	;; [unrolled: 1-line block ×6, first 2 shown]
	s_waitcnt lgkmcnt(0)
	v_fma_f32 v227, v162, v224, 0
	v_mul_lo_u32 v224, v223, v210
	v_mad_u64_u32 v[224:225], s[20:21], v226, v209, v[224:225]
	v_cvt_f32_i32_e32 v223, v224
	v_mov_b32_e32 v224, 0
	v_dot4c_i32_i8_e32 v224, v112, v4
	v_mov_b32_e32 v225, 0
	v_dot4c_i32_i8_e32 v224, v113, v5
	v_dot4c_i32_i8_e32 v225, v108, v0
	;; [unrolled: 1-line block ×7, first 2 shown]
	v_fmac_f32_e32 v227, v163, v223
	v_mul_lo_u32 v224, v224, v211
	v_mov_b32_e32 v223, 0
	v_mad_u64_u32 v[224:225], s[20:21], v225, v212, v[224:225]
	v_dot4c_i32_i8_e32 v223, v120, v12
	v_mov_b32_e32 v226, 0
	v_cvt_f32_i32_e32 v224, v224
	v_dot4c_i32_i8_e32 v223, v121, v13
	v_dot4c_i32_i8_e32 v226, v136, v8
	;; [unrolled: 1-line block ×6, first 2 shown]
	v_fmac_f32_e32 v79, v203, v227
	v_dot4c_i32_i8_e32 v226, v133, v11
	v_fma_f32 v227, v162, v224, 0
	v_mul_lo_u32 v224, v223, v214
	s_nop 0
	v_mad_u64_u32 v[224:225], s[20:21], v226, v213, v[224:225]
	v_cvt_f32_i32_e32 v223, v224
	v_mov_b32_e32 v224, 0
	v_dot4c_i32_i8_e32 v224, v128, v4
	v_mov_b32_e32 v225, 0
	v_dot4c_i32_i8_e32 v224, v129, v5
	v_dot4c_i32_i8_e32 v225, v124, v0
	;; [unrolled: 1-line block ×7, first 2 shown]
	v_fmac_f32_e32 v227, v163, v223
	v_mul_lo_u32 v224, v224, v215
	v_mov_b32_e32 v223, 0
	v_mad_u64_u32 v[224:225], s[20:21], v225, v216, v[224:225]
	v_dot4c_i32_i8_e32 v223, v140, v12
	v_mov_b32_e32 v226, 0
	v_cvt_f32_i32_e32 v224, v224
	v_dot4c_i32_i8_e32 v223, v141, v13
	v_dot4c_i32_i8_e32 v226, v152, v8
	;; [unrolled: 1-line block ×6, first 2 shown]
	v_fmac_f32_e32 v77, v204, v227
	v_dot4c_i32_i8_e32 v226, v149, v11
	v_fma_f32 v227, v162, v224, 0
	v_mul_lo_u32 v224, v223, v218
	s_nop 0
	v_mad_u64_u32 v[224:225], s[20:21], v226, v217, v[224:225]
	v_cvt_f32_i32_e32 v223, v224
	v_mov_b32_e32 v224, 0
	v_mov_b32_e32 v225, 0
	;; [unrolled: 1-line block ×3, first 2 shown]
	v_fmac_f32_e32 v227, v163, v223
	v_mov_b32_e32 v223, 0
	v_dot4c_i32_i8_e32 v223, v150, v12
	v_mov_b32_e32 v12, 0
	v_dot4c_i32_i8_e32 v12, v156, v8
	;; [unrolled: 2-line block ×3, first 2 shown]
	v_dot4c_i32_i8_e32 v8, v145, v5
	v_mov_b32_e32 v5, 0
	v_dot4c_i32_i8_e32 v5, v134, v0
	v_dot4c_i32_i8_e32 v8, v142, v6
	;; [unrolled: 1-line block ×7, first 2 shown]
	v_mul_lo_u32 v4, v8, v219
	v_dot4c_i32_i8_e32 v223, v146, v14
	v_mad_u64_u32 v[0:1], s[20:21], v5, v220, v[4:5]
	v_cvt_f32_i32_e32 v0, v0
	v_dot4c_i32_i8_e32 v12, v157, v9
	v_dot4c_i32_i8_e32 v223, v147, v15
	;; [unrolled: 1-line block ×4, first 2 shown]
	v_fma_f32 v2, v162, v0, 0
	v_mul_lo_u32 v0, v223, v222
	v_mov_b32_e32 v223, 0
	v_mad_u64_u32 v[0:1], s[20:21], v12, v221, v[0:1]
	v_cvt_f32_i32_e32 v0, v0
	v_fmac_f32_e32 v73, v205, v227
	v_fmac_f32_e32 v2, v163, v0
	v_or_b32_e32 v0, s1, v170
	v_lshlrev_b32_e32 v12, 2, v0
	v_lshrrev_b32_e32 v162, 1, v0
	v_fmac_f32_e32 v69, v206, v2
	ds_read_b128 v[0:3], v12 offset:33280
	ds_read_b128 v[4:7], v12 offset:33296
	;; [unrolled: 1-line block ×4, first 2 shown]
	ds_read_b64 v[162:163], v162 offset:43584
	s_waitcnt lgkmcnt(4)
	v_dot4c_i32_i8_e32 v225, v100, v0
	s_waitcnt lgkmcnt(3)
	v_dot4c_i32_i8_e32 v224, v104, v4
	v_dot4c_i32_i8_e32 v224, v105, v5
	;; [unrolled: 1-line block ×7, first 2 shown]
	s_waitcnt lgkmcnt(1)
	v_dot4c_i32_i8_e32 v223, v160, v12
	v_mul_lo_u32 v224, v224, v207
	v_dot4c_i32_i8_e32 v223, v161, v13
	v_mad_u64_u32 v[224:225], s[20:21], v225, v208, v[224:225]
	v_cvt_f32_i32_e32 v224, v224
	v_dot4c_i32_i8_e32 v226, v116, v8
	v_dot4c_i32_i8_e32 v223, v158, v14
	;; [unrolled: 1-line block ×6, first 2 shown]
	s_waitcnt lgkmcnt(0)
	v_fma_f32 v227, v162, v224, 0
	v_mul_lo_u32 v224, v223, v210
	v_mad_u64_u32 v[224:225], s[20:21], v226, v209, v[224:225]
	v_cvt_f32_i32_e32 v223, v224
	v_mov_b32_e32 v224, 0
	v_dot4c_i32_i8_e32 v224, v112, v4
	v_mov_b32_e32 v225, 0
	v_dot4c_i32_i8_e32 v224, v113, v5
	v_dot4c_i32_i8_e32 v225, v108, v0
	;; [unrolled: 1-line block ×7, first 2 shown]
	v_fmac_f32_e32 v227, v163, v223
	v_mul_lo_u32 v224, v224, v211
	v_mov_b32_e32 v223, 0
	v_mad_u64_u32 v[224:225], s[20:21], v225, v212, v[224:225]
	v_dot4c_i32_i8_e32 v223, v120, v12
	v_mov_b32_e32 v226, 0
	v_cvt_f32_i32_e32 v224, v224
	v_dot4c_i32_i8_e32 v223, v121, v13
	v_dot4c_i32_i8_e32 v226, v136, v8
	;; [unrolled: 1-line block ×6, first 2 shown]
	v_fmac_f32_e32 v67, v203, v227
	v_dot4c_i32_i8_e32 v226, v133, v11
	v_fma_f32 v227, v162, v224, 0
	v_mul_lo_u32 v224, v223, v214
	s_nop 0
	v_mad_u64_u32 v[224:225], s[20:21], v226, v213, v[224:225]
	v_cvt_f32_i32_e32 v223, v224
	v_mov_b32_e32 v224, 0
	v_dot4c_i32_i8_e32 v224, v128, v4
	v_mov_b32_e32 v225, 0
	v_dot4c_i32_i8_e32 v224, v129, v5
	v_dot4c_i32_i8_e32 v225, v124, v0
	;; [unrolled: 1-line block ×7, first 2 shown]
	v_fmac_f32_e32 v227, v163, v223
	v_mul_lo_u32 v224, v224, v215
	v_mov_b32_e32 v223, 0
	v_mad_u64_u32 v[224:225], s[20:21], v225, v216, v[224:225]
	v_dot4c_i32_i8_e32 v223, v140, v12
	v_mov_b32_e32 v226, 0
	v_cvt_f32_i32_e32 v224, v224
	v_dot4c_i32_i8_e32 v223, v141, v13
	v_dot4c_i32_i8_e32 v226, v152, v8
	;; [unrolled: 1-line block ×6, first 2 shown]
	v_fmac_f32_e32 v65, v204, v227
	v_dot4c_i32_i8_e32 v226, v149, v11
	v_fma_f32 v227, v162, v224, 0
	v_mul_lo_u32 v224, v223, v218
	s_nop 0
	v_mad_u64_u32 v[224:225], s[20:21], v226, v217, v[224:225]
	v_cvt_f32_i32_e32 v223, v224
	v_mov_b32_e32 v224, 0
	v_mov_b32_e32 v225, 0
	;; [unrolled: 1-line block ×3, first 2 shown]
	v_fmac_f32_e32 v227, v163, v223
	v_mov_b32_e32 v223, 0
	v_dot4c_i32_i8_e32 v223, v150, v12
	v_mov_b32_e32 v12, 0
	v_dot4c_i32_i8_e32 v12, v156, v8
	;; [unrolled: 2-line block ×3, first 2 shown]
	v_dot4c_i32_i8_e32 v8, v145, v5
	v_mov_b32_e32 v5, 0
	v_dot4c_i32_i8_e32 v5, v134, v0
	v_dot4c_i32_i8_e32 v8, v142, v6
	;; [unrolled: 1-line block ×7, first 2 shown]
	v_mul_lo_u32 v4, v8, v219
	v_dot4c_i32_i8_e32 v223, v146, v14
	v_mad_u64_u32 v[0:1], s[20:21], v5, v220, v[4:5]
	v_cvt_f32_i32_e32 v0, v0
	v_dot4c_i32_i8_e32 v12, v157, v9
	v_dot4c_i32_i8_e32 v223, v147, v15
	;; [unrolled: 1-line block ×4, first 2 shown]
	v_fma_f32 v2, v162, v0, 0
	v_mul_lo_u32 v0, v223, v222
	v_mov_b32_e32 v223, 0
	v_mad_u64_u32 v[0:1], s[20:21], v12, v221, v[0:1]
	v_cvt_f32_i32_e32 v0, v0
	v_fmac_f32_e32 v63, v205, v227
	v_fmac_f32_e32 v2, v163, v0
	v_or_b32_e32 v0, s1, v173
	v_lshlrev_b32_e32 v12, 2, v0
	v_lshrrev_b32_e32 v162, 1, v0
	v_fmac_f32_e32 v61, v206, v2
	ds_read_b128 v[0:3], v12 offset:33280
	ds_read_b128 v[4:7], v12 offset:33296
	;; [unrolled: 1-line block ×4, first 2 shown]
	ds_read_b64 v[162:163], v162 offset:43584
	s_waitcnt lgkmcnt(4)
	v_dot4c_i32_i8_e32 v225, v100, v0
	s_waitcnt lgkmcnt(3)
	v_dot4c_i32_i8_e32 v224, v104, v4
	v_dot4c_i32_i8_e32 v224, v105, v5
	;; [unrolled: 1-line block ×7, first 2 shown]
	s_waitcnt lgkmcnt(1)
	v_dot4c_i32_i8_e32 v223, v160, v12
	v_mul_lo_u32 v224, v224, v207
	v_dot4c_i32_i8_e32 v223, v161, v13
	v_mad_u64_u32 v[224:225], s[20:21], v225, v208, v[224:225]
	v_cvt_f32_i32_e32 v224, v224
	v_dot4c_i32_i8_e32 v226, v116, v8
	v_dot4c_i32_i8_e32 v223, v158, v14
	;; [unrolled: 1-line block ×6, first 2 shown]
	s_waitcnt lgkmcnt(0)
	v_fma_f32 v227, v162, v224, 0
	v_mul_lo_u32 v224, v223, v210
	v_mad_u64_u32 v[224:225], s[20:21], v226, v209, v[224:225]
	v_cvt_f32_i32_e32 v223, v224
	v_mov_b32_e32 v224, 0
	v_dot4c_i32_i8_e32 v224, v112, v4
	v_mov_b32_e32 v225, 0
	v_dot4c_i32_i8_e32 v224, v113, v5
	v_dot4c_i32_i8_e32 v225, v108, v0
	;; [unrolled: 1-line block ×7, first 2 shown]
	v_fmac_f32_e32 v227, v163, v223
	v_mul_lo_u32 v224, v224, v211
	v_mov_b32_e32 v223, 0
	v_mad_u64_u32 v[224:225], s[20:21], v225, v212, v[224:225]
	v_dot4c_i32_i8_e32 v223, v120, v12
	v_mov_b32_e32 v226, 0
	v_cvt_f32_i32_e32 v224, v224
	v_dot4c_i32_i8_e32 v223, v121, v13
	v_dot4c_i32_i8_e32 v226, v136, v8
	;; [unrolled: 1-line block ×6, first 2 shown]
	v_fmac_f32_e32 v57, v203, v227
	v_dot4c_i32_i8_e32 v226, v133, v11
	v_fma_f32 v227, v162, v224, 0
	v_mul_lo_u32 v224, v223, v214
	s_nop 0
	v_mad_u64_u32 v[224:225], s[20:21], v226, v213, v[224:225]
	v_cvt_f32_i32_e32 v223, v224
	v_mov_b32_e32 v224, 0
	v_dot4c_i32_i8_e32 v224, v128, v4
	v_mov_b32_e32 v225, 0
	v_dot4c_i32_i8_e32 v224, v129, v5
	v_dot4c_i32_i8_e32 v225, v124, v0
	;; [unrolled: 1-line block ×7, first 2 shown]
	v_fmac_f32_e32 v227, v163, v223
	v_mul_lo_u32 v224, v224, v215
	v_mov_b32_e32 v223, 0
	v_mad_u64_u32 v[224:225], s[20:21], v225, v216, v[224:225]
	v_dot4c_i32_i8_e32 v223, v140, v12
	v_mov_b32_e32 v226, 0
	v_cvt_f32_i32_e32 v224, v224
	v_dot4c_i32_i8_e32 v223, v141, v13
	v_dot4c_i32_i8_e32 v226, v152, v8
	;; [unrolled: 1-line block ×6, first 2 shown]
	v_fmac_f32_e32 v53, v204, v227
	v_dot4c_i32_i8_e32 v226, v149, v11
	v_fma_f32 v227, v162, v224, 0
	v_mul_lo_u32 v224, v223, v218
	s_nop 0
	v_mad_u64_u32 v[224:225], s[20:21], v226, v217, v[224:225]
	v_cvt_f32_i32_e32 v223, v224
	v_mov_b32_e32 v224, 0
	v_mov_b32_e32 v225, 0
	;; [unrolled: 1-line block ×3, first 2 shown]
	v_fmac_f32_e32 v227, v163, v223
	v_mov_b32_e32 v223, 0
	v_dot4c_i32_i8_e32 v223, v150, v12
	v_mov_b32_e32 v12, 0
	v_dot4c_i32_i8_e32 v12, v156, v8
	;; [unrolled: 2-line block ×3, first 2 shown]
	v_dot4c_i32_i8_e32 v8, v145, v5
	v_mov_b32_e32 v5, 0
	v_dot4c_i32_i8_e32 v5, v134, v0
	v_dot4c_i32_i8_e32 v8, v142, v6
	;; [unrolled: 1-line block ×7, first 2 shown]
	v_mul_lo_u32 v4, v8, v219
	v_dot4c_i32_i8_e32 v223, v146, v14
	v_mad_u64_u32 v[0:1], s[20:21], v5, v220, v[4:5]
	v_cvt_f32_i32_e32 v0, v0
	v_dot4c_i32_i8_e32 v12, v157, v9
	v_dot4c_i32_i8_e32 v223, v147, v15
	;; [unrolled: 1-line block ×4, first 2 shown]
	v_fma_f32 v2, v162, v0, 0
	v_mul_lo_u32 v0, v223, v222
	v_mov_b32_e32 v223, 0
	v_mad_u64_u32 v[0:1], s[20:21], v12, v221, v[0:1]
	v_cvt_f32_i32_e32 v0, v0
	v_fmac_f32_e32 v51, v205, v227
	v_fmac_f32_e32 v2, v163, v0
	v_or_b32_e32 v0, s1, v176
	v_lshlrev_b32_e32 v12, 2, v0
	v_lshrrev_b32_e32 v162, 1, v0
	v_fmac_f32_e32 v49, v206, v2
	ds_read_b128 v[0:3], v12 offset:33280
	ds_read_b128 v[4:7], v12 offset:33296
	;; [unrolled: 1-line block ×4, first 2 shown]
	ds_read_b64 v[162:163], v162 offset:43584
	s_waitcnt lgkmcnt(4)
	v_dot4c_i32_i8_e32 v225, v100, v0
	s_waitcnt lgkmcnt(3)
	v_dot4c_i32_i8_e32 v224, v104, v4
	v_dot4c_i32_i8_e32 v224, v105, v5
	;; [unrolled: 1-line block ×7, first 2 shown]
	s_waitcnt lgkmcnt(1)
	v_dot4c_i32_i8_e32 v223, v160, v12
	v_mul_lo_u32 v224, v224, v207
	v_dot4c_i32_i8_e32 v223, v161, v13
	v_mad_u64_u32 v[224:225], s[20:21], v225, v208, v[224:225]
	v_cvt_f32_i32_e32 v224, v224
	v_dot4c_i32_i8_e32 v226, v116, v8
	v_dot4c_i32_i8_e32 v223, v158, v14
	;; [unrolled: 1-line block ×6, first 2 shown]
	s_waitcnt lgkmcnt(0)
	v_fma_f32 v227, v162, v224, 0
	v_mul_lo_u32 v224, v223, v210
	v_mad_u64_u32 v[224:225], s[20:21], v226, v209, v[224:225]
	v_cvt_f32_i32_e32 v223, v224
	v_mov_b32_e32 v224, 0
	v_dot4c_i32_i8_e32 v224, v112, v4
	v_mov_b32_e32 v225, 0
	v_dot4c_i32_i8_e32 v224, v113, v5
	v_dot4c_i32_i8_e32 v225, v108, v0
	;; [unrolled: 1-line block ×7, first 2 shown]
	v_fmac_f32_e32 v227, v163, v223
	v_mul_lo_u32 v224, v224, v211
	v_mov_b32_e32 v223, 0
	v_mad_u64_u32 v[224:225], s[20:21], v225, v212, v[224:225]
	v_dot4c_i32_i8_e32 v223, v120, v12
	v_mov_b32_e32 v226, 0
	v_cvt_f32_i32_e32 v224, v224
	v_dot4c_i32_i8_e32 v223, v121, v13
	v_dot4c_i32_i8_e32 v226, v136, v8
	;; [unrolled: 1-line block ×6, first 2 shown]
	v_fmac_f32_e32 v47, v203, v227
	v_dot4c_i32_i8_e32 v226, v133, v11
	v_fma_f32 v227, v162, v224, 0
	v_mul_lo_u32 v224, v223, v214
	s_nop 0
	v_mad_u64_u32 v[224:225], s[20:21], v226, v213, v[224:225]
	v_cvt_f32_i32_e32 v223, v224
	v_mov_b32_e32 v224, 0
	v_dot4c_i32_i8_e32 v224, v128, v4
	v_mov_b32_e32 v225, 0
	v_dot4c_i32_i8_e32 v224, v129, v5
	v_dot4c_i32_i8_e32 v225, v124, v0
	;; [unrolled: 1-line block ×7, first 2 shown]
	v_fmac_f32_e32 v227, v163, v223
	v_mul_lo_u32 v224, v224, v215
	v_mov_b32_e32 v223, 0
	v_mad_u64_u32 v[224:225], s[20:21], v225, v216, v[224:225]
	v_dot4c_i32_i8_e32 v223, v140, v12
	v_mov_b32_e32 v226, 0
	v_cvt_f32_i32_e32 v224, v224
	v_dot4c_i32_i8_e32 v223, v141, v13
	v_dot4c_i32_i8_e32 v226, v152, v8
	v_dot4c_i32_i8_e32 v223, v138, v14
	v_dot4c_i32_i8_e32 v226, v153, v9
	v_dot4c_i32_i8_e32 v223, v139, v15
	v_dot4c_i32_i8_e32 v226, v148, v10
	v_fmac_f32_e32 v45, v204, v227
	v_dot4c_i32_i8_e32 v226, v149, v11
	v_fma_f32 v227, v162, v224, 0
	v_mul_lo_u32 v224, v223, v218
	s_nop 0
	v_mad_u64_u32 v[224:225], s[20:21], v226, v217, v[224:225]
	v_cvt_f32_i32_e32 v223, v224
	v_mov_b32_e32 v224, 0
	v_mov_b32_e32 v225, 0
	;; [unrolled: 1-line block ×3, first 2 shown]
	v_fmac_f32_e32 v227, v163, v223
	v_mov_b32_e32 v223, 0
	v_dot4c_i32_i8_e32 v223, v150, v12
	v_mov_b32_e32 v12, 0
	v_dot4c_i32_i8_e32 v12, v156, v8
	;; [unrolled: 2-line block ×3, first 2 shown]
	v_dot4c_i32_i8_e32 v8, v145, v5
	v_mov_b32_e32 v5, 0
	v_dot4c_i32_i8_e32 v5, v134, v0
	v_dot4c_i32_i8_e32 v8, v142, v6
	;; [unrolled: 1-line block ×7, first 2 shown]
	v_mul_lo_u32 v4, v8, v219
	v_dot4c_i32_i8_e32 v223, v146, v14
	v_mad_u64_u32 v[0:1], s[20:21], v5, v220, v[4:5]
	v_cvt_f32_i32_e32 v0, v0
	v_dot4c_i32_i8_e32 v12, v157, v9
	v_dot4c_i32_i8_e32 v223, v147, v15
	;; [unrolled: 1-line block ×4, first 2 shown]
	v_fma_f32 v2, v162, v0, 0
	v_mul_lo_u32 v0, v223, v222
	v_mov_b32_e32 v223, 0
	v_mad_u64_u32 v[0:1], s[20:21], v12, v221, v[0:1]
	v_cvt_f32_i32_e32 v0, v0
	v_fmac_f32_e32 v43, v205, v227
	v_fmac_f32_e32 v2, v163, v0
	v_or_b32_e32 v0, s1, v179
	v_lshlrev_b32_e32 v12, 2, v0
	v_lshrrev_b32_e32 v162, 1, v0
	v_fmac_f32_e32 v41, v206, v2
	ds_read_b128 v[0:3], v12 offset:33280
	ds_read_b128 v[4:7], v12 offset:33296
	;; [unrolled: 1-line block ×4, first 2 shown]
	ds_read_b64 v[162:163], v162 offset:43584
	s_waitcnt lgkmcnt(4)
	v_dot4c_i32_i8_e32 v225, v100, v0
	s_waitcnt lgkmcnt(3)
	v_dot4c_i32_i8_e32 v224, v104, v4
	v_dot4c_i32_i8_e32 v224, v105, v5
	;; [unrolled: 1-line block ×7, first 2 shown]
	s_waitcnt lgkmcnt(1)
	v_dot4c_i32_i8_e32 v223, v160, v12
	v_mul_lo_u32 v224, v224, v207
	v_dot4c_i32_i8_e32 v223, v161, v13
	v_mad_u64_u32 v[224:225], s[20:21], v225, v208, v[224:225]
	v_cvt_f32_i32_e32 v224, v224
	v_dot4c_i32_i8_e32 v226, v116, v8
	v_dot4c_i32_i8_e32 v223, v158, v14
	;; [unrolled: 1-line block ×6, first 2 shown]
	s_waitcnt lgkmcnt(0)
	v_fma_f32 v227, v162, v224, 0
	v_mul_lo_u32 v224, v223, v210
	v_mad_u64_u32 v[224:225], s[20:21], v226, v209, v[224:225]
	v_cvt_f32_i32_e32 v223, v224
	v_mov_b32_e32 v224, 0
	v_dot4c_i32_i8_e32 v224, v112, v4
	v_mov_b32_e32 v225, 0
	v_dot4c_i32_i8_e32 v224, v113, v5
	v_dot4c_i32_i8_e32 v225, v108, v0
	;; [unrolled: 1-line block ×7, first 2 shown]
	v_fmac_f32_e32 v227, v163, v223
	v_mul_lo_u32 v224, v224, v211
	v_mov_b32_e32 v223, 0
	v_mad_u64_u32 v[224:225], s[20:21], v225, v212, v[224:225]
	v_dot4c_i32_i8_e32 v223, v120, v12
	v_mov_b32_e32 v226, 0
	v_cvt_f32_i32_e32 v224, v224
	v_dot4c_i32_i8_e32 v223, v121, v13
	v_dot4c_i32_i8_e32 v226, v136, v8
	;; [unrolled: 1-line block ×6, first 2 shown]
	v_fmac_f32_e32 v39, v203, v227
	v_dot4c_i32_i8_e32 v226, v133, v11
	v_fma_f32 v227, v162, v224, 0
	v_mul_lo_u32 v224, v223, v214
	s_nop 0
	v_mad_u64_u32 v[224:225], s[20:21], v226, v213, v[224:225]
	v_cvt_f32_i32_e32 v223, v224
	v_mov_b32_e32 v224, 0
	v_dot4c_i32_i8_e32 v224, v128, v4
	v_mov_b32_e32 v225, 0
	v_dot4c_i32_i8_e32 v224, v129, v5
	v_dot4c_i32_i8_e32 v225, v124, v0
	;; [unrolled: 1-line block ×7, first 2 shown]
	v_fmac_f32_e32 v227, v163, v223
	v_mul_lo_u32 v224, v224, v215
	v_mov_b32_e32 v223, 0
	v_mad_u64_u32 v[224:225], s[20:21], v225, v216, v[224:225]
	v_dot4c_i32_i8_e32 v223, v140, v12
	v_mov_b32_e32 v226, 0
	v_cvt_f32_i32_e32 v224, v224
	v_dot4c_i32_i8_e32 v223, v141, v13
	v_dot4c_i32_i8_e32 v226, v152, v8
	;; [unrolled: 1-line block ×6, first 2 shown]
	v_fmac_f32_e32 v37, v204, v227
	v_dot4c_i32_i8_e32 v226, v149, v11
	v_fma_f32 v227, v162, v224, 0
	v_mul_lo_u32 v224, v223, v218
	s_nop 0
	v_mad_u64_u32 v[224:225], s[20:21], v226, v217, v[224:225]
	v_cvt_f32_i32_e32 v223, v224
	v_mov_b32_e32 v224, 0
	v_mov_b32_e32 v225, 0
	;; [unrolled: 1-line block ×3, first 2 shown]
	v_fmac_f32_e32 v227, v163, v223
	v_mov_b32_e32 v223, 0
	v_dot4c_i32_i8_e32 v223, v150, v12
	v_mov_b32_e32 v12, 0
	v_dot4c_i32_i8_e32 v12, v156, v8
	;; [unrolled: 2-line block ×3, first 2 shown]
	v_dot4c_i32_i8_e32 v8, v145, v5
	v_mov_b32_e32 v5, 0
	v_dot4c_i32_i8_e32 v5, v134, v0
	v_dot4c_i32_i8_e32 v8, v142, v6
	;; [unrolled: 1-line block ×7, first 2 shown]
	v_mul_lo_u32 v4, v8, v219
	v_dot4c_i32_i8_e32 v223, v146, v14
	v_mad_u64_u32 v[0:1], s[20:21], v5, v220, v[4:5]
	v_cvt_f32_i32_e32 v0, v0
	v_dot4c_i32_i8_e32 v12, v157, v9
	v_dot4c_i32_i8_e32 v223, v147, v15
	;; [unrolled: 1-line block ×4, first 2 shown]
	v_fma_f32 v2, v162, v0, 0
	v_mul_lo_u32 v0, v223, v222
	v_mov_b32_e32 v223, 0
	v_mad_u64_u32 v[0:1], s[20:21], v12, v221, v[0:1]
	v_cvt_f32_i32_e32 v0, v0
	v_fmac_f32_e32 v35, v205, v227
	v_fmac_f32_e32 v2, v163, v0
	v_or_b32_e32 v0, s1, v182
	v_lshlrev_b32_e32 v12, 2, v0
	v_lshrrev_b32_e32 v162, 1, v0
	v_fmac_f32_e32 v33, v206, v2
	ds_read_b128 v[0:3], v12 offset:33280
	ds_read_b128 v[4:7], v12 offset:33296
	;; [unrolled: 1-line block ×4, first 2 shown]
	ds_read_b64 v[162:163], v162 offset:43584
	s_waitcnt lgkmcnt(4)
	v_dot4c_i32_i8_e32 v225, v100, v0
	s_waitcnt lgkmcnt(3)
	v_dot4c_i32_i8_e32 v224, v104, v4
	v_dot4c_i32_i8_e32 v224, v105, v5
	;; [unrolled: 1-line block ×7, first 2 shown]
	s_waitcnt lgkmcnt(1)
	v_dot4c_i32_i8_e32 v223, v160, v12
	v_mul_lo_u32 v224, v224, v207
	v_dot4c_i32_i8_e32 v223, v161, v13
	v_mad_u64_u32 v[224:225], s[20:21], v225, v208, v[224:225]
	v_cvt_f32_i32_e32 v224, v224
	v_dot4c_i32_i8_e32 v226, v116, v8
	v_dot4c_i32_i8_e32 v223, v158, v14
	;; [unrolled: 1-line block ×6, first 2 shown]
	s_waitcnt lgkmcnt(0)
	v_fma_f32 v227, v162, v224, 0
	v_mul_lo_u32 v224, v223, v210
	v_mad_u64_u32 v[224:225], s[20:21], v226, v209, v[224:225]
	v_cvt_f32_i32_e32 v223, v224
	v_mov_b32_e32 v224, 0
	v_dot4c_i32_i8_e32 v224, v112, v4
	v_mov_b32_e32 v225, 0
	v_dot4c_i32_i8_e32 v224, v113, v5
	v_dot4c_i32_i8_e32 v225, v108, v0
	;; [unrolled: 1-line block ×7, first 2 shown]
	v_fmac_f32_e32 v227, v163, v223
	v_mul_lo_u32 v224, v224, v211
	v_mov_b32_e32 v223, 0
	v_mad_u64_u32 v[224:225], s[20:21], v225, v212, v[224:225]
	v_dot4c_i32_i8_e32 v223, v120, v12
	v_mov_b32_e32 v226, 0
	v_cvt_f32_i32_e32 v224, v224
	v_dot4c_i32_i8_e32 v223, v121, v13
	v_dot4c_i32_i8_e32 v226, v136, v8
	;; [unrolled: 1-line block ×6, first 2 shown]
	v_fmac_f32_e32 v31, v203, v227
	v_dot4c_i32_i8_e32 v226, v133, v11
	v_fma_f32 v227, v162, v224, 0
	v_mul_lo_u32 v224, v223, v214
	s_nop 0
	v_mad_u64_u32 v[224:225], s[20:21], v226, v213, v[224:225]
	v_cvt_f32_i32_e32 v223, v224
	v_mov_b32_e32 v224, 0
	v_dot4c_i32_i8_e32 v224, v128, v4
	v_mov_b32_e32 v225, 0
	v_dot4c_i32_i8_e32 v224, v129, v5
	v_dot4c_i32_i8_e32 v225, v124, v0
	;; [unrolled: 1-line block ×7, first 2 shown]
	v_fmac_f32_e32 v227, v163, v223
	v_mul_lo_u32 v224, v224, v215
	v_mov_b32_e32 v223, 0
	v_mad_u64_u32 v[224:225], s[20:21], v225, v216, v[224:225]
	v_dot4c_i32_i8_e32 v223, v140, v12
	v_mov_b32_e32 v226, 0
	v_cvt_f32_i32_e32 v224, v224
	v_dot4c_i32_i8_e32 v223, v141, v13
	v_dot4c_i32_i8_e32 v226, v152, v8
	;; [unrolled: 1-line block ×6, first 2 shown]
	v_fmac_f32_e32 v29, v204, v227
	v_dot4c_i32_i8_e32 v226, v149, v11
	v_fma_f32 v227, v162, v224, 0
	v_mul_lo_u32 v224, v223, v218
	s_nop 0
	v_mad_u64_u32 v[224:225], s[20:21], v226, v217, v[224:225]
	v_cvt_f32_i32_e32 v223, v224
	v_fmac_f32_e32 v227, v163, v223
	v_mov_b32_e32 v223, 0
	v_dot4c_i32_i8_e32 v223, v150, v12
	v_mov_b32_e32 v12, 0
	v_dot4c_i32_i8_e32 v12, v156, v8
	v_mov_b32_e32 v8, 0
	v_dot4c_i32_i8_e32 v8, v144, v4
	v_dot4c_i32_i8_e32 v8, v145, v5
	v_mov_b32_e32 v5, 0
	v_dot4c_i32_i8_e32 v5, v134, v0
	v_dot4c_i32_i8_e32 v8, v142, v6
	;; [unrolled: 1-line block ×7, first 2 shown]
	v_mul_lo_u32 v4, v8, v219
	v_dot4c_i32_i8_e32 v223, v146, v14
	v_mad_u64_u32 v[0:1], s[20:21], v5, v220, v[4:5]
	v_cvt_f32_i32_e32 v0, v0
	v_dot4c_i32_i8_e32 v12, v157, v9
	v_dot4c_i32_i8_e32 v223, v147, v15
	;; [unrolled: 1-line block ×4, first 2 shown]
	v_fma_f32 v2, v162, v0, 0
	v_mul_lo_u32 v0, v223, v222
	v_mov_b32_e32 v223, 0
	v_mad_u64_u32 v[0:1], s[20:21], v12, v221, v[0:1]
	v_cvt_f32_i32_e32 v0, v0
	v_fmac_f32_e32 v27, v205, v227
	v_fmac_f32_e32 v2, v163, v0
	v_or_b32_e32 v0, s1, v185
	v_lshlrev_b32_e32 v12, 2, v0
	v_lshrrev_b32_e32 v162, 1, v0
	v_fmac_f32_e32 v25, v206, v2
	ds_read_b128 v[0:3], v12 offset:33280
	ds_read_b128 v[4:7], v12 offset:33296
	ds_read_b128 v[8:11], v12 offset:33312
	ds_read_b128 v[12:15], v12 offset:33328
	ds_read_b64 v[162:163], v162 offset:43584
	s_add_i32 s1, s0, 8
	s_cmp_lt_u32 s0, 24
	s_mov_b32 s0, s1
	s_waitcnt lgkmcnt(1)
	v_dot4c_i32_i8_e32 v223, v160, v12
	v_dot4c_i32_i8_e32 v223, v161, v13
	;; [unrolled: 1-line block ×3, first 2 shown]
	v_mov_b32_e32 v158, 0
	v_dot4c_i32_i8_e32 v158, v116, v8
	v_dot4c_i32_i8_e32 v158, v117, v9
	v_dot4c_i32_i8_e32 v158, v114, v10
	v_mov_b32_e32 v114, 0
	v_dot4c_i32_i8_e32 v114, v104, v4
	v_dot4c_i32_i8_e32 v114, v105, v5
	;; [unrolled: 1-line block ×4, first 2 shown]
	v_mov_b32_e32 v103, 0
	v_dot4c_i32_i8_e32 v103, v100, v0
	v_dot4c_i32_i8_e32 v103, v101, v1
	;; [unrolled: 1-line block ×3, first 2 shown]
	v_mul_lo_u32 v102, v114, v207
	v_dot4c_i32_i8_e32 v103, v99, v3
	v_dot4c_i32_i8_e32 v223, v159, v15
	;; [unrolled: 1-line block ×3, first 2 shown]
	v_mov_b32_e32 v101, 0
	v_mad_u64_u32 v[98:99], s[20:21], v103, v208, v[102:103]
	v_cvt_f32_i32_e32 v98, v98
	v_dot4c_i32_i8_e32 v101, v136, v8
	v_dot4c_i32_i8_e32 v101, v137, v9
	;; [unrolled: 1-line block ×3, first 2 shown]
	s_waitcnt lgkmcnt(0)
	v_fma_f32 v100, v162, v98, 0
	v_mul_lo_u32 v98, v223, v210
	v_mad_u64_u32 v[98:99], s[20:21], v158, v209, v[98:99]
	v_cvt_f32_i32_e32 v98, v98
	v_mov_b32_e32 v99, 0
	v_dot4c_i32_i8_e32 v99, v108, v0
	v_dot4c_i32_i8_e32 v99, v109, v1
	v_fmac_f32_e32 v100, v163, v98
	v_mov_b32_e32 v98, 0
	v_dot4c_i32_i8_e32 v98, v112, v4
	v_dot4c_i32_i8_e32 v98, v113, v5
	;; [unrolled: 1-line block ×6, first 2 shown]
	v_fmac_f32_e32 v23, v203, v100
	v_mul_lo_u32 v98, v98, v211
	v_mov_b32_e32 v100, 0
	v_mad_u64_u32 v[98:99], s[20:21], v99, v212, v[98:99]
	v_dot4c_i32_i8_e32 v100, v120, v12
	v_cvt_f32_i32_e32 v98, v98
	v_dot4c_i32_i8_e32 v100, v121, v13
	v_dot4c_i32_i8_e32 v100, v118, v14
	;; [unrolled: 1-line block ×4, first 2 shown]
	v_fma_f32 v102, v162, v98, 0
	s_nop 0
	v_mul_lo_u32 v98, v100, v214
	v_mad_u64_u32 v[98:99], s[20:21], v101, v213, v[98:99]
	v_cvt_f32_i32_e32 v98, v98
	v_mov_b32_e32 v99, 0
	v_dot4c_i32_i8_e32 v99, v124, v0
	v_dot4c_i32_i8_e32 v99, v125, v1
	v_fmac_f32_e32 v102, v163, v98
	v_mov_b32_e32 v98, 0
	v_dot4c_i32_i8_e32 v98, v128, v4
	v_dot4c_i32_i8_e32 v98, v129, v5
	;; [unrolled: 1-line block ×6, first 2 shown]
	v_mov_b32_e32 v100, 0
	v_mul_lo_u32 v98, v98, v215
	v_dot4c_i32_i8_e32 v100, v140, v12
	v_mad_u64_u32 v[98:99], s[20:21], v99, v216, v[98:99]
	v_mov_b32_e32 v101, 0
	v_cvt_f32_i32_e32 v98, v98
	v_dot4c_i32_i8_e32 v100, v141, v13
	v_dot4c_i32_i8_e32 v101, v152, v8
	;; [unrolled: 1-line block ×6, first 2 shown]
	v_fmac_f32_e32 v21, v204, v102
	v_dot4c_i32_i8_e32 v101, v149, v11
	v_fma_f32 v102, v162, v98, 0
	v_mul_lo_u32 v98, v100, v218
	s_nop 0
	v_mad_u64_u32 v[98:99], s[20:21], v101, v217, v[98:99]
	v_cvt_f32_i32_e32 v98, v98
	v_fmac_f32_e32 v102, v163, v98
	v_mov_b32_e32 v98, 0
	v_dot4c_i32_i8_e32 v98, v150, v12
	v_mov_b32_e32 v12, 0
	v_dot4c_i32_i8_e32 v12, v156, v8
	;; [unrolled: 2-line block ×3, first 2 shown]
	v_dot4c_i32_i8_e32 v8, v145, v5
	v_mov_b32_e32 v5, 0
	v_dot4c_i32_i8_e32 v5, v134, v0
	v_dot4c_i32_i8_e32 v8, v142, v6
	;; [unrolled: 1-line block ×7, first 2 shown]
	v_mul_lo_u32 v4, v8, v219
	v_dot4c_i32_i8_e32 v98, v146, v14
	v_mad_u64_u32 v[0:1], s[20:21], v5, v220, v[4:5]
	v_cvt_f32_i32_e32 v0, v0
	v_dot4c_i32_i8_e32 v12, v157, v9
	v_dot4c_i32_i8_e32 v98, v147, v15
	;; [unrolled: 1-line block ×4, first 2 shown]
	v_fma_f32 v2, v162, v0, 0
	v_mul_lo_u32 v0, v98, v222
	v_fmac_f32_e32 v19, v205, v102
	v_mad_u64_u32 v[0:1], s[20:21], v12, v221, v[0:1]
	v_cvt_f32_i32_e32 v0, v0
	v_fmac_f32_e32 v2, v163, v0
	v_fmac_f32_e32 v17, v206, v2
	s_cbranch_scc1 .LBB156_8
; %bb.9:                                ;   in Loop: Header=BB156_5 Depth=1
	s_add_i32 s9, s9, 1
	s_cmp_eq_u32 s9, s4
	s_barrier
	s_cbranch_scc0 .LBB156_5
; %bb.10:
	v_mov_b32_e32 v1, v59
.LBB156_11:
	v_cmp_gt_u32_e32 vcc, s10, v71
	s_and_saveexec_b64 s[0:1], vcc
	s_cbranch_execz .LBB156_62
; %bb.12:
	v_add_u32_e32 v0, s6, v55
	v_mul_lo_u32 v5, v71, s14
	v_cmp_gt_u32_e32 vcc, s14, v0
	s_and_saveexec_b64 s[2:3], vcc
	s_cbranch_execz .LBB156_14
; %bb.13:
	v_add_u32_e32 v2, v0, v5
	v_mov_b32_e32 v3, 0
	v_cvt_f16_f32_e32 v6, v93
	v_lshlrev_b64 v[2:3], 1, v[2:3]
	s_waitcnt lgkmcnt(0)
	v_mov_b32_e32 v4, s13
	v_add_co_u32_e64 v2, s[0:1], s12, v2
	v_addc_co_u32_e64 v3, s[0:1], v4, v3, s[0:1]
	global_store_short v[2:3], v6, off
.LBB156_14:
	s_or_b64 exec, exec, s[2:3]
	v_add_u32_e32 v2, 32, v0
	v_cmp_gt_u32_e64 s[0:1], s14, v2
	s_and_saveexec_b64 s[4:5], s[0:1]
	s_cbranch_execz .LBB156_16
; %bb.15:
	v_add_u32_e32 v6, v2, v5
	v_mov_b32_e32 v7, 0
	v_cvt_f16_f32_e32 v4, v89
	v_lshlrev_b64 v[6:7], 1, v[6:7]
	s_waitcnt lgkmcnt(0)
	v_mov_b32_e32 v3, s13
	v_add_co_u32_e64 v6, s[2:3], s12, v6
	v_addc_co_u32_e64 v7, s[2:3], v3, v7, s[2:3]
	global_store_short v[6:7], v4, off
.LBB156_16:
	s_or_b64 exec, exec, s[4:5]
	v_add_u32_e32 v3, 64, v0
	v_cmp_gt_u32_e64 s[2:3], s14, v3
	s_and_saveexec_b64 s[6:7], s[2:3]
	;; [unrolled: 16-line block ×3, first 2 shown]
	s_cbranch_execz .LBB156_20
; %bb.19:
	v_add_u32_e32 v6, v4, v5
	v_mov_b32_e32 v7, 0
	v_cvt_f16_f32_e32 v8, v81
	v_lshlrev_b64 v[6:7], 1, v[6:7]
	s_waitcnt lgkmcnt(0)
	v_mov_b32_e32 v5, s13
	v_add_co_u32_e64 v6, s[6:7], s12, v6
	v_addc_co_u32_e64 v7, s[6:7], v5, v7, s[6:7]
	global_store_short v[6:7], v8, off
.LBB156_20:
	s_or_b64 exec, exec, s[8:9]
	v_add3_u32 v5, v1, s15, 8
	v_cmp_gt_u32_e64 s[6:7], s10, v5
	s_and_b64 exec, exec, s[6:7]
	s_cbranch_execz .LBB156_62
; %bb.21:
	v_mul_lo_u32 v5, v5, s14
	s_and_saveexec_b64 s[8:9], vcc
	s_cbranch_execnz .LBB156_63
; %bb.22:
	s_or_b64 exec, exec, s[8:9]
	s_and_saveexec_b64 s[8:9], s[0:1]
	s_cbranch_execnz .LBB156_64
.LBB156_23:
	s_or_b64 exec, exec, s[8:9]
	s_and_saveexec_b64 s[8:9], s[2:3]
	s_cbranch_execnz .LBB156_65
.LBB156_24:
	s_or_b64 exec, exec, s[8:9]
	s_and_saveexec_b64 s[8:9], s[4:5]
	s_cbranch_execz .LBB156_26
.LBB156_25:
	v_add_u32_e32 v6, v5, v4
	v_mov_b32_e32 v7, 0
	v_cvt_f16_f32_e32 v8, v69
	v_lshlrev_b64 v[6:7], 1, v[6:7]
	s_waitcnt lgkmcnt(0)
	v_mov_b32_e32 v5, s13
	v_add_co_u32_e64 v6, s[6:7], s12, v6
	v_addc_co_u32_e64 v7, s[6:7], v5, v7, s[6:7]
	global_store_short v[6:7], v8, off
.LBB156_26:
	s_or_b64 exec, exec, s[8:9]
	v_add3_u32 v5, v1, s15, 16
	v_cmp_gt_u32_e64 s[6:7], s10, v5
	s_and_b64 exec, exec, s[6:7]
	s_cbranch_execz .LBB156_62
; %bb.27:
	v_mul_lo_u32 v5, v5, s14
	s_and_saveexec_b64 s[8:9], vcc
	s_cbranch_execnz .LBB156_66
; %bb.28:
	s_or_b64 exec, exec, s[8:9]
	s_and_saveexec_b64 s[8:9], s[0:1]
	s_cbranch_execnz .LBB156_67
.LBB156_29:
	s_or_b64 exec, exec, s[8:9]
	s_and_saveexec_b64 s[8:9], s[2:3]
	s_cbranch_execnz .LBB156_68
.LBB156_30:
	s_or_b64 exec, exec, s[8:9]
	s_and_saveexec_b64 s[8:9], s[4:5]
	s_cbranch_execz .LBB156_32
.LBB156_31:
	v_add_u32_e32 v6, v5, v4
	v_mov_b32_e32 v7, 0
	v_cvt_f16_f32_e32 v8, v61
	v_lshlrev_b64 v[6:7], 1, v[6:7]
	s_waitcnt lgkmcnt(0)
	v_mov_b32_e32 v5, s13
	v_add_co_u32_e64 v6, s[6:7], s12, v6
	v_addc_co_u32_e64 v7, s[6:7], v5, v7, s[6:7]
	global_store_short v[6:7], v8, off
.LBB156_32:
	s_or_b64 exec, exec, s[8:9]
	v_add3_u32 v5, v1, s15, 24
	v_cmp_gt_u32_e64 s[6:7], s10, v5
	s_and_b64 exec, exec, s[6:7]
	s_cbranch_execz .LBB156_62
; %bb.33:
	v_mul_lo_u32 v5, v5, s14
	s_and_saveexec_b64 s[8:9], vcc
	s_cbranch_execnz .LBB156_69
; %bb.34:
	s_or_b64 exec, exec, s[8:9]
	s_and_saveexec_b64 s[8:9], s[0:1]
	s_cbranch_execnz .LBB156_70
.LBB156_35:
	s_or_b64 exec, exec, s[8:9]
	s_and_saveexec_b64 s[8:9], s[2:3]
	s_cbranch_execnz .LBB156_71
.LBB156_36:
	s_or_b64 exec, exec, s[8:9]
	s_and_saveexec_b64 s[8:9], s[4:5]
	s_cbranch_execz .LBB156_38
.LBB156_37:
	v_add_u32_e32 v6, v5, v4
	v_mov_b32_e32 v7, 0
	v_cvt_f16_f32_e32 v8, v49
	v_lshlrev_b64 v[6:7], 1, v[6:7]
	s_waitcnt lgkmcnt(0)
	v_mov_b32_e32 v5, s13
	v_add_co_u32_e64 v6, s[6:7], s12, v6
	v_addc_co_u32_e64 v7, s[6:7], v5, v7, s[6:7]
	global_store_short v[6:7], v8, off
.LBB156_38:
	s_or_b64 exec, exec, s[8:9]
	v_add3_u32 v5, v1, s15, 32
	v_cmp_gt_u32_e64 s[6:7], s10, v5
	s_and_b64 exec, exec, s[6:7]
	s_cbranch_execz .LBB156_62
; %bb.39:
	v_mul_lo_u32 v5, v5, s14
	s_and_saveexec_b64 s[8:9], vcc
	s_cbranch_execnz .LBB156_72
; %bb.40:
	s_or_b64 exec, exec, s[8:9]
	s_and_saveexec_b64 s[8:9], s[0:1]
	s_cbranch_execnz .LBB156_73
.LBB156_41:
	s_or_b64 exec, exec, s[8:9]
	s_and_saveexec_b64 s[8:9], s[2:3]
	s_cbranch_execnz .LBB156_74
.LBB156_42:
	s_or_b64 exec, exec, s[8:9]
	s_and_saveexec_b64 s[8:9], s[4:5]
	s_cbranch_execz .LBB156_44
.LBB156_43:
	v_add_u32_e32 v6, v5, v4
	v_mov_b32_e32 v7, 0
	v_cvt_f16_f32_e32 v8, v41
	v_lshlrev_b64 v[6:7], 1, v[6:7]
	s_waitcnt lgkmcnt(0)
	v_mov_b32_e32 v5, s13
	v_add_co_u32_e64 v6, s[6:7], s12, v6
	v_addc_co_u32_e64 v7, s[6:7], v5, v7, s[6:7]
	global_store_short v[6:7], v8, off
.LBB156_44:
	s_or_b64 exec, exec, s[8:9]
	v_add3_u32 v5, v1, s15, 40
	v_cmp_gt_u32_e64 s[6:7], s10, v5
	s_and_b64 exec, exec, s[6:7]
	s_cbranch_execz .LBB156_62
; %bb.45:
	v_mul_lo_u32 v5, v5, s14
	s_and_saveexec_b64 s[8:9], vcc
	s_cbranch_execnz .LBB156_75
; %bb.46:
	s_or_b64 exec, exec, s[8:9]
	s_and_saveexec_b64 s[8:9], s[0:1]
	s_cbranch_execnz .LBB156_76
.LBB156_47:
	s_or_b64 exec, exec, s[8:9]
	s_and_saveexec_b64 s[8:9], s[2:3]
	s_cbranch_execnz .LBB156_77
.LBB156_48:
	s_or_b64 exec, exec, s[8:9]
	s_and_saveexec_b64 s[8:9], s[4:5]
	s_cbranch_execz .LBB156_50
.LBB156_49:
	v_add_u32_e32 v6, v5, v4
	v_mov_b32_e32 v7, 0
	v_cvt_f16_f32_e32 v8, v33
	v_lshlrev_b64 v[6:7], 1, v[6:7]
	s_waitcnt lgkmcnt(0)
	v_mov_b32_e32 v5, s13
	v_add_co_u32_e64 v6, s[6:7], s12, v6
	v_addc_co_u32_e64 v7, s[6:7], v5, v7, s[6:7]
	global_store_short v[6:7], v8, off
.LBB156_50:
	s_or_b64 exec, exec, s[8:9]
	v_add3_u32 v5, v1, s15, 48
	v_cmp_gt_u32_e64 s[6:7], s10, v5
	s_and_b64 exec, exec, s[6:7]
	s_cbranch_execz .LBB156_62
; %bb.51:
	v_mul_lo_u32 v5, v5, s14
	s_and_saveexec_b64 s[8:9], vcc
	s_cbranch_execnz .LBB156_78
; %bb.52:
	s_or_b64 exec, exec, s[8:9]
	s_and_saveexec_b64 s[8:9], s[0:1]
	s_cbranch_execnz .LBB156_79
.LBB156_53:
	s_or_b64 exec, exec, s[8:9]
	s_and_saveexec_b64 s[8:9], s[2:3]
	s_cbranch_execnz .LBB156_80
.LBB156_54:
	s_or_b64 exec, exec, s[8:9]
	s_and_saveexec_b64 s[8:9], s[4:5]
	s_cbranch_execz .LBB156_56
.LBB156_55:
	v_add_u32_e32 v6, v5, v4
	v_mov_b32_e32 v7, 0
	v_cvt_f16_f32_e32 v8, v25
	v_lshlrev_b64 v[6:7], 1, v[6:7]
	s_waitcnt lgkmcnt(0)
	v_mov_b32_e32 v5, s13
	v_add_co_u32_e64 v6, s[6:7], s12, v6
	v_addc_co_u32_e64 v7, s[6:7], v5, v7, s[6:7]
	global_store_short v[6:7], v8, off
.LBB156_56:
	s_or_b64 exec, exec, s[8:9]
	v_add3_u32 v1, v1, s15, 56
	v_cmp_gt_u32_e64 s[6:7], s10, v1
	s_and_b64 exec, exec, s[6:7]
	s_cbranch_execz .LBB156_62
; %bb.57:
	v_mul_lo_u32 v1, v1, s14
	s_and_saveexec_b64 s[6:7], vcc
	s_cbranch_execnz .LBB156_81
; %bb.58:
	s_or_b64 exec, exec, s[6:7]
	s_and_saveexec_b64 s[6:7], s[0:1]
	s_cbranch_execnz .LBB156_82
.LBB156_59:
	s_or_b64 exec, exec, s[6:7]
	s_and_saveexec_b64 s[0:1], s[2:3]
	s_cbranch_execnz .LBB156_83
.LBB156_60:
	s_or_b64 exec, exec, s[0:1]
	s_and_b64 exec, exec, s[4:5]
	s_cbranch_execz .LBB156_62
.LBB156_61:
	v_add_u32_e32 v0, v1, v4
	v_mov_b32_e32 v1, 0
	v_cvt_f16_f32_e32 v3, v17
	v_lshlrev_b64 v[0:1], 1, v[0:1]
	s_waitcnt lgkmcnt(0)
	v_mov_b32_e32 v2, s13
	v_add_co_u32_e32 v0, vcc, s12, v0
	v_addc_co_u32_e32 v1, vcc, v2, v1, vcc
	global_store_short v[0:1], v3, off
.LBB156_62:
	s_endpgm
.LBB156_63:
	v_add_u32_e32 v6, v5, v0
	v_mov_b32_e32 v7, 0
	v_cvt_f16_f32_e32 v9, v79
	v_lshlrev_b64 v[6:7], 1, v[6:7]
	s_waitcnt lgkmcnt(0)
	v_mov_b32_e32 v8, s13
	v_add_co_u32_e64 v6, s[6:7], s12, v6
	v_addc_co_u32_e64 v7, s[6:7], v8, v7, s[6:7]
	global_store_short v[6:7], v9, off
	s_or_b64 exec, exec, s[8:9]
	s_and_saveexec_b64 s[8:9], s[0:1]
	s_cbranch_execz .LBB156_23
.LBB156_64:
	v_add_u32_e32 v6, v5, v2
	v_mov_b32_e32 v7, 0
	v_cvt_f16_f32_e32 v9, v77
	v_lshlrev_b64 v[6:7], 1, v[6:7]
	s_waitcnt lgkmcnt(0)
	v_mov_b32_e32 v8, s13
	v_add_co_u32_e64 v6, s[6:7], s12, v6
	v_addc_co_u32_e64 v7, s[6:7], v8, v7, s[6:7]
	global_store_short v[6:7], v9, off
	s_or_b64 exec, exec, s[8:9]
	s_and_saveexec_b64 s[8:9], s[2:3]
	s_cbranch_execz .LBB156_24
.LBB156_65:
	v_add_u32_e32 v6, v5, v3
	v_mov_b32_e32 v7, 0
	v_cvt_f16_f32_e32 v9, v73
	v_lshlrev_b64 v[6:7], 1, v[6:7]
	s_waitcnt lgkmcnt(0)
	v_mov_b32_e32 v8, s13
	v_add_co_u32_e64 v6, s[6:7], s12, v6
	v_addc_co_u32_e64 v7, s[6:7], v8, v7, s[6:7]
	global_store_short v[6:7], v9, off
	s_or_b64 exec, exec, s[8:9]
	s_and_saveexec_b64 s[8:9], s[4:5]
	s_cbranch_execnz .LBB156_25
	s_branch .LBB156_26
.LBB156_66:
	v_add_u32_e32 v6, v5, v0
	v_mov_b32_e32 v7, 0
	v_cvt_f16_f32_e32 v9, v67
	v_lshlrev_b64 v[6:7], 1, v[6:7]
	s_waitcnt lgkmcnt(0)
	v_mov_b32_e32 v8, s13
	v_add_co_u32_e64 v6, s[6:7], s12, v6
	v_addc_co_u32_e64 v7, s[6:7], v8, v7, s[6:7]
	global_store_short v[6:7], v9, off
	s_or_b64 exec, exec, s[8:9]
	s_and_saveexec_b64 s[8:9], s[0:1]
	s_cbranch_execz .LBB156_29
.LBB156_67:
	v_add_u32_e32 v6, v5, v2
	v_mov_b32_e32 v7, 0
	v_cvt_f16_f32_e32 v9, v65
	v_lshlrev_b64 v[6:7], 1, v[6:7]
	s_waitcnt lgkmcnt(0)
	v_mov_b32_e32 v8, s13
	v_add_co_u32_e64 v6, s[6:7], s12, v6
	v_addc_co_u32_e64 v7, s[6:7], v8, v7, s[6:7]
	global_store_short v[6:7], v9, off
	s_or_b64 exec, exec, s[8:9]
	s_and_saveexec_b64 s[8:9], s[2:3]
	s_cbranch_execz .LBB156_30
.LBB156_68:
	v_add_u32_e32 v6, v5, v3
	v_mov_b32_e32 v7, 0
	v_cvt_f16_f32_e32 v9, v63
	v_lshlrev_b64 v[6:7], 1, v[6:7]
	s_waitcnt lgkmcnt(0)
	v_mov_b32_e32 v8, s13
	v_add_co_u32_e64 v6, s[6:7], s12, v6
	v_addc_co_u32_e64 v7, s[6:7], v8, v7, s[6:7]
	global_store_short v[6:7], v9, off
	s_or_b64 exec, exec, s[8:9]
	s_and_saveexec_b64 s[8:9], s[4:5]
	s_cbranch_execnz .LBB156_31
	s_branch .LBB156_32
.LBB156_69:
	v_add_u32_e32 v6, v5, v0
	v_mov_b32_e32 v7, 0
	v_cvt_f16_f32_e32 v9, v57
	v_lshlrev_b64 v[6:7], 1, v[6:7]
	s_waitcnt lgkmcnt(0)
	v_mov_b32_e32 v8, s13
	v_add_co_u32_e64 v6, s[6:7], s12, v6
	v_addc_co_u32_e64 v7, s[6:7], v8, v7, s[6:7]
	global_store_short v[6:7], v9, off
	s_or_b64 exec, exec, s[8:9]
	s_and_saveexec_b64 s[8:9], s[0:1]
	s_cbranch_execz .LBB156_35
.LBB156_70:
	v_add_u32_e32 v6, v5, v2
	v_mov_b32_e32 v7, 0
	v_cvt_f16_f32_e32 v9, v53
	v_lshlrev_b64 v[6:7], 1, v[6:7]
	s_waitcnt lgkmcnt(0)
	v_mov_b32_e32 v8, s13
	v_add_co_u32_e64 v6, s[6:7], s12, v6
	v_addc_co_u32_e64 v7, s[6:7], v8, v7, s[6:7]
	global_store_short v[6:7], v9, off
	s_or_b64 exec, exec, s[8:9]
	s_and_saveexec_b64 s[8:9], s[2:3]
	s_cbranch_execz .LBB156_36
.LBB156_71:
	v_add_u32_e32 v6, v5, v3
	v_mov_b32_e32 v7, 0
	v_cvt_f16_f32_e32 v9, v51
	v_lshlrev_b64 v[6:7], 1, v[6:7]
	s_waitcnt lgkmcnt(0)
	v_mov_b32_e32 v8, s13
	v_add_co_u32_e64 v6, s[6:7], s12, v6
	v_addc_co_u32_e64 v7, s[6:7], v8, v7, s[6:7]
	global_store_short v[6:7], v9, off
	s_or_b64 exec, exec, s[8:9]
	s_and_saveexec_b64 s[8:9], s[4:5]
	s_cbranch_execnz .LBB156_37
	s_branch .LBB156_38
.LBB156_72:
	v_add_u32_e32 v6, v5, v0
	v_mov_b32_e32 v7, 0
	v_cvt_f16_f32_e32 v9, v47
	v_lshlrev_b64 v[6:7], 1, v[6:7]
	s_waitcnt lgkmcnt(0)
	v_mov_b32_e32 v8, s13
	v_add_co_u32_e64 v6, s[6:7], s12, v6
	v_addc_co_u32_e64 v7, s[6:7], v8, v7, s[6:7]
	global_store_short v[6:7], v9, off
	s_or_b64 exec, exec, s[8:9]
	s_and_saveexec_b64 s[8:9], s[0:1]
	s_cbranch_execz .LBB156_41
.LBB156_73:
	v_add_u32_e32 v6, v5, v2
	v_mov_b32_e32 v7, 0
	v_cvt_f16_f32_e32 v9, v45
	v_lshlrev_b64 v[6:7], 1, v[6:7]
	s_waitcnt lgkmcnt(0)
	v_mov_b32_e32 v8, s13
	v_add_co_u32_e64 v6, s[6:7], s12, v6
	v_addc_co_u32_e64 v7, s[6:7], v8, v7, s[6:7]
	global_store_short v[6:7], v9, off
	s_or_b64 exec, exec, s[8:9]
	s_and_saveexec_b64 s[8:9], s[2:3]
	s_cbranch_execz .LBB156_42
.LBB156_74:
	v_add_u32_e32 v6, v5, v3
	v_mov_b32_e32 v7, 0
	v_cvt_f16_f32_e32 v9, v43
	v_lshlrev_b64 v[6:7], 1, v[6:7]
	s_waitcnt lgkmcnt(0)
	v_mov_b32_e32 v8, s13
	v_add_co_u32_e64 v6, s[6:7], s12, v6
	v_addc_co_u32_e64 v7, s[6:7], v8, v7, s[6:7]
	global_store_short v[6:7], v9, off
	s_or_b64 exec, exec, s[8:9]
	s_and_saveexec_b64 s[8:9], s[4:5]
	s_cbranch_execnz .LBB156_43
	s_branch .LBB156_44
.LBB156_75:
	v_add_u32_e32 v6, v5, v0
	v_mov_b32_e32 v7, 0
	v_cvt_f16_f32_e32 v9, v39
	v_lshlrev_b64 v[6:7], 1, v[6:7]
	s_waitcnt lgkmcnt(0)
	v_mov_b32_e32 v8, s13
	v_add_co_u32_e64 v6, s[6:7], s12, v6
	v_addc_co_u32_e64 v7, s[6:7], v8, v7, s[6:7]
	global_store_short v[6:7], v9, off
	s_or_b64 exec, exec, s[8:9]
	s_and_saveexec_b64 s[8:9], s[0:1]
	s_cbranch_execz .LBB156_47
.LBB156_76:
	v_add_u32_e32 v6, v5, v2
	v_mov_b32_e32 v7, 0
	v_cvt_f16_f32_e32 v9, v37
	v_lshlrev_b64 v[6:7], 1, v[6:7]
	s_waitcnt lgkmcnt(0)
	v_mov_b32_e32 v8, s13
	v_add_co_u32_e64 v6, s[6:7], s12, v6
	v_addc_co_u32_e64 v7, s[6:7], v8, v7, s[6:7]
	global_store_short v[6:7], v9, off
	s_or_b64 exec, exec, s[8:9]
	s_and_saveexec_b64 s[8:9], s[2:3]
	s_cbranch_execz .LBB156_48
.LBB156_77:
	v_add_u32_e32 v6, v5, v3
	v_mov_b32_e32 v7, 0
	v_cvt_f16_f32_e32 v9, v35
	v_lshlrev_b64 v[6:7], 1, v[6:7]
	s_waitcnt lgkmcnt(0)
	v_mov_b32_e32 v8, s13
	v_add_co_u32_e64 v6, s[6:7], s12, v6
	v_addc_co_u32_e64 v7, s[6:7], v8, v7, s[6:7]
	global_store_short v[6:7], v9, off
	s_or_b64 exec, exec, s[8:9]
	s_and_saveexec_b64 s[8:9], s[4:5]
	s_cbranch_execnz .LBB156_49
	s_branch .LBB156_50
.LBB156_78:
	v_add_u32_e32 v6, v5, v0
	v_mov_b32_e32 v7, 0
	v_cvt_f16_f32_e32 v9, v31
	v_lshlrev_b64 v[6:7], 1, v[6:7]
	s_waitcnt lgkmcnt(0)
	v_mov_b32_e32 v8, s13
	v_add_co_u32_e64 v6, s[6:7], s12, v6
	v_addc_co_u32_e64 v7, s[6:7], v8, v7, s[6:7]
	global_store_short v[6:7], v9, off
	s_or_b64 exec, exec, s[8:9]
	s_and_saveexec_b64 s[8:9], s[0:1]
	s_cbranch_execz .LBB156_53
.LBB156_79:
	v_add_u32_e32 v6, v5, v2
	v_mov_b32_e32 v7, 0
	v_cvt_f16_f32_e32 v9, v29
	v_lshlrev_b64 v[6:7], 1, v[6:7]
	s_waitcnt lgkmcnt(0)
	v_mov_b32_e32 v8, s13
	v_add_co_u32_e64 v6, s[6:7], s12, v6
	v_addc_co_u32_e64 v7, s[6:7], v8, v7, s[6:7]
	global_store_short v[6:7], v9, off
	s_or_b64 exec, exec, s[8:9]
	s_and_saveexec_b64 s[8:9], s[2:3]
	s_cbranch_execz .LBB156_54
.LBB156_80:
	v_add_u32_e32 v6, v5, v3
	v_mov_b32_e32 v7, 0
	v_cvt_f16_f32_e32 v9, v27
	v_lshlrev_b64 v[6:7], 1, v[6:7]
	s_waitcnt lgkmcnt(0)
	v_mov_b32_e32 v8, s13
	v_add_co_u32_e64 v6, s[6:7], s12, v6
	v_addc_co_u32_e64 v7, s[6:7], v8, v7, s[6:7]
	global_store_short v[6:7], v9, off
	s_or_b64 exec, exec, s[8:9]
	s_and_saveexec_b64 s[8:9], s[4:5]
	s_cbranch_execnz .LBB156_55
	s_branch .LBB156_56
.LBB156_81:
	v_add_u32_e32 v6, v1, v0
	v_mov_b32_e32 v7, 0
	v_cvt_f16_f32_e32 v5, v23
	v_lshlrev_b64 v[6:7], 1, v[6:7]
	s_waitcnt lgkmcnt(0)
	v_mov_b32_e32 v0, s13
	v_add_co_u32_e32 v6, vcc, s12, v6
	v_addc_co_u32_e32 v7, vcc, v0, v7, vcc
	global_store_short v[6:7], v5, off
	s_or_b64 exec, exec, s[6:7]
	s_and_saveexec_b64 s[6:7], s[0:1]
	s_cbranch_execz .LBB156_59
.LBB156_82:
	v_add_u32_e32 v6, v1, v2
	v_mov_b32_e32 v7, 0
	v_cvt_f16_f32_e32 v2, v21
	v_lshlrev_b64 v[6:7], 1, v[6:7]
	s_waitcnt lgkmcnt(0)
	v_mov_b32_e32 v0, s13
	v_add_co_u32_e32 v6, vcc, s12, v6
	v_addc_co_u32_e32 v7, vcc, v0, v7, vcc
	global_store_short v[6:7], v2, off
	s_or_b64 exec, exec, s[6:7]
	s_and_saveexec_b64 s[0:1], s[2:3]
	s_cbranch_execz .LBB156_60
.LBB156_83:
	v_add_u32_e32 v2, v1, v3
	v_mov_b32_e32 v3, 0
	v_cvt_f16_f32_e32 v5, v19
	v_lshlrev_b64 v[2:3], 1, v[2:3]
	s_waitcnt lgkmcnt(0)
	v_mov_b32_e32 v0, s13
	v_add_co_u32_e32 v2, vcc, s12, v2
	v_addc_co_u32_e32 v3, vcc, v0, v3, vcc
	global_store_short v[2:3], v5, off
	s_or_b64 exec, exec, s[0:1]
	s_and_b64 exec, exec, s[4:5]
	s_cbranch_execnz .LBB156_61
	s_branch .LBB156_62
	.section	.rodata,"a",@progbits
	.p2align	6, 0x0
	.amdhsa_kernel _ZL12mul_mat_q6_KIN3c104HalfELb1EEvPKvS3_PT_iiiii
		.amdhsa_group_segment_fixed_size 45136
		.amdhsa_private_segment_fixed_size 0
		.amdhsa_kernarg_size 44
		.amdhsa_user_sgpr_count 6
		.amdhsa_user_sgpr_private_segment_buffer 1
		.amdhsa_user_sgpr_dispatch_ptr 0
		.amdhsa_user_sgpr_queue_ptr 0
		.amdhsa_user_sgpr_kernarg_segment_ptr 1
		.amdhsa_user_sgpr_dispatch_id 0
		.amdhsa_user_sgpr_flat_scratch_init 0
		.amdhsa_user_sgpr_kernarg_preload_length 0
		.amdhsa_user_sgpr_kernarg_preload_offset 0
		.amdhsa_user_sgpr_private_segment_size 0
		.amdhsa_uses_dynamic_stack 0
		.amdhsa_system_sgpr_private_segment_wavefront_offset 0
		.amdhsa_system_sgpr_workgroup_id_x 1
		.amdhsa_system_sgpr_workgroup_id_y 1
		.amdhsa_system_sgpr_workgroup_id_z 0
		.amdhsa_system_sgpr_workgroup_info 0
		.amdhsa_system_vgpr_workitem_id 1
		.amdhsa_next_free_vgpr 229
		.amdhsa_next_free_sgpr 26
		.amdhsa_accum_offset 232
		.amdhsa_reserve_vcc 1
		.amdhsa_reserve_flat_scratch 0
		.amdhsa_float_round_mode_32 0
		.amdhsa_float_round_mode_16_64 0
		.amdhsa_float_denorm_mode_32 3
		.amdhsa_float_denorm_mode_16_64 3
		.amdhsa_dx10_clamp 1
		.amdhsa_ieee_mode 1
		.amdhsa_fp16_overflow 0
		.amdhsa_tg_split 0
		.amdhsa_exception_fp_ieee_invalid_op 0
		.amdhsa_exception_fp_denorm_src 0
		.amdhsa_exception_fp_ieee_div_zero 0
		.amdhsa_exception_fp_ieee_overflow 0
		.amdhsa_exception_fp_ieee_underflow 0
		.amdhsa_exception_fp_ieee_inexact 0
		.amdhsa_exception_int_div_zero 0
	.end_amdhsa_kernel
	.section	.text._ZL12mul_mat_q6_KIN3c104HalfELb1EEvPKvS3_PT_iiiii,"axG",@progbits,_ZL12mul_mat_q6_KIN3c104HalfELb1EEvPKvS3_PT_iiiii,comdat
.Lfunc_end156:
	.size	_ZL12mul_mat_q6_KIN3c104HalfELb1EEvPKvS3_PT_iiiii, .Lfunc_end156-_ZL12mul_mat_q6_KIN3c104HalfELb1EEvPKvS3_PT_iiiii
                                        ; -- End function
	.section	.AMDGPU.csdata,"",@progbits
; Kernel info:
; codeLenInByte = 20292
; NumSgprs: 30
; NumVgprs: 229
; NumAgprs: 0
; TotalNumVgprs: 229
; ScratchSize: 0
; MemoryBound: 0
; FloatMode: 240
; IeeeMode: 1
; LDSByteSize: 45136 bytes/workgroup (compile time only)
; SGPRBlocks: 3
; VGPRBlocks: 28
; NumSGPRsForWavesPerEU: 30
; NumVGPRsForWavesPerEU: 229
; AccumOffset: 232
; Occupancy: 1
; WaveLimiterHint : 0
; COMPUTE_PGM_RSRC2:SCRATCH_EN: 0
; COMPUTE_PGM_RSRC2:USER_SGPR: 6
; COMPUTE_PGM_RSRC2:TRAP_HANDLER: 0
; COMPUTE_PGM_RSRC2:TGID_X_EN: 1
; COMPUTE_PGM_RSRC2:TGID_Y_EN: 1
; COMPUTE_PGM_RSRC2:TGID_Z_EN: 0
; COMPUTE_PGM_RSRC2:TIDIG_COMP_CNT: 1
; COMPUTE_PGM_RSRC3_GFX90A:ACCUM_OFFSET: 57
; COMPUTE_PGM_RSRC3_GFX90A:TG_SPLIT: 0
	.section	.text._ZL12mul_mat_q4_0IN3c108BFloat16ELb0EEvPKvS3_PT_iiiii,"axG",@progbits,_ZL12mul_mat_q4_0IN3c108BFloat16ELb0EEvPKvS3_PT_iiiii,comdat
	.globl	_ZL12mul_mat_q4_0IN3c108BFloat16ELb0EEvPKvS3_PT_iiiii ; -- Begin function _ZL12mul_mat_q4_0IN3c108BFloat16ELb0EEvPKvS3_PT_iiiii
	.p2align	8
	.type	_ZL12mul_mat_q4_0IN3c108BFloat16ELb0EEvPKvS3_PT_iiiii,@function
_ZL12mul_mat_q4_0IN3c108BFloat16ELb0EEvPKvS3_PT_iiiii: ; @_ZL12mul_mat_q4_0IN3c108BFloat16ELb0EEvPKvS3_PT_iiiii
; %bb.0:
	s_load_dword s14, s[4:5], 0x18
	s_load_dwordx4 s[8:11], s[4:5], 0x20
	s_waitcnt lgkmcnt(0)
	s_lshl_b32 s11, s7, 6
	v_bfe_u32 v43, v0, 10, 10
	s_cmp_gt_i32 s14, 31
	s_cbranch_scc1 .LBB157_2
; %bb.1:
	v_bfe_u32 v1, v0, 10, 10
	s_mov_b32 s0, 0
	v_and_b32_e32 v41, 0x3ff, v0
	v_add_u32_e32 v45, s11, v1
	s_mov_b32 s1, s0
	s_mov_b64 s[2:3], 0
	s_branch .LBB157_3
.LBB157_2:
	s_mov_b64 s[2:3], -1
                                        ; implicit-def: $sgpr0_sgpr1
                                        ; implicit-def: $vgpr1
                                        ; implicit-def: $vgpr41
                                        ; implicit-def: $vgpr45
.LBB157_3:
	s_load_dwordx2 s[12:13], s[4:5], 0x10
	s_lshl_b32 s6, s6, 7
	s_andn2_b64 vcc, exec, s[2:3]
	v_pk_mov_b32 v[8:9], s[0:1], s[0:1] op_sel:[0,1]
	v_pk_mov_b32 v[16:17], s[0:1], s[0:1] op_sel:[0,1]
	;; [unrolled: 1-line block ×16, first 2 shown]
	s_cbranch_vccnz .LBB157_13
; %bb.4:
	s_load_dwordx4 s[0:3], s[4:5], 0x0
	s_ashr_i32 s4, s14, 31
	s_lshr_b32 s4, s4, 27
	s_ashr_i32 s7, s9, 31
	s_add_i32 s4, s14, s4
	s_lshr_b32 s7, s7, 27
	s_ashr_i32 s5, s4, 5
	s_add_i32 s7, s9, s7
	s_ashr_i32 s16, s7, 5
	s_mul_i32 s7, s5, s6
	s_mul_hi_i32 s9, s7, 18
	s_mul_i32 s7, s7, 18
	s_waitcnt lgkmcnt(0)
	s_add_u32 s7, s0, s7
	s_addc_u32 s9, s1, s9
	v_mul_lo_u32 v44, s5, v43
	s_lshl_b32 s14, s5, 3
	v_add_u32_e32 v46, s14, v44
	v_add_u32_e32 v48, s14, v46
	v_add_u32_e32 v50, s14, v48
	v_add_u32_e32 v52, s14, v50
	v_add_u32_e32 v54, s14, v52
	v_add_u32_e32 v56, s14, v54
	v_add_u32_e32 v58, s14, v56
	v_add_u32_e32 v60, s14, v58
	v_add_u32_e32 v62, s14, v60
	v_add_u32_e32 v64, s14, v62
	v_add_u32_e32 v66, s14, v64
	v_and_b32_e32 v41, 0x3ff, v0
	v_add_u32_e32 v68, s14, v66
	v_add_u32_e32 v70, s14, v68
	v_lshrrev_b32_e32 v79, 3, v41
	v_add_u32_e32 v72, s14, v70
	v_and_b32_e32 v76, 7, v41
	v_lshl_add_u32 v0, v43, 2, v79
	v_add_u32_e32 v74, s14, v72
	v_and_b32_e32 v1, 0x7fc, v0
	v_lshlrev_b32_e32 v3, 2, v76
	s_movk_i32 s14, 0x6200
	v_add3_u32 v4, v1, v3, s14
	v_add_u32_e32 v1, 32, v0
	v_lshlrev_b32_e32 v2, 2, v41
	s_movk_i32 s1, 0x84
	v_mul_lo_u32 v78, s5, v0
	v_lshlrev_b32_e32 v5, 5, v0
	v_and_b32_e32 v6, 0xffc, v1
	v_lshlrev_b32_e32 v7, 5, v1
	v_add_u32_e32 v1, 64, v0
	v_add_u32_e32 v0, 0x60, v0
	v_lshrrev_b32_e32 v40, 2, v41
	v_and_b32_e32 v42, 12, v2
	v_mad_u32_u24 v47, v43, s1, v2
	s_andn2_b32 s4, s4, 31
	v_and_b32_e32 v8, 0xffc, v1
	v_lshlrev_b32_e32 v9, 5, v1
	v_and_b32_e32 v1, 0xffc, v0
	v_and_b32_e32 v2, 28, v2
	v_add_u32_e32 v80, s4, v78
	v_add3_u32 v6, v6, v3, s14
	v_add3_u32 v8, v8, v3, s14
	;; [unrolled: 1-line block ×3, first 2 shown]
	v_mov_b32_e32 v3, s3
	v_add_co_u32_e32 v86, vcc, s2, v2
	v_lshl_add_u32 v2, v43, 3, v40
	v_add_u32_e32 v82, s4, v80
	v_addc_co_u32_e32 v87, vcc, 0, v3, vcc
	v_and_b32_e32 v3, 63, v2
	v_add_u32_e32 v84, s4, v82
	s_add_i32 s4, s8, -1
	v_or_b32_e32 v13, s11, v3
	v_and_b32_e32 v2, 3, v41
	v_min_i32_e32 v13, s4, v13
	v_mad_u64_u32 v[88:89], s[14:15], v13, s16, v[2:3]
	v_lshlrev_b32_e32 v2, 2, v2
	v_add_u32_e32 v45, s11, v43
	v_lshl_or_b32 v2, v3, 4, v2
	v_lshlrev_b32_e32 v11, 5, v0
	v_cvt_f64_i32_e32 v[0:1], s4
	v_add_u32_e32 v81, 0x7280, v2
	v_cvt_f64_u32_e32 v[2:3], v45
	v_min_f64 v[2:3], v[2:3], v[0:1]
	v_cvt_i32_f64_e32 v2, v[2:3]
	v_mul_lo_u32 v83, s16, v2
	v_add_u32_e32 v2, 8, v45
	v_cvt_f64_u32_e32 v[2:3], v2
	v_min_f64 v[2:3], v[2:3], v[0:1]
	v_cvt_i32_f64_e32 v2, v[2:3]
	v_mul_lo_u32 v89, s16, v2
	v_add_u32_e32 v2, 16, v45
	v_cvt_f64_u32_e32 v[2:3], v2
	v_min_f64 v[2:3], v[2:3], v[0:1]
	v_cvt_i32_f64_e32 v2, v[2:3]
	v_mul_lo_u32 v93, s16, v2
	v_add_u32_e32 v2, 24, v45
	v_cvt_f64_u32_e32 v[2:3], v2
	v_min_f64 v[2:3], v[2:3], v[0:1]
	v_cvt_i32_f64_e32 v2, v[2:3]
	v_mul_lo_u32 v97, s16, v2
	v_add_u32_e32 v2, 32, v45
	v_cvt_f64_u32_e32 v[2:3], v2
	v_min_f64 v[2:3], v[2:3], v[0:1]
	v_cvt_i32_f64_e32 v2, v[2:3]
	v_mul_lo_u32 v101, s16, v2
	v_add_u32_e32 v2, 40, v45
	v_cvt_f64_u32_e32 v[2:3], v2
	v_min_f64 v[2:3], v[2:3], v[0:1]
	v_cvt_i32_f64_e32 v2, v[2:3]
	v_mul_lo_u32 v103, s16, v2
	v_add_u32_e32 v2, 48, v45
	v_cvt_f64_u32_e32 v[2:3], v2
	v_min_f64 v[2:3], v[2:3], v[0:1]
	v_cvt_i32_f64_e32 v2, v[2:3]
	v_mul_lo_u32 v105, s16, v2
	v_add_u32_e32 v2, 56, v45
	v_cvt_f64_u32_e32 v[2:3], v2
	v_min_f64 v[0:1], v[2:3], v[0:1]
	v_and_b32_e32 v12, 31, v41
	v_lshlrev_b32_e32 v13, 7, v43
	v_cvt_i32_f64_e32 v0, v[0:1]
	v_lshl_or_b32 v12, v12, 2, v13
	v_mul_lo_u32 v107, s16, v0
	v_add_u32_e32 v0, 32, v41
	v_add_u32_e32 v1, 64, v41
	;; [unrolled: 1-line block ×3, first 2 shown]
	s_mov_b32 s0, 0
	v_add_u32_e32 v85, 0x4200, v12
	v_add_u32_e32 v91, 0x4600, v12
	;; [unrolled: 1-line block ×8, first 2 shown]
	v_lshlrev_b32_e32 v3, 5, v41
	v_lshrrev_b32_e32 v110, 3, v0
	v_and_b32_e32 v2, 0x1fc, v2
	v_and_b32_e32 v1, 0x1fc, v1
	;; [unrolled: 1-line block ×4, first 2 shown]
	v_add_u32_e32 v2, v3, v2
	v_add_u32_e32 v1, v3, v1
	;; [unrolled: 1-line block ×4, first 2 shown]
	v_mov_b32_e32 v12, 0x7280
	v_mad_u32_u24 v121, v41, s1, 64
	s_mov_b32 s1, s0
	v_add_u32_e32 v49, 0x420, v47
	v_add_u32_e32 v51, 0x840, v47
	;; [unrolled: 1-line block ×15, first 2 shown]
	v_mul_u32_u24_e32 v109, 0x84, v41
	v_add_u32_e32 v111, 0x6e00, v2
	v_add_u32_e32 v112, 0x6a00, v1
	;; [unrolled: 1-line block ×5, first 2 shown]
	v_lshl_add_u32 v116, v43, 4, v12
	v_add_u32_e32 v117, 0x6e10, v2
	v_add_u32_e32 v118, 0x6a10, v1
	;; [unrolled: 1-line block ×4, first 2 shown]
	v_pk_mov_b32 v[38:39], s[0:1], s[0:1] op_sel:[0,1]
	v_add_u32_e32 v122, v4, v5
	v_add_u32_e32 v123, v6, v7
	;; [unrolled: 1-line block ×4, first 2 shown]
	s_mov_b32 s4, 0x41000000
	v_pk_mov_b32 v[30:31], s[0:1], s[0:1] op_sel:[0,1]
	v_pk_mov_b32 v[22:23], s[0:1], s[0:1] op_sel:[0,1]
	;; [unrolled: 1-line block ×15, first 2 shown]
	s_branch .LBB157_6
.LBB157_5:                              ;   in Loop: Header=BB157_6 Depth=1
	s_add_i32 s0, s0, 8
	s_cmp_ge_i32 s0, s5
	s_cbranch_scc1 .LBB157_12
.LBB157_6:                              ; =>This Loop Header: Depth=1
                                        ;     Child Loop BB157_7 Depth 2
                                        ;     Child Loop BB157_10 Depth 2
	s_mul_i32 s14, s0, 18
	s_mul_hi_u32 s1, s0, 18
	s_add_u32 s14, s7, s14
	s_addc_u32 s15, s9, s1
	v_mad_u64_u32 v[0:1], s[16:17], v40, 18, s[14:15]
	v_add_co_u32_e32 v0, vcc, v0, v42
	v_addc_co_u32_e32 v1, vcc, 0, v1, vcc
	v_add_co_u32_e32 v0, vcc, 2, v0
	v_addc_co_u32_e32 v1, vcc, 0, v1, vcc
	v_mad_u64_u32 v[2:3], s[16:17], v44, 18, v[0:1]
	v_mad_u64_u32 v[4:5], s[16:17], v46, 18, v[0:1]
	;; [unrolled: 1-line block ×8, first 2 shown]
	global_load_dword v90, v[2:3], off
	global_load_dword v92, v[4:5], off
	;; [unrolled: 1-line block ×6, first 2 shown]
                                        ; kill: killed $vgpr128_vgpr129
                                        ; kill: killed $vgpr126_vgpr127
	global_load_dword v136, v[130:131], off
	global_load_dword v137, v[132:133], off
	v_mad_u64_u32 v[2:3], s[16:17], v60, 18, v[0:1]
	v_mad_u64_u32 v[4:5], s[16:17], v62, 18, v[0:1]
	;; [unrolled: 1-line block ×8, first 2 shown]
	global_load_dword v138, v[2:3], off
	global_load_dword v139, v[4:5], off
	global_load_dword v140, v[6:7], off
	global_load_dword v141, v[98:99], off
	s_nop 0
	global_load_dword v127, v[126:127], off
	s_nop 0
	global_load_dword v142, v[128:129], off
	global_load_dword v143, v[130:131], off
	;; [unrolled: 1-line block ×3, first 2 shown]
	v_mad_u64_u32 v[0:1], s[14:15], v76, 18, s[14:15]
	v_mad_u64_u32 v[2:3], s[14:15], v78, 18, v[0:1]
	;; [unrolled: 1-line block ×5, first 2 shown]
	v_add_u32_e32 v132, s0, v79
	global_load_ushort v145, v[2:3], off
	global_load_ushort v146, v[4:5], off
	;; [unrolled: 1-line block ×4, first 2 shown]
	v_add_u32_e32 v0, v132, v83
	v_add_u32_e32 v2, v132, v89
	;; [unrolled: 1-line block ×5, first 2 shown]
	v_mad_i64_i32 v[0:1], s[14:15], v0, 36, v[86:87]
	v_mad_i64_i32 v[2:3], s[14:15], v2, 36, v[86:87]
	;; [unrolled: 1-line block ×5, first 2 shown]
	v_add_u32_e32 v128, v132, v103
	v_add_u32_e32 v130, v132, v105
	;; [unrolled: 1-line block ×3, first 2 shown]
	v_mad_i64_i32 v[128:129], s[14:15], v128, 36, v[86:87]
	v_mad_i64_i32 v[130:131], s[14:15], v130, 36, v[86:87]
	;; [unrolled: 1-line block ×3, first 2 shown]
	global_load_dword v149, v[0:1], off offset:4
	s_nop 0
	global_load_dword v2, v[2:3], off offset:4
	s_nop 0
	;; [unrolled: 2-line block ×3, first 2 shown]
	global_load_dword v4, v[6:7], off offset:4
	global_load_dword v5, v[98:99], off offset:4
	s_nop 0
	global_load_dword v6, v[128:129], off offset:4
	global_load_dword v7, v[130:131], off offset:4
	;; [unrolled: 1-line block ×3, first 2 shown]
	v_add_u32_e32 v126, s0, v88
	v_mad_u64_u32 v[0:1], s[14:15], v126, 36, s[2:3]
	global_load_dword v0, v[0:1], off
	s_mov_b32 s1, -4
	s_waitcnt vmcnt(28)
	ds_write_b32 v47, v90
	s_waitcnt vmcnt(27)
	ds_write_b32 v49, v92
	;; [unrolled: 2-line block ×16, first 2 shown]
	v_mov_b32_e32 v127, v116
	v_mov_b32_e32 v128, v115
	;; [unrolled: 1-line block ×7, first 2 shown]
	s_waitcnt vmcnt(12)
	v_cvt_f32_f16_e32 v1, v145
	s_waitcnt vmcnt(11)
	v_cvt_f32_f16_e32 v90, v146
	s_waitcnt vmcnt(10)
	v_cvt_f32_f16_e32 v92, v147
	s_waitcnt vmcnt(9)
	v_cvt_f32_f16_e32 v94, v148
	ds_write_b32 v122, v1
	ds_write_b32 v123, v90
	;; [unrolled: 1-line block ×4, first 2 shown]
	s_waitcnt vmcnt(8)
	ds_write_b32 v85, v149
	s_waitcnt vmcnt(7)
	ds_write_b32 v91, v2
	;; [unrolled: 2-line block ×9, first 2 shown]
	s_waitcnt lgkmcnt(0)
	s_barrier
.LBB157_7:                              ;   Parent Loop BB157_6 Depth=1
                                        ; =>  This Inner Loop Header: Depth=2
	ds_read_b128 v[0:3], v128
	ds_read_b128 v[4:7], v128 offset:16
	ds_read2_b32 v[98:99], v127 offset1:32
	ds_read_b32 v90, v130
	ds_read2_b32 v[138:139], v129 offset1:1
	ds_read2_b32 v[142:143], v129 offset0:2 offset1:3
	v_add_u32_e32 v94, 0x1080, v129
	v_add_u32_e32 v96, 0x2100, v129
	v_mov_b32_e32 v170, 0
	s_waitcnt lgkmcnt(1)
	v_lshrrev_b32_e32 v92, 4, v138
	v_and_b32_e32 v135, 0xf0f0f0f, v92
	v_lshrrev_b32_e32 v92, 4, v139
	v_and_b32_e32 v137, 0xf0f0f0f, v139
	v_and_b32_e32 v139, 0xf0f0f0f, v92
	s_waitcnt lgkmcnt(0)
	v_lshrrev_b32_e32 v92, 4, v142
	v_and_b32_e32 v141, 0xf0f0f0f, v92
	v_lshrrev_b32_e32 v92, 4, v143
	v_and_b32_e32 v144, 0xf0f0f0f, v92
	ds_read_b32 v92, v131
	ds_read2_b32 v[146:147], v94 offset1:1
	v_and_b32_e32 v134, 0xf0f0f0f, v138
	v_and_b32_e32 v140, 0xf0f0f0f, v142
	;; [unrolled: 1-line block ×3, first 2 shown]
	v_mov_b32_e32 v172, 0
	s_waitcnt lgkmcnt(0)
	v_lshrrev_b32_e32 v94, 4, v146
	v_and_b32_e32 v138, 0xf0f0f0f, v94
	v_lshrrev_b32_e32 v94, 4, v147
	v_and_b32_e32 v145, 0xf0f0f0f, v94
	v_add_u32_e32 v94, 0x1088, v129
	v_and_b32_e32 v136, 0xf0f0f0f, v146
	v_and_b32_e32 v143, 0xf0f0f0f, v147
	ds_read2_b32 v[146:147], v94 offset1:1
	v_mov_b32_e32 v173, 0
	v_mov_b32_e32 v174, 0
	v_dot4c_i32_i8_e32 v170, v134, v0
	v_dot4c_i32_i8_e32 v172, v136, v0
	s_waitcnt lgkmcnt(0)
	v_lshrrev_b32_e32 v94, 4, v146
	v_and_b32_e32 v149, 0xf0f0f0f, v94
	v_lshrrev_b32_e32 v94, 4, v147
	v_and_b32_e32 v151, 0xf0f0f0f, v94
	ds_read_b32 v94, v132
	ds_read2_b32 v[152:153], v96 offset1:1
	v_and_b32_e32 v150, 0xf0f0f0f, v147
	v_and_b32_e32 v148, 0xf0f0f0f, v146
	v_dot4c_i32_i8_e32 v170, v135, v4
	v_dot4c_i32_i8_e32 v172, v138, v4
	s_waitcnt lgkmcnt(0)
	v_lshrrev_b32_e32 v96, 4, v152
	v_and_b32_e32 v147, 0xf0f0f0f, v96
	v_lshrrev_b32_e32 v96, 4, v153
	v_and_b32_e32 v146, 0xf0f0f0f, v152
	v_and_b32_e32 v152, 0xf0f0f0f, v153
	;; [unrolled: 1-line block ×3, first 2 shown]
	v_add_u32_e32 v96, 0x2108, v129
	ds_read2_b32 v[154:155], v96 offset1:1
	v_dot4c_i32_i8_e32 v173, v146, v0
	v_dot4c_i32_i8_e32 v173, v147, v4
	;; [unrolled: 1-line block ×4, first 2 shown]
	s_waitcnt lgkmcnt(0)
	v_lshrrev_b32_e32 v96, 4, v154
	v_and_b32_e32 v157, 0xf0f0f0f, v96
	v_lshrrev_b32_e32 v96, 4, v155
	v_and_b32_e32 v156, 0xf0f0f0f, v154
	v_and_b32_e32 v159, 0xf0f0f0f, v96
	v_add_u32_e32 v154, 0x3180, v129
	ds_read_b32 v96, v133
	ds_read2_b32 v[160:161], v154 offset1:1
	v_and_b32_e32 v158, 0xf0f0f0f, v155
	v_dot4c_i32_i8_e32 v173, v152, v1
	v_dot4c_i32_i8_e32 v170, v139, v5
	;; [unrolled: 1-line block ×3, first 2 shown]
	s_waitcnt lgkmcnt(0)
	v_and_b32_e32 v154, 0xf0f0f0f, v160
	v_lshrrev_b32_e32 v155, 4, v160
	v_and_b32_e32 v155, 0xf0f0f0f, v155
	v_dot4c_i32_i8_e32 v174, v154, v0
	v_dot4c_i32_i8_e32 v174, v155, v4
	v_and_b32_e32 v0, 0xf0f0f0f, v161
	v_dot4c_i32_i8_e32 v174, v0, v1
	v_add_u32_e32 v1, 0x3188, v129
	v_lshrrev_b32_e32 v4, 4, v161
	ds_read2_b32 v[160:161], v1 offset1:1
	v_and_b32_e32 v4, 0xf0f0f0f, v4
	v_dot4c_i32_i8_e32 v173, v153, v5
	v_dot4c_i32_i8_e32 v174, v4, v5
	;; [unrolled: 1-line block ×3, first 2 shown]
	s_waitcnt lgkmcnt(0)
	v_and_b32_e32 v1, 0xf0f0f0f, v160
	v_lshrrev_b32_e32 v5, 4, v160
	v_dot4c_i32_i8_e32 v172, v148, v2
	v_dot4c_i32_i8_e32 v173, v156, v2
	v_and_b32_e32 v5, 0xf0f0f0f, v5
	v_dot4c_i32_i8_e32 v174, v1, v2
	v_dot4c_i32_i8_e32 v170, v141, v6
	v_dot4c_i32_i8_e32 v172, v149, v6
	v_dot4c_i32_i8_e32 v173, v157, v6
	v_dot4c_i32_i8_e32 v174, v5, v6
	v_and_b32_e32 v2, 0xf0f0f0f, v161
	v_lshrrev_b32_e32 v6, 4, v161
	ds_read_b128 v[160:163], v128 offset:1024
	ds_read_b128 v[164:167], v128 offset:1040
	v_dot4c_i32_i8_e32 v170, v142, v3
	v_dot4c_i32_i8_e32 v172, v150, v3
	v_dot4c_i32_i8_e32 v173, v158, v3
	v_dot4c_i32_i8_e32 v174, v2, v3
	v_mov_b32_e32 v3, 0
	s_waitcnt lgkmcnt(1)
	v_dot4c_i32_i8_e32 v3, v134, v160
	s_waitcnt lgkmcnt(0)
	v_dot4c_i32_i8_e32 v3, v135, v164
	v_dot4c_i32_i8_e32 v3, v137, v161
	;; [unrolled: 1-line block ×8, first 2 shown]
	v_cvt_f32_f16_e32 v169, v99
	v_cvt_f32_f16_e32 v168, v98
	v_cvt_f32_i32_e32 v171, v3
	v_mov_b32_e32 v3, 0
	v_dot4c_i32_i8_e32 v3, v136, v160
	v_dot4c_i32_i8_e32 v3, v138, v164
	v_cvt_f32_f16_sdwa v99, v99 dst_sel:DWORD dst_unused:UNUSED_PAD src0_sel:WORD_1
	v_cvt_f32_f16_sdwa v98, v98 dst_sel:DWORD dst_unused:UNUSED_PAD src0_sel:WORD_1
	v_dot4c_i32_i8_e32 v3, v143, v161
	v_cvt_f32_i32_e32 v170, v170
	v_dot4c_i32_i8_e32 v3, v145, v165
	v_dot4c_i32_i8_e32 v3, v148, v162
	;; [unrolled: 1-line block ×3, first 2 shown]
	v_pk_mul_f32 v[98:99], v[98:99], s[4:5] op_sel_hi:[1,0]
	v_dot4c_i32_i8_e32 v3, v150, v163
	v_pk_fma_f32 v[170:171], v[168:169], v[170:171], v[98:99] neg_lo:[0,0,1] neg_hi:[0,0,1]
	v_dot4c_i32_i8_e32 v3, v151, v167
	v_pk_fma_f32 v[38:39], v[90:91], v[170:171], v[38:39] op_sel_hi:[0,1,1]
	v_dot4c_i32_i8_e32 v172, v151, v7
	v_and_b32_e32 v6, 0xf0f0f0f, v6
	v_cvt_f32_i32_e32 v171, v3
	v_mov_b32_e32 v3, 0
	v_dot4c_i32_i8_e32 v3, v146, v160
	v_dot4c_i32_i8_e32 v3, v147, v164
	;; [unrolled: 1-line block ×3, first 2 shown]
	v_cvt_f32_i32_e32 v170, v172
	v_dot4c_i32_i8_e32 v3, v153, v165
	v_dot4c_i32_i8_e32 v3, v156, v162
	;; [unrolled: 1-line block ×4, first 2 shown]
	v_pk_fma_f32 v[170:171], v[168:169], v[170:171], v[98:99] neg_lo:[0,0,1] neg_hi:[0,0,1]
	v_dot4c_i32_i8_e32 v3, v159, v167
	v_pk_fma_f32 v[36:37], v[92:93], v[170:171], v[36:37] op_sel_hi:[0,1,1]
	v_dot4c_i32_i8_e32 v173, v159, v7
	v_dot4c_i32_i8_e32 v174, v6, v7
	v_cvt_f32_i32_e32 v171, v3
	v_mov_b32_e32 v3, 0
	v_dot4c_i32_i8_e32 v3, v154, v160
	v_dot4c_i32_i8_e32 v3, v155, v164
	;; [unrolled: 1-line block ×8, first 2 shown]
	v_cvt_f32_i32_e32 v170, v173
	v_cvt_f32_i32_e32 v160, v174
	v_mov_b32_e32 v7, 0
	v_cvt_f32_i32_e32 v161, v3
	v_pk_fma_f32 v[170:171], v[168:169], v[170:171], v[98:99] neg_lo:[0,0,1] neg_hi:[0,0,1]
	v_mov_b32_e32 v3, 0
	v_mov_b32_e32 v172, 0
	v_pk_fma_f32 v[98:99], v[168:169], v[160:161], v[98:99] neg_lo:[0,0,1] neg_hi:[0,0,1]
	v_pk_fma_f32 v[32:33], v[96:97], v[98:99], v[32:33] op_sel_hi:[0,1,1]
	ds_read_b128 v[160:163], v128 offset:2048
	ds_read_b128 v[164:167], v128 offset:2064
	ds_read2_b32 v[98:99], v127 offset0:64 offset1:96
	v_mov_b32_e32 v173, 0
	v_pk_fma_f32 v[34:35], v[94:95], v[170:171], v[34:35] op_sel_hi:[0,1,1]
	s_waitcnt lgkmcnt(2)
	v_dot4c_i32_i8_e32 v3, v134, v160
	v_dot4c_i32_i8_e32 v7, v136, v160
	;; [unrolled: 1-line block ×4, first 2 shown]
	s_waitcnt lgkmcnt(1)
	v_dot4c_i32_i8_e32 v3, v135, v164
	v_dot4c_i32_i8_e32 v7, v138, v164
	v_dot4c_i32_i8_e32 v172, v147, v164
	v_dot4c_i32_i8_e32 v173, v155, v164
	v_dot4c_i32_i8_e32 v3, v137, v161
	v_dot4c_i32_i8_e32 v7, v143, v161
	v_dot4c_i32_i8_e32 v172, v152, v161
	v_dot4c_i32_i8_e32 v173, v0, v161
	v_dot4c_i32_i8_e32 v3, v139, v165
	v_dot4c_i32_i8_e32 v7, v145, v165
	v_dot4c_i32_i8_e32 v172, v153, v165
	v_dot4c_i32_i8_e32 v173, v4, v165
	v_dot4c_i32_i8_e32 v3, v140, v162
	v_dot4c_i32_i8_e32 v7, v148, v162
	v_dot4c_i32_i8_e32 v172, v156, v162
	v_dot4c_i32_i8_e32 v173, v1, v162
	v_dot4c_i32_i8_e32 v3, v141, v166
	v_dot4c_i32_i8_e32 v7, v149, v166
	v_dot4c_i32_i8_e32 v172, v157, v166
	v_dot4c_i32_i8_e32 v173, v5, v166
	v_dot4c_i32_i8_e32 v3, v142, v163
	v_dot4c_i32_i8_e32 v7, v150, v163
	v_dot4c_i32_i8_e32 v172, v158, v163
	v_dot4c_i32_i8_e32 v173, v2, v163
	v_dot4c_i32_i8_e32 v3, v144, v167
	v_dot4c_i32_i8_e32 v7, v151, v167
	v_dot4c_i32_i8_e32 v172, v159, v167
	v_dot4c_i32_i8_e32 v173, v6, v167
	ds_read_b128 v[160:163], v128 offset:3072
	ds_read_b128 v[164:167], v128 offset:3088
	v_mov_b32_e32 v170, 0
	s_waitcnt lgkmcnt(2)
	v_cvt_f32_f16_e32 v169, v99
	v_cvt_f32_f16_e32 v168, v98
	s_waitcnt lgkmcnt(1)
	v_dot4c_i32_i8_e32 v170, v134, v160
	s_waitcnt lgkmcnt(0)
	v_dot4c_i32_i8_e32 v170, v135, v164
	v_dot4c_i32_i8_e32 v170, v137, v161
	;; [unrolled: 1-line block ×7, first 2 shown]
	v_cvt_f32_f16_sdwa v99, v99 dst_sel:DWORD dst_unused:UNUSED_PAD src0_sel:WORD_1
	v_cvt_f32_f16_sdwa v98, v98 dst_sel:DWORD dst_unused:UNUSED_PAD src0_sel:WORD_1
	s_add_i32 s1, s1, 4
	v_cvt_f32_i32_e32 v171, v170
	v_cvt_f32_i32_e32 v170, v3
	v_mov_b32_e32 v3, 0
	v_dot4c_i32_i8_e32 v3, v136, v160
	v_dot4c_i32_i8_e32 v3, v138, v164
	;; [unrolled: 1-line block ×6, first 2 shown]
	v_pk_mul_f32 v[98:99], v[98:99], s[4:5] op_sel_hi:[1,0]
	v_dot4c_i32_i8_e32 v3, v150, v163
	v_pk_fma_f32 v[170:171], v[170:171], v[168:169], v[98:99] neg_lo:[0,0,1] neg_hi:[0,0,1]
	v_dot4c_i32_i8_e32 v3, v151, v167
	v_pk_fma_f32 v[30:31], v[90:91], v[170:171], v[30:31] op_sel_hi:[0,1,1]
	v_cvt_f32_i32_e32 v170, v7
	v_mov_b32_e32 v7, 0
	v_cvt_f32_i32_e32 v171, v3
	v_mov_b32_e32 v3, 0
	v_dot4c_i32_i8_e32 v3, v146, v160
	v_dot4c_i32_i8_e32 v3, v147, v164
	;; [unrolled: 1-line block ×7, first 2 shown]
	v_pk_fma_f32 v[170:171], v[170:171], v[168:169], v[98:99] neg_lo:[0,0,1] neg_hi:[0,0,1]
	v_dot4c_i32_i8_e32 v3, v159, v167
	v_pk_fma_f32 v[28:29], v[92:93], v[170:171], v[28:29] op_sel_hi:[0,1,1]
	v_cvt_f32_i32_e32 v170, v172
	v_mov_b32_e32 v172, 0
	v_cvt_f32_i32_e32 v171, v3
	v_mov_b32_e32 v3, 0
	v_dot4c_i32_i8_e32 v3, v154, v160
	v_dot4c_i32_i8_e32 v3, v155, v164
	;; [unrolled: 1-line block ×8, first 2 shown]
	v_cvt_f32_i32_e32 v160, v173
	v_pk_fma_f32 v[170:171], v[170:171], v[168:169], v[98:99] neg_lo:[0,0,1] neg_hi:[0,0,1]
	v_mov_b32_e32 v173, 0
	v_cvt_f32_i32_e32 v161, v3
	v_mov_b32_e32 v3, 0
	v_pk_fma_f32 v[26:27], v[94:95], v[170:171], v[26:27] op_sel_hi:[0,1,1]
	v_mov_b32_e32 v170, 0
	v_pk_fma_f32 v[98:99], v[160:161], v[168:169], v[98:99] neg_lo:[0,0,1] neg_hi:[0,0,1]
	v_pk_fma_f32 v[24:25], v[96:97], v[98:99], v[24:25] op_sel_hi:[0,1,1]
	ds_read_b128 v[160:163], v128 offset:4096
	ds_read_b128 v[164:167], v128 offset:4112
	ds_read2_b32 v[98:99], v127 offset0:128 offset1:160
	v_add_u32_e32 v133, 4, v133
	v_add_u32_e32 v132, 4, v132
	s_waitcnt lgkmcnt(2)
	v_dot4c_i32_i8_e32 v3, v134, v160
	v_dot4c_i32_i8_e32 v7, v136, v160
	;; [unrolled: 1-line block ×4, first 2 shown]
	s_waitcnt lgkmcnt(1)
	v_dot4c_i32_i8_e32 v3, v135, v164
	v_dot4c_i32_i8_e32 v7, v138, v164
	;; [unrolled: 1-line block ×28, first 2 shown]
	ds_read_b128 v[160:163], v128 offset:5120
	ds_read_b128 v[164:167], v128 offset:5136
	s_waitcnt lgkmcnt(2)
	v_cvt_f32_f16_e32 v169, v99
	v_cvt_f32_f16_e32 v168, v98
	v_cvt_f32_f16_sdwa v99, v99 dst_sel:DWORD dst_unused:UNUSED_PAD src0_sel:WORD_1
	s_waitcnt lgkmcnt(1)
	v_dot4c_i32_i8_e32 v170, v134, v160
	s_waitcnt lgkmcnt(0)
	v_dot4c_i32_i8_e32 v170, v135, v164
	v_dot4c_i32_i8_e32 v170, v137, v161
	;; [unrolled: 1-line block ×7, first 2 shown]
	v_cvt_f32_f16_sdwa v98, v98 dst_sel:DWORD dst_unused:UNUSED_PAD src0_sel:WORD_1
	v_add_u32_e32 v131, 4, v131
	v_add_u32_e32 v130, 4, v130
	v_cvt_f32_i32_e32 v171, v170
	v_cvt_f32_i32_e32 v170, v3
	v_mov_b32_e32 v3, 0
	v_dot4c_i32_i8_e32 v3, v136, v160
	v_dot4c_i32_i8_e32 v3, v138, v164
	;; [unrolled: 1-line block ×6, first 2 shown]
	v_pk_mul_f32 v[98:99], v[98:99], s[4:5] op_sel_hi:[1,0]
	v_dot4c_i32_i8_e32 v3, v150, v163
	v_pk_fma_f32 v[170:171], v[170:171], v[168:169], v[98:99] neg_lo:[0,0,1] neg_hi:[0,0,1]
	v_dot4c_i32_i8_e32 v3, v151, v167
	v_pk_fma_f32 v[22:23], v[90:91], v[170:171], v[22:23] op_sel_hi:[0,1,1]
	v_cvt_f32_i32_e32 v170, v7
	v_mov_b32_e32 v7, 0
	v_cvt_f32_i32_e32 v171, v3
	v_mov_b32_e32 v3, 0
	v_dot4c_i32_i8_e32 v3, v146, v160
	v_dot4c_i32_i8_e32 v3, v147, v164
	;; [unrolled: 1-line block ×7, first 2 shown]
	v_pk_fma_f32 v[170:171], v[170:171], v[168:169], v[98:99] neg_lo:[0,0,1] neg_hi:[0,0,1]
	v_dot4c_i32_i8_e32 v3, v159, v167
	v_pk_fma_f32 v[20:21], v[92:93], v[170:171], v[20:21] op_sel_hi:[0,1,1]
	v_cvt_f32_i32_e32 v170, v172
	v_add_u32_e32 v129, 16, v129
	v_cvt_f32_i32_e32 v171, v3
	v_mov_b32_e32 v3, 0
	v_dot4c_i32_i8_e32 v3, v154, v160
	v_dot4c_i32_i8_e32 v3, v155, v164
	;; [unrolled: 1-line block ×8, first 2 shown]
	v_cvt_f32_i32_e32 v160, v173
	v_pk_fma_f32 v[170:171], v[170:171], v[168:169], v[98:99] neg_lo:[0,0,1] neg_hi:[0,0,1]
	v_pk_fma_f32 v[18:19], v[94:95], v[170:171], v[18:19] op_sel_hi:[0,1,1]
	v_cvt_f32_i32_e32 v161, v3
	v_mov_b32_e32 v3, 0
	v_mov_b32_e32 v170, 0
	s_cmp_lt_u32 s1, 12
	v_pk_fma_f32 v[98:99], v[160:161], v[168:169], v[98:99] neg_lo:[0,0,1] neg_hi:[0,0,1]
	v_pk_fma_f32 v[16:17], v[96:97], v[98:99], v[16:17] op_sel_hi:[0,1,1]
	ds_read_b128 v[160:163], v128 offset:6144
	ds_read_b128 v[164:167], v128 offset:6160
	ds_read2_b32 v[98:99], v127 offset0:192 offset1:224
	v_mov_b32_e32 v168, 0
	v_mov_b32_e32 v169, 0
	s_waitcnt lgkmcnt(2)
	v_dot4c_i32_i8_e32 v3, v134, v160
	v_dot4c_i32_i8_e32 v7, v136, v160
	;; [unrolled: 1-line block ×4, first 2 shown]
	s_waitcnt lgkmcnt(1)
	v_dot4c_i32_i8_e32 v3, v135, v164
	v_dot4c_i32_i8_e32 v7, v138, v164
	;; [unrolled: 1-line block ×28, first 2 shown]
	ds_read_b128 v[160:163], v128 offset:7168
	ds_read_b128 v[164:167], v128 offset:7184
	v_add_u32_e32 v128, 32, v128
	v_add_u32_e32 v127, 4, v127
	s_waitcnt lgkmcnt(1)
	v_dot4c_i32_i8_e32 v170, v134, v160
	s_waitcnt lgkmcnt(0)
	v_dot4c_i32_i8_e32 v170, v135, v164
	v_dot4c_i32_i8_e32 v170, v137, v161
	;; [unrolled: 1-line block ×4, first 2 shown]
	v_cvt_f32_i32_e32 v140, v3
	v_mov_b32_e32 v3, 0
	v_dot4c_i32_i8_e32 v3, v136, v160
	v_dot4c_i32_i8_e32 v3, v138, v164
	;; [unrolled: 1-line block ×8, first 2 shown]
	v_cvt_f32_f16_e32 v135, v99
	v_cvt_f32_f16_e32 v134, v98
	v_cvt_f32_f16_sdwa v99, v99 dst_sel:DWORD dst_unused:UNUSED_PAD src0_sel:WORD_1
	v_cvt_f32_i32_e32 v137, v3
	v_mov_b32_e32 v3, 0
	v_dot4c_i32_i8_e32 v3, v146, v160
	v_dot4c_i32_i8_e32 v3, v147, v164
	v_cvt_f32_f16_sdwa v98, v98 dst_sel:DWORD dst_unused:UNUSED_PAD src0_sel:WORD_1
	v_dot4c_i32_i8_e32 v3, v152, v161
	v_cvt_f32_i32_e32 v136, v7
	v_dot4c_i32_i8_e32 v3, v153, v165
	v_dot4c_i32_i8_e32 v3, v156, v162
	;; [unrolled: 1-line block ×3, first 2 shown]
	v_pk_mul_f32 v[98:99], v[98:99], s[4:5] op_sel_hi:[1,0]
	v_dot4c_i32_i8_e32 v3, v158, v163
	v_pk_fma_f32 v[136:137], v[136:137], v[134:135], v[98:99] neg_lo:[0,0,1] neg_hi:[0,0,1]
	v_dot4c_i32_i8_e32 v3, v159, v167
	v_pk_fma_f32 v[12:13], v[92:93], v[136:137], v[12:13] op_sel_hi:[0,1,1]
	v_dot4c_i32_i8_e32 v170, v141, v166
	v_dot4c_i32_i8_e32 v170, v142, v163
	v_cvt_f32_i32_e32 v137, v3
	v_mov_b32_e32 v3, 0
	v_dot4c_i32_i8_e32 v3, v154, v160
	v_dot4c_i32_i8_e32 v3, v155, v164
	;; [unrolled: 1-line block ×9, first 2 shown]
	v_cvt_f32_i32_e32 v136, v168
	v_cvt_f32_i32_e32 v0, v169
	v_cvt_f32_i32_e32 v141, v170
	v_cvt_f32_i32_e32 v1, v3
	v_pk_fma_f32 v[136:137], v[136:137], v[134:135], v[98:99] neg_lo:[0,0,1] neg_hi:[0,0,1]
	v_pk_fma_f32 v[10:11], v[94:95], v[136:137], v[10:11] op_sel_hi:[0,1,1]
	v_pk_fma_f32 v[140:141], v[140:141], v[134:135], v[98:99] neg_lo:[0,0,1] neg_hi:[0,0,1]
	v_pk_fma_f32 v[0:1], v[0:1], v[134:135], v[98:99] neg_lo:[0,0,1] neg_hi:[0,0,1]
	v_pk_fma_f32 v[14:15], v[90:91], v[140:141], v[14:15] op_sel_hi:[0,1,1]
	v_pk_fma_f32 v[8:9], v[96:97], v[0:1], v[8:9] op_sel_hi:[0,1,1]
	s_cbranch_scc1 .LBB157_7
; %bb.8:                                ;   in Loop: Header=BB157_6 Depth=1
	s_or_b32 s1, s0, 4
	s_cmp_ge_i32 s1, s5
	s_barrier
	s_cbranch_scc1 .LBB157_5
; %bb.9:                                ;   in Loop: Header=BB157_6 Depth=1
	v_add_u32_e32 v90, s0, v110
	v_add_u32_e32 v92, v90, v101
	;; [unrolled: 1-line block ×6, first 2 shown]
	v_mad_i64_i32 v[98:99], s[14:15], v92, 36, v[86:87]
	v_add_u32_e32 v92, v90, v103
	v_mad_i64_i32 v[0:1], s[14:15], v0, 36, v[86:87]
	v_mad_i64_i32 v[2:3], s[14:15], v2, 36, v[86:87]
	;; [unrolled: 1-line block ×5, first 2 shown]
	v_add_u32_e32 v92, v90, v105
	v_add_u32_e32 v90, v90, v107
	v_mad_i64_i32 v[130:131], s[14:15], v92, 36, v[86:87]
	v_mad_i64_i32 v[132:133], s[14:15], v90, 36, v[86:87]
	global_load_dword v90, v[0:1], off offset:4
	s_nop 0
	global_load_dword v2, v[2:3], off offset:4
	s_nop 0
	;; [unrolled: 2-line block ×3, first 2 shown]
	global_load_dword v4, v[6:7], off offset:4
	global_load_dword v5, v[98:99], off offset:4
                                        ; kill: killed $vgpr6_vgpr7
                                        ; kill: killed $vgpr98_vgpr99
	s_nop 0
	global_load_dword v6, v[128:129], off offset:4
	global_load_dword v7, v[130:131], off offset:4
	;; [unrolled: 1-line block ×3, first 2 shown]
	v_add_u32_e32 v0, 4, v126
	v_mad_u64_u32 v[0:1], s[14:15], v0, 36, s[2:3]
	global_load_dword v0, v[0:1], off
	s_mov_b32 s1, 12
	v_mov_b32_e32 v126, v116
	v_mov_b32_e32 v127, v115
	;; [unrolled: 1-line block ×7, first 2 shown]
	s_waitcnt vmcnt(8)
	ds_write_b32 v85, v90
	s_waitcnt vmcnt(7)
	ds_write_b32 v91, v2
	;; [unrolled: 2-line block ×9, first 2 shown]
	s_waitcnt lgkmcnt(0)
	s_barrier
.LBB157_10:                             ;   Parent Loop BB157_6 Depth=1
                                        ; =>  This Inner Loop Header: Depth=2
	ds_read_b128 v[0:3], v127
	ds_read_b128 v[4:7], v127 offset:16
	ds_read2_b32 v[98:99], v126 offset1:32
	ds_read_b32 v90, v129
	ds_read2_b32 v[134:135], v128 offset1:1
	ds_read2_b32 v[142:143], v128 offset0:2 offset1:3
	v_add_u32_e32 v94, 0x1080, v128
	v_add_u32_e32 v96, 0x2100, v128
	v_mov_b32_e32 v170, 0
	s_waitcnt lgkmcnt(1)
	v_lshrrev_b32_e32 v92, 4, v134
	v_and_b32_e32 v133, 0xf0f0f0f, v134
	v_and_b32_e32 v134, 0xf0f0f0f, v92
	v_lshrrev_b32_e32 v92, 4, v135
	v_and_b32_e32 v138, 0xf0f0f0f, v92
	s_waitcnt lgkmcnt(0)
	v_lshrrev_b32_e32 v92, 4, v142
	v_and_b32_e32 v140, 0xf0f0f0f, v92
	v_lshrrev_b32_e32 v92, 4, v143
	v_and_b32_e32 v141, 0xf0f0f0f, v143
	v_and_b32_e32 v143, 0xf0f0f0f, v92
	ds_read_b32 v92, v130
	ds_read2_b32 v[144:145], v94 offset1:1
	v_and_b32_e32 v136, 0xf0f0f0f, v135
	v_and_b32_e32 v139, 0xf0f0f0f, v142
	v_mov_b32_e32 v172, 0
	v_mov_b32_e32 v173, 0
	s_waitcnt lgkmcnt(0)
	v_lshrrev_b32_e32 v94, 4, v144
	v_and_b32_e32 v137, 0xf0f0f0f, v94
	v_lshrrev_b32_e32 v94, 4, v145
	v_and_b32_e32 v135, 0xf0f0f0f, v144
	v_and_b32_e32 v144, 0xf0f0f0f, v94
	v_add_u32_e32 v94, 0x1088, v128
	ds_read2_b32 v[150:151], v94 offset1:1
	v_and_b32_e32 v142, 0xf0f0f0f, v145
	v_dot4c_i32_i8_e32 v170, v133, v0
	v_dot4c_i32_i8_e32 v172, v135, v0
	;; [unrolled: 1-line block ×3, first 2 shown]
	s_waitcnt lgkmcnt(0)
	v_lshrrev_b32_e32 v94, 4, v150
	v_and_b32_e32 v148, 0xf0f0f0f, v94
	v_lshrrev_b32_e32 v94, 4, v151
	v_and_b32_e32 v147, 0xf0f0f0f, v150
	v_and_b32_e32 v150, 0xf0f0f0f, v94
	ds_read_b32 v94, v131
	ds_read2_b32 v[152:153], v96 offset1:1
	v_and_b32_e32 v149, 0xf0f0f0f, v151
	v_dot4c_i32_i8_e32 v172, v137, v4
	v_dot4c_i32_i8_e32 v170, v136, v1
	v_dot4c_i32_i8_e32 v172, v142, v1
	s_waitcnt lgkmcnt(0)
	v_lshrrev_b32_e32 v96, 4, v152
	v_and_b32_e32 v146, 0xf0f0f0f, v96
	v_lshrrev_b32_e32 v96, 4, v153
	v_and_b32_e32 v145, 0xf0f0f0f, v152
	v_and_b32_e32 v152, 0xf0f0f0f, v96
	v_add_u32_e32 v96, 0x2108, v128
	ds_read2_b32 v[158:159], v96 offset1:1
	v_and_b32_e32 v151, 0xf0f0f0f, v153
	v_add_u32_e32 v153, 0x3180, v128
	v_dot4c_i32_i8_e32 v173, v145, v0
	v_dot4c_i32_i8_e32 v173, v146, v4
	s_waitcnt lgkmcnt(0)
	v_lshrrev_b32_e32 v96, 4, v158
	v_and_b32_e32 v156, 0xf0f0f0f, v96
	v_lshrrev_b32_e32 v96, 4, v159
	v_and_b32_e32 v155, 0xf0f0f0f, v158
	v_and_b32_e32 v158, 0xf0f0f0f, v96
	ds_read_b32 v96, v132
	ds_read2_b32 v[160:161], v153 offset1:1
	v_and_b32_e32 v157, 0xf0f0f0f, v159
	v_mov_b32_e32 v159, 0
	v_dot4c_i32_i8_e32 v173, v151, v1
	v_dot4c_i32_i8_e32 v170, v138, v5
	s_waitcnt lgkmcnt(0)
	v_and_b32_e32 v153, 0xf0f0f0f, v160
	v_lshrrev_b32_e32 v154, 4, v160
	v_and_b32_e32 v154, 0xf0f0f0f, v154
	v_dot4c_i32_i8_e32 v159, v153, v0
	v_dot4c_i32_i8_e32 v159, v154, v4
	v_and_b32_e32 v0, 0xf0f0f0f, v161
	v_dot4c_i32_i8_e32 v159, v0, v1
	v_add_u32_e32 v1, 0x3188, v128
	v_lshrrev_b32_e32 v4, 4, v161
	ds_read2_b32 v[160:161], v1 offset1:1
	v_and_b32_e32 v4, 0xf0f0f0f, v4
	v_dot4c_i32_i8_e32 v172, v144, v5
	v_dot4c_i32_i8_e32 v173, v152, v5
	;; [unrolled: 1-line block ×3, first 2 shown]
	s_waitcnt lgkmcnt(0)
	v_and_b32_e32 v1, 0xf0f0f0f, v160
	v_lshrrev_b32_e32 v5, 4, v160
	v_dot4c_i32_i8_e32 v170, v139, v2
	v_dot4c_i32_i8_e32 v172, v147, v2
	;; [unrolled: 1-line block ×3, first 2 shown]
	v_and_b32_e32 v5, 0xf0f0f0f, v5
	v_dot4c_i32_i8_e32 v159, v1, v2
	v_dot4c_i32_i8_e32 v170, v140, v6
	;; [unrolled: 1-line block ×5, first 2 shown]
	v_and_b32_e32 v2, 0xf0f0f0f, v161
	v_lshrrev_b32_e32 v6, 4, v161
	ds_read_b128 v[160:163], v127 offset:1024
	ds_read_b128 v[164:167], v127 offset:1040
	v_dot4c_i32_i8_e32 v170, v141, v3
	v_dot4c_i32_i8_e32 v172, v149, v3
	;; [unrolled: 1-line block ×4, first 2 shown]
	v_mov_b32_e32 v3, 0
	s_waitcnt lgkmcnt(1)
	v_dot4c_i32_i8_e32 v3, v133, v160
	s_waitcnt lgkmcnt(0)
	v_dot4c_i32_i8_e32 v3, v134, v164
	v_dot4c_i32_i8_e32 v3, v136, v161
	;; [unrolled: 1-line block ×8, first 2 shown]
	v_cvt_f32_f16_e32 v169, v99
	v_cvt_f32_f16_e32 v168, v98
	v_cvt_f32_i32_e32 v171, v3
	v_mov_b32_e32 v3, 0
	v_dot4c_i32_i8_e32 v3, v135, v160
	v_dot4c_i32_i8_e32 v3, v137, v164
	v_cvt_f32_f16_sdwa v99, v99 dst_sel:DWORD dst_unused:UNUSED_PAD src0_sel:WORD_1
	v_cvt_f32_f16_sdwa v98, v98 dst_sel:DWORD dst_unused:UNUSED_PAD src0_sel:WORD_1
	v_dot4c_i32_i8_e32 v3, v142, v161
	v_cvt_f32_i32_e32 v170, v170
	v_dot4c_i32_i8_e32 v3, v144, v165
	v_dot4c_i32_i8_e32 v3, v147, v162
	v_dot4c_i32_i8_e32 v3, v148, v166
	v_pk_mul_f32 v[98:99], v[98:99], s[4:5] op_sel_hi:[1,0]
	v_dot4c_i32_i8_e32 v3, v149, v163
	v_pk_fma_f32 v[170:171], v[168:169], v[170:171], v[98:99] neg_lo:[0,0,1] neg_hi:[0,0,1]
	v_dot4c_i32_i8_e32 v3, v150, v167
	v_pk_fma_f32 v[38:39], v[90:91], v[170:171], v[38:39] op_sel_hi:[0,1,1]
	v_dot4c_i32_i8_e32 v172, v150, v7
	v_and_b32_e32 v6, 0xf0f0f0f, v6
	v_cvt_f32_i32_e32 v171, v3
	v_mov_b32_e32 v3, 0
	v_dot4c_i32_i8_e32 v3, v145, v160
	v_dot4c_i32_i8_e32 v3, v146, v164
	;; [unrolled: 1-line block ×3, first 2 shown]
	v_cvt_f32_i32_e32 v170, v172
	v_dot4c_i32_i8_e32 v3, v152, v165
	v_dot4c_i32_i8_e32 v3, v155, v162
	;; [unrolled: 1-line block ×4, first 2 shown]
	v_pk_fma_f32 v[170:171], v[168:169], v[170:171], v[98:99] neg_lo:[0,0,1] neg_hi:[0,0,1]
	v_dot4c_i32_i8_e32 v3, v158, v167
	v_pk_fma_f32 v[36:37], v[92:93], v[170:171], v[36:37] op_sel_hi:[0,1,1]
	v_dot4c_i32_i8_e32 v173, v158, v7
	v_dot4c_i32_i8_e32 v159, v6, v7
	v_cvt_f32_i32_e32 v171, v3
	v_mov_b32_e32 v3, 0
	v_dot4c_i32_i8_e32 v3, v153, v160
	v_dot4c_i32_i8_e32 v3, v154, v164
	;; [unrolled: 1-line block ×8, first 2 shown]
	v_cvt_f32_i32_e32 v170, v173
	v_cvt_f32_i32_e32 v160, v159
	v_mov_b32_e32 v7, 0
	v_cvt_f32_i32_e32 v161, v3
	v_pk_fma_f32 v[170:171], v[168:169], v[170:171], v[98:99] neg_lo:[0,0,1] neg_hi:[0,0,1]
	v_mov_b32_e32 v3, 0
	v_mov_b32_e32 v159, 0
	v_pk_fma_f32 v[98:99], v[168:169], v[160:161], v[98:99] neg_lo:[0,0,1] neg_hi:[0,0,1]
	v_pk_fma_f32 v[32:33], v[96:97], v[98:99], v[32:33] op_sel_hi:[0,1,1]
	ds_read_b128 v[160:163], v127 offset:2048
	ds_read_b128 v[164:167], v127 offset:2064
	ds_read2_b32 v[98:99], v126 offset0:64 offset1:96
	v_mov_b32_e32 v172, 0
	v_pk_fma_f32 v[34:35], v[94:95], v[170:171], v[34:35] op_sel_hi:[0,1,1]
	s_waitcnt lgkmcnt(2)
	v_dot4c_i32_i8_e32 v3, v133, v160
	v_dot4c_i32_i8_e32 v7, v135, v160
	;; [unrolled: 1-line block ×4, first 2 shown]
	s_waitcnt lgkmcnt(1)
	v_dot4c_i32_i8_e32 v3, v134, v164
	v_dot4c_i32_i8_e32 v7, v137, v164
	;; [unrolled: 1-line block ×28, first 2 shown]
	ds_read_b128 v[160:163], v127 offset:3072
	ds_read_b128 v[164:167], v127 offset:3088
	v_mov_b32_e32 v170, 0
	s_waitcnt lgkmcnt(2)
	v_cvt_f32_f16_e32 v169, v99
	v_cvt_f32_f16_e32 v168, v98
	s_waitcnt lgkmcnt(1)
	v_dot4c_i32_i8_e32 v170, v133, v160
	s_waitcnt lgkmcnt(0)
	v_dot4c_i32_i8_e32 v170, v134, v164
	v_dot4c_i32_i8_e32 v170, v136, v161
	;; [unrolled: 1-line block ×7, first 2 shown]
	v_cvt_f32_f16_sdwa v99, v99 dst_sel:DWORD dst_unused:UNUSED_PAD src0_sel:WORD_1
	v_cvt_f32_f16_sdwa v98, v98 dst_sel:DWORD dst_unused:UNUSED_PAD src0_sel:WORD_1
	s_add_i32 s1, s1, 4
	v_cvt_f32_i32_e32 v171, v170
	v_cvt_f32_i32_e32 v170, v3
	v_mov_b32_e32 v3, 0
	v_dot4c_i32_i8_e32 v3, v135, v160
	v_dot4c_i32_i8_e32 v3, v137, v164
	;; [unrolled: 1-line block ×6, first 2 shown]
	v_pk_mul_f32 v[98:99], v[98:99], s[4:5] op_sel_hi:[1,0]
	v_dot4c_i32_i8_e32 v3, v149, v163
	v_pk_fma_f32 v[170:171], v[170:171], v[168:169], v[98:99] neg_lo:[0,0,1] neg_hi:[0,0,1]
	v_dot4c_i32_i8_e32 v3, v150, v167
	v_pk_fma_f32 v[30:31], v[90:91], v[170:171], v[30:31] op_sel_hi:[0,1,1]
	v_cvt_f32_i32_e32 v170, v7
	v_mov_b32_e32 v7, 0
	v_cvt_f32_i32_e32 v171, v3
	v_mov_b32_e32 v3, 0
	v_dot4c_i32_i8_e32 v3, v145, v160
	v_dot4c_i32_i8_e32 v3, v146, v164
	;; [unrolled: 1-line block ×7, first 2 shown]
	v_pk_fma_f32 v[170:171], v[170:171], v[168:169], v[98:99] neg_lo:[0,0,1] neg_hi:[0,0,1]
	v_dot4c_i32_i8_e32 v3, v158, v167
	v_pk_fma_f32 v[28:29], v[92:93], v[170:171], v[28:29] op_sel_hi:[0,1,1]
	v_cvt_f32_i32_e32 v170, v159
	v_mov_b32_e32 v159, 0
	v_cvt_f32_i32_e32 v171, v3
	v_mov_b32_e32 v3, 0
	v_dot4c_i32_i8_e32 v3, v153, v160
	v_dot4c_i32_i8_e32 v3, v154, v164
	;; [unrolled: 1-line block ×8, first 2 shown]
	v_cvt_f32_i32_e32 v160, v172
	v_pk_fma_f32 v[170:171], v[170:171], v[168:169], v[98:99] neg_lo:[0,0,1] neg_hi:[0,0,1]
	v_mov_b32_e32 v172, 0
	v_cvt_f32_i32_e32 v161, v3
	v_mov_b32_e32 v3, 0
	v_pk_fma_f32 v[26:27], v[94:95], v[170:171], v[26:27] op_sel_hi:[0,1,1]
	v_mov_b32_e32 v170, 0
	v_pk_fma_f32 v[98:99], v[160:161], v[168:169], v[98:99] neg_lo:[0,0,1] neg_hi:[0,0,1]
	v_pk_fma_f32 v[24:25], v[96:97], v[98:99], v[24:25] op_sel_hi:[0,1,1]
	ds_read_b128 v[160:163], v127 offset:4096
	ds_read_b128 v[164:167], v127 offset:4112
	ds_read2_b32 v[98:99], v126 offset0:128 offset1:160
	v_add_u32_e32 v132, 4, v132
	v_add_u32_e32 v131, 4, v131
	s_waitcnt lgkmcnt(2)
	v_dot4c_i32_i8_e32 v3, v133, v160
	v_dot4c_i32_i8_e32 v7, v135, v160
	;; [unrolled: 1-line block ×4, first 2 shown]
	s_waitcnt lgkmcnt(1)
	v_dot4c_i32_i8_e32 v3, v134, v164
	v_dot4c_i32_i8_e32 v7, v137, v164
	;; [unrolled: 1-line block ×28, first 2 shown]
	ds_read_b128 v[160:163], v127 offset:5120
	ds_read_b128 v[164:167], v127 offset:5136
	s_waitcnt lgkmcnt(2)
	v_cvt_f32_f16_e32 v169, v99
	v_cvt_f32_f16_e32 v168, v98
	v_cvt_f32_f16_sdwa v99, v99 dst_sel:DWORD dst_unused:UNUSED_PAD src0_sel:WORD_1
	s_waitcnt lgkmcnt(1)
	v_dot4c_i32_i8_e32 v170, v133, v160
	s_waitcnt lgkmcnt(0)
	v_dot4c_i32_i8_e32 v170, v134, v164
	v_dot4c_i32_i8_e32 v170, v136, v161
	;; [unrolled: 1-line block ×7, first 2 shown]
	v_cvt_f32_f16_sdwa v98, v98 dst_sel:DWORD dst_unused:UNUSED_PAD src0_sel:WORD_1
	v_add_u32_e32 v130, 4, v130
	v_add_u32_e32 v129, 4, v129
	v_cvt_f32_i32_e32 v171, v170
	v_cvt_f32_i32_e32 v170, v3
	v_mov_b32_e32 v3, 0
	v_dot4c_i32_i8_e32 v3, v135, v160
	v_dot4c_i32_i8_e32 v3, v137, v164
	;; [unrolled: 1-line block ×6, first 2 shown]
	v_pk_mul_f32 v[98:99], v[98:99], s[4:5] op_sel_hi:[1,0]
	v_dot4c_i32_i8_e32 v3, v149, v163
	v_pk_fma_f32 v[170:171], v[170:171], v[168:169], v[98:99] neg_lo:[0,0,1] neg_hi:[0,0,1]
	v_dot4c_i32_i8_e32 v3, v150, v167
	v_pk_fma_f32 v[22:23], v[90:91], v[170:171], v[22:23] op_sel_hi:[0,1,1]
	v_cvt_f32_i32_e32 v170, v7
	v_mov_b32_e32 v7, 0
	v_cvt_f32_i32_e32 v171, v3
	v_mov_b32_e32 v3, 0
	v_dot4c_i32_i8_e32 v3, v145, v160
	v_dot4c_i32_i8_e32 v3, v146, v164
	;; [unrolled: 1-line block ×7, first 2 shown]
	v_pk_fma_f32 v[170:171], v[170:171], v[168:169], v[98:99] neg_lo:[0,0,1] neg_hi:[0,0,1]
	v_dot4c_i32_i8_e32 v3, v158, v167
	v_pk_fma_f32 v[20:21], v[92:93], v[170:171], v[20:21] op_sel_hi:[0,1,1]
	v_cvt_f32_i32_e32 v170, v159
	v_mov_b32_e32 v159, 0
	v_cvt_f32_i32_e32 v171, v3
	v_mov_b32_e32 v3, 0
	v_dot4c_i32_i8_e32 v3, v153, v160
	v_dot4c_i32_i8_e32 v3, v154, v164
	;; [unrolled: 1-line block ×8, first 2 shown]
	v_cvt_f32_i32_e32 v160, v172
	v_pk_fma_f32 v[170:171], v[170:171], v[168:169], v[98:99] neg_lo:[0,0,1] neg_hi:[0,0,1]
	v_pk_fma_f32 v[18:19], v[94:95], v[170:171], v[18:19] op_sel_hi:[0,1,1]
	v_cvt_f32_i32_e32 v161, v3
	v_mov_b32_e32 v3, 0
	v_add_u32_e32 v128, 16, v128
	s_cmp_lt_u32 s1, 28
	v_pk_fma_f32 v[98:99], v[160:161], v[168:169], v[98:99] neg_lo:[0,0,1] neg_hi:[0,0,1]
	v_pk_fma_f32 v[16:17], v[96:97], v[98:99], v[16:17] op_sel_hi:[0,1,1]
	ds_read_b128 v[160:163], v127 offset:6144
	ds_read_b128 v[164:167], v127 offset:6160
	ds_read2_b32 v[98:99], v126 offset0:192 offset1:224
	v_mov_b32_e32 v168, 0
	v_mov_b32_e32 v169, 0
	s_waitcnt lgkmcnt(2)
	v_dot4c_i32_i8_e32 v3, v133, v160
	v_dot4c_i32_i8_e32 v7, v135, v160
	;; [unrolled: 1-line block ×4, first 2 shown]
	s_waitcnt lgkmcnt(1)
	v_dot4c_i32_i8_e32 v3, v134, v164
	v_dot4c_i32_i8_e32 v7, v137, v164
	;; [unrolled: 1-line block ×28, first 2 shown]
	ds_read_b128 v[160:163], v127 offset:7168
	ds_read_b128 v[164:167], v127 offset:7184
	v_add_u32_e32 v127, 32, v127
	v_add_u32_e32 v126, 4, v126
	s_waitcnt lgkmcnt(1)
	v_dot4c_i32_i8_e32 v169, v133, v160
	s_waitcnt lgkmcnt(0)
	v_dot4c_i32_i8_e32 v169, v134, v164
	v_dot4c_i32_i8_e32 v169, v136, v161
	;; [unrolled: 1-line block ×5, first 2 shown]
	v_cvt_f32_i32_e32 v140, v3
	v_mov_b32_e32 v3, 0
	v_dot4c_i32_i8_e32 v3, v135, v160
	v_dot4c_i32_i8_e32 v3, v137, v164
	;; [unrolled: 1-line block ×8, first 2 shown]
	v_cvt_f32_f16_e32 v139, v99
	v_cvt_f32_f16_e32 v138, v98
	v_cvt_f32_f16_sdwa v99, v99 dst_sel:DWORD dst_unused:UNUSED_PAD src0_sel:WORD_1
	v_cvt_f32_i32_e32 v135, v3
	v_mov_b32_e32 v3, 0
	v_dot4c_i32_i8_e32 v3, v145, v160
	v_dot4c_i32_i8_e32 v3, v146, v164
	v_cvt_f32_f16_sdwa v98, v98 dst_sel:DWORD dst_unused:UNUSED_PAD src0_sel:WORD_1
	v_dot4c_i32_i8_e32 v3, v151, v161
	v_cvt_f32_i32_e32 v134, v7
	v_dot4c_i32_i8_e32 v3, v152, v165
	v_dot4c_i32_i8_e32 v3, v155, v162
	;; [unrolled: 1-line block ×3, first 2 shown]
	v_pk_mul_f32 v[98:99], v[98:99], s[4:5] op_sel_hi:[1,0]
	v_dot4c_i32_i8_e32 v3, v157, v163
	v_pk_fma_f32 v[134:135], v[134:135], v[138:139], v[98:99] neg_lo:[0,0,1] neg_hi:[0,0,1]
	v_dot4c_i32_i8_e32 v3, v158, v167
	v_pk_fma_f32 v[12:13], v[92:93], v[134:135], v[12:13] op_sel_hi:[0,1,1]
	v_dot4c_i32_i8_e32 v169, v141, v163
	v_dot4c_i32_i8_e32 v169, v143, v167
	v_cvt_f32_i32_e32 v135, v3
	v_mov_b32_e32 v3, 0
	v_dot4c_i32_i8_e32 v3, v153, v160
	v_dot4c_i32_i8_e32 v3, v154, v164
	;; [unrolled: 1-line block ×8, first 2 shown]
	v_cvt_f32_i32_e32 v141, v169
	v_cvt_f32_i32_e32 v134, v159
	v_cvt_f32_i32_e32 v0, v168
	v_cvt_f32_i32_e32 v1, v3
	v_pk_fma_f32 v[140:141], v[140:141], v[138:139], v[98:99] neg_lo:[0,0,1] neg_hi:[0,0,1]
	v_pk_fma_f32 v[134:135], v[134:135], v[138:139], v[98:99] neg_lo:[0,0,1] neg_hi:[0,0,1]
	v_pk_fma_f32 v[14:15], v[90:91], v[140:141], v[14:15] op_sel_hi:[0,1,1]
	v_pk_fma_f32 v[0:1], v[0:1], v[138:139], v[98:99] neg_lo:[0,0,1] neg_hi:[0,0,1]
	v_pk_fma_f32 v[10:11], v[94:95], v[134:135], v[10:11] op_sel_hi:[0,1,1]
	v_pk_fma_f32 v[8:9], v[96:97], v[0:1], v[8:9] op_sel_hi:[0,1,1]
	s_cbranch_scc1 .LBB157_10
; %bb.11:                               ;   in Loop: Header=BB157_6 Depth=1
	s_barrier
	s_branch .LBB157_5
.LBB157_12:
	v_mov_b32_e32 v1, v43
.LBB157_13:
	v_cmp_gt_u32_e32 vcc, s8, v45
	s_and_saveexec_b64 s[0:1], vcc
	s_cbranch_execz .LBB157_64
; %bb.14:
	v_add_u32_e32 v0, s6, v41
	v_mul_lo_u32 v5, v45, s10
	v_cmp_gt_u32_e32 vcc, s10, v0
	s_and_saveexec_b64 s[2:3], vcc
	s_cbranch_execz .LBB157_16
; %bb.15:
	v_bfe_u32 v2, v38, 16, 1
	s_movk_i32 s0, 0x7fff
	v_add3_u32 v2, v38, v2, s0
	v_lshrrev_b32_e32 v2, 16, v2
	v_mov_b32_e32 v3, 0x7fc0
	v_cmp_o_f32_e64 s[0:1], v38, v38
	v_cndmask_b32_e64 v4, v3, v2, s[0:1]
	v_add_u32_e32 v2, v0, v5
	v_mov_b32_e32 v3, 0
	v_lshlrev_b64 v[2:3], 1, v[2:3]
	s_waitcnt lgkmcnt(0)
	v_mov_b32_e32 v6, s13
	v_add_co_u32_e64 v2, s[0:1], s12, v2
	v_addc_co_u32_e64 v3, s[0:1], v6, v3, s[0:1]
	global_store_short v[2:3], v4, off
.LBB157_16:
	s_or_b64 exec, exec, s[2:3]
	v_add_u32_e32 v2, 32, v0
	v_cmp_gt_u32_e64 s[0:1], s10, v2
	s_and_saveexec_b64 s[4:5], s[0:1]
	s_cbranch_execz .LBB157_18
; %bb.17:
	v_bfe_u32 v3, v36, 16, 1
	s_movk_i32 s2, 0x7fff
	v_add3_u32 v3, v36, v3, s2
	v_add_u32_e32 v6, v2, v5
	v_mov_b32_e32 v7, 0
	v_lshrrev_b32_e32 v3, 16, v3
	v_mov_b32_e32 v4, 0x7fc0
	v_cmp_o_f32_e64 s[2:3], v36, v36
	v_lshlrev_b64 v[6:7], 1, v[6:7]
	v_cndmask_b32_e64 v3, v4, v3, s[2:3]
	s_waitcnt lgkmcnt(0)
	v_mov_b32_e32 v4, s13
	v_add_co_u32_e64 v6, s[2:3], s12, v6
	v_addc_co_u32_e64 v7, s[2:3], v4, v7, s[2:3]
	global_store_short v[6:7], v3, off
.LBB157_18:
	s_or_b64 exec, exec, s[4:5]
	v_add_u32_e32 v3, 64, v0
	v_cmp_gt_u32_e64 s[2:3], s10, v3
	s_and_saveexec_b64 s[6:7], s[2:3]
	s_cbranch_execz .LBB157_20
; %bb.19:
	v_bfe_u32 v4, v34, 16, 1
	s_movk_i32 s4, 0x7fff
	v_add3_u32 v4, v34, v4, s4
	v_lshrrev_b32_e32 v4, 16, v4
	v_mov_b32_e32 v6, 0x7fc0
	v_cmp_o_f32_e64 s[4:5], v34, v34
	v_cndmask_b32_e64 v4, v6, v4, s[4:5]
	v_add_u32_e32 v6, v3, v5
	v_mov_b32_e32 v7, 0
	v_lshlrev_b64 v[6:7], 1, v[6:7]
	s_waitcnt lgkmcnt(0)
	v_mov_b32_e32 v34, s13
	v_add_co_u32_e64 v6, s[4:5], s12, v6
	v_addc_co_u32_e64 v7, s[4:5], v34, v7, s[4:5]
	global_store_short v[6:7], v4, off
.LBB157_20:
	s_or_b64 exec, exec, s[6:7]
	v_add_u32_e32 v4, 0x60, v0
	v_cmp_gt_u32_e64 s[4:5], s10, v4
	s_and_saveexec_b64 s[14:15], s[4:5]
	s_cbranch_execz .LBB157_22
; %bb.21:
	v_bfe_u32 v6, v32, 16, 1
	s_movk_i32 s6, 0x7fff
	v_add3_u32 v6, v32, v6, s6
	v_lshrrev_b32_e32 v6, 16, v6
	v_mov_b32_e32 v7, 0x7fc0
	v_cmp_o_f32_e64 s[6:7], v32, v32
	v_cndmask_b32_e64 v32, v7, v6, s[6:7]
	v_add_u32_e32 v6, v4, v5
	v_mov_b32_e32 v7, 0
	v_lshlrev_b64 v[6:7], 1, v[6:7]
	s_waitcnt lgkmcnt(0)
	v_mov_b32_e32 v5, s13
	v_add_co_u32_e64 v6, s[6:7], s12, v6
	v_addc_co_u32_e64 v7, s[6:7], v5, v7, s[6:7]
	global_store_short v[6:7], v32, off
.LBB157_22:
	s_or_b64 exec, exec, s[14:15]
	v_add3_u32 v5, v1, s11, 8
	v_cmp_gt_u32_e64 s[6:7], s8, v5
	s_and_b64 exec, exec, s[6:7]
	s_cbranch_execz .LBB157_64
; %bb.23:
	v_mul_lo_u32 v5, v5, s10
	s_and_saveexec_b64 s[14:15], vcc
	s_cbranch_execnz .LBB157_65
; %bb.24:
	s_or_b64 exec, exec, s[14:15]
	s_and_saveexec_b64 s[14:15], s[0:1]
	s_cbranch_execnz .LBB157_66
.LBB157_25:
	s_or_b64 exec, exec, s[14:15]
	s_and_saveexec_b64 s[14:15], s[2:3]
	s_cbranch_execnz .LBB157_67
.LBB157_26:
	s_or_b64 exec, exec, s[14:15]
	s_and_saveexec_b64 s[14:15], s[4:5]
	s_cbranch_execz .LBB157_28
.LBB157_27:
	v_bfe_u32 v6, v33, 16, 1
	s_movk_i32 s6, 0x7fff
	v_add3_u32 v6, v33, v6, s6
	v_lshrrev_b32_e32 v6, 16, v6
	v_mov_b32_e32 v7, 0x7fc0
	v_cmp_o_f32_e64 s[6:7], v33, v33
	v_cndmask_b32_e64 v32, v7, v6, s[6:7]
	v_add_u32_e32 v6, v5, v4
	v_mov_b32_e32 v7, 0
	v_lshlrev_b64 v[6:7], 1, v[6:7]
	s_waitcnt lgkmcnt(0)
	v_mov_b32_e32 v5, s13
	v_add_co_u32_e64 v6, s[6:7], s12, v6
	v_addc_co_u32_e64 v7, s[6:7], v5, v7, s[6:7]
	global_store_short v[6:7], v32, off
.LBB157_28:
	s_or_b64 exec, exec, s[14:15]
	v_add3_u32 v5, v1, s11, 16
	v_cmp_gt_u32_e64 s[6:7], s8, v5
	s_and_b64 exec, exec, s[6:7]
	s_cbranch_execz .LBB157_64
; %bb.29:
	v_mul_lo_u32 v5, v5, s10
	s_and_saveexec_b64 s[14:15], vcc
	s_cbranch_execnz .LBB157_68
; %bb.30:
	s_or_b64 exec, exec, s[14:15]
	s_and_saveexec_b64 s[14:15], s[0:1]
	s_cbranch_execnz .LBB157_69
.LBB157_31:
	s_or_b64 exec, exec, s[14:15]
	s_and_saveexec_b64 s[14:15], s[2:3]
	s_cbranch_execnz .LBB157_70
.LBB157_32:
	s_or_b64 exec, exec, s[14:15]
	s_and_saveexec_b64 s[14:15], s[4:5]
	s_cbranch_execz .LBB157_34
.LBB157_33:
	v_bfe_u32 v6, v24, 16, 1
	s_movk_i32 s6, 0x7fff
	v_add3_u32 v6, v24, v6, s6
	v_lshrrev_b32_e32 v6, 16, v6
	v_mov_b32_e32 v7, 0x7fc0
	v_cmp_o_f32_e64 s[6:7], v24, v24
	v_cndmask_b32_e64 v24, v7, v6, s[6:7]
	v_add_u32_e32 v6, v5, v4
	v_mov_b32_e32 v7, 0
	v_lshlrev_b64 v[6:7], 1, v[6:7]
	s_waitcnt lgkmcnt(0)
	v_mov_b32_e32 v5, s13
	v_add_co_u32_e64 v6, s[6:7], s12, v6
	v_addc_co_u32_e64 v7, s[6:7], v5, v7, s[6:7]
	global_store_short v[6:7], v24, off
.LBB157_34:
	s_or_b64 exec, exec, s[14:15]
	v_add3_u32 v5, v1, s11, 24
	v_cmp_gt_u32_e64 s[6:7], s8, v5
	s_and_b64 exec, exec, s[6:7]
	s_cbranch_execz .LBB157_64
; %bb.35:
	v_mul_lo_u32 v5, v5, s10
	s_and_saveexec_b64 s[14:15], vcc
	s_cbranch_execnz .LBB157_71
; %bb.36:
	s_or_b64 exec, exec, s[14:15]
	s_and_saveexec_b64 s[14:15], s[0:1]
	s_cbranch_execnz .LBB157_72
.LBB157_37:
	s_or_b64 exec, exec, s[14:15]
	s_and_saveexec_b64 s[14:15], s[2:3]
	s_cbranch_execnz .LBB157_73
.LBB157_38:
	s_or_b64 exec, exec, s[14:15]
	s_and_saveexec_b64 s[14:15], s[4:5]
	s_cbranch_execz .LBB157_40
.LBB157_39:
	v_bfe_u32 v6, v25, 16, 1
	s_movk_i32 s6, 0x7fff
	v_add3_u32 v6, v25, v6, s6
	v_lshrrev_b32_e32 v6, 16, v6
	v_mov_b32_e32 v7, 0x7fc0
	v_cmp_o_f32_e64 s[6:7], v25, v25
	v_cndmask_b32_e64 v24, v7, v6, s[6:7]
	v_add_u32_e32 v6, v5, v4
	v_mov_b32_e32 v7, 0
	v_lshlrev_b64 v[6:7], 1, v[6:7]
	s_waitcnt lgkmcnt(0)
	v_mov_b32_e32 v5, s13
	v_add_co_u32_e64 v6, s[6:7], s12, v6
	v_addc_co_u32_e64 v7, s[6:7], v5, v7, s[6:7]
	global_store_short v[6:7], v24, off
.LBB157_40:
	s_or_b64 exec, exec, s[14:15]
	v_add3_u32 v5, v1, s11, 32
	v_cmp_gt_u32_e64 s[6:7], s8, v5
	s_and_b64 exec, exec, s[6:7]
	s_cbranch_execz .LBB157_64
; %bb.41:
	v_mul_lo_u32 v5, v5, s10
	s_and_saveexec_b64 s[14:15], vcc
	s_cbranch_execnz .LBB157_74
; %bb.42:
	s_or_b64 exec, exec, s[14:15]
	s_and_saveexec_b64 s[14:15], s[0:1]
	s_cbranch_execnz .LBB157_75
.LBB157_43:
	s_or_b64 exec, exec, s[14:15]
	s_and_saveexec_b64 s[14:15], s[2:3]
	s_cbranch_execnz .LBB157_76
.LBB157_44:
	s_or_b64 exec, exec, s[14:15]
	s_and_saveexec_b64 s[14:15], s[4:5]
	s_cbranch_execz .LBB157_46
.LBB157_45:
	v_bfe_u32 v6, v16, 16, 1
	s_movk_i32 s6, 0x7fff
	v_add3_u32 v6, v16, v6, s6
	v_lshrrev_b32_e32 v6, 16, v6
	v_mov_b32_e32 v7, 0x7fc0
	v_cmp_o_f32_e64 s[6:7], v16, v16
	v_cndmask_b32_e64 v16, v7, v6, s[6:7]
	v_add_u32_e32 v6, v5, v4
	v_mov_b32_e32 v7, 0
	v_lshlrev_b64 v[6:7], 1, v[6:7]
	s_waitcnt lgkmcnt(0)
	v_mov_b32_e32 v5, s13
	v_add_co_u32_e64 v6, s[6:7], s12, v6
	v_addc_co_u32_e64 v7, s[6:7], v5, v7, s[6:7]
	global_store_short v[6:7], v16, off
.LBB157_46:
	s_or_b64 exec, exec, s[14:15]
	v_add3_u32 v5, v1, s11, 40
	v_cmp_gt_u32_e64 s[6:7], s8, v5
	s_and_b64 exec, exec, s[6:7]
	s_cbranch_execz .LBB157_64
; %bb.47:
	v_mul_lo_u32 v5, v5, s10
	s_and_saveexec_b64 s[14:15], vcc
	s_cbranch_execnz .LBB157_77
; %bb.48:
	s_or_b64 exec, exec, s[14:15]
	s_and_saveexec_b64 s[14:15], s[0:1]
	s_cbranch_execnz .LBB157_78
.LBB157_49:
	s_or_b64 exec, exec, s[14:15]
	s_and_saveexec_b64 s[14:15], s[2:3]
	s_cbranch_execnz .LBB157_79
.LBB157_50:
	s_or_b64 exec, exec, s[14:15]
	s_and_saveexec_b64 s[14:15], s[4:5]
	s_cbranch_execz .LBB157_52
.LBB157_51:
	v_bfe_u32 v6, v17, 16, 1
	s_movk_i32 s6, 0x7fff
	v_add3_u32 v6, v17, v6, s6
	v_lshrrev_b32_e32 v6, 16, v6
	v_mov_b32_e32 v7, 0x7fc0
	v_cmp_o_f32_e64 s[6:7], v17, v17
	v_cndmask_b32_e64 v16, v7, v6, s[6:7]
	v_add_u32_e32 v6, v5, v4
	v_mov_b32_e32 v7, 0
	v_lshlrev_b64 v[6:7], 1, v[6:7]
	s_waitcnt lgkmcnt(0)
	v_mov_b32_e32 v5, s13
	v_add_co_u32_e64 v6, s[6:7], s12, v6
	v_addc_co_u32_e64 v7, s[6:7], v5, v7, s[6:7]
	global_store_short v[6:7], v16, off
.LBB157_52:
	s_or_b64 exec, exec, s[14:15]
	v_add3_u32 v5, v1, s11, 48
	v_cmp_gt_u32_e64 s[6:7], s8, v5
	s_and_b64 exec, exec, s[6:7]
	s_cbranch_execz .LBB157_64
; %bb.53:
	v_mul_lo_u32 v5, v5, s10
	s_and_saveexec_b64 s[14:15], vcc
	s_cbranch_execnz .LBB157_80
; %bb.54:
	s_or_b64 exec, exec, s[14:15]
	s_and_saveexec_b64 s[14:15], s[0:1]
	s_cbranch_execnz .LBB157_81
.LBB157_55:
	s_or_b64 exec, exec, s[14:15]
	s_and_saveexec_b64 s[14:15], s[2:3]
	s_cbranch_execnz .LBB157_82
.LBB157_56:
	s_or_b64 exec, exec, s[14:15]
	s_and_saveexec_b64 s[14:15], s[4:5]
	s_cbranch_execz .LBB157_58
.LBB157_57:
	v_bfe_u32 v6, v8, 16, 1
	s_movk_i32 s6, 0x7fff
	v_add3_u32 v6, v8, v6, s6
	v_lshrrev_b32_e32 v6, 16, v6
	v_mov_b32_e32 v7, 0x7fc0
	v_cmp_o_f32_e64 s[6:7], v8, v8
	v_cndmask_b32_e64 v8, v7, v6, s[6:7]
	v_add_u32_e32 v6, v5, v4
	v_mov_b32_e32 v7, 0
	v_lshlrev_b64 v[6:7], 1, v[6:7]
	s_waitcnt lgkmcnt(0)
	v_mov_b32_e32 v5, s13
	v_add_co_u32_e64 v6, s[6:7], s12, v6
	v_addc_co_u32_e64 v7, s[6:7], v5, v7, s[6:7]
	global_store_short v[6:7], v8, off
.LBB157_58:
	s_or_b64 exec, exec, s[14:15]
	v_add3_u32 v1, v1, s11, 56
	v_cmp_gt_u32_e64 s[6:7], s8, v1
	s_and_b64 exec, exec, s[6:7]
	s_cbranch_execz .LBB157_64
; %bb.59:
	v_mul_lo_u32 v1, v1, s10
	s_and_saveexec_b64 s[6:7], vcc
	s_cbranch_execnz .LBB157_83
; %bb.60:
	s_or_b64 exec, exec, s[6:7]
	s_and_saveexec_b64 s[6:7], s[0:1]
	s_cbranch_execnz .LBB157_84
.LBB157_61:
	s_or_b64 exec, exec, s[6:7]
	s_and_saveexec_b64 s[0:1], s[2:3]
	s_cbranch_execnz .LBB157_85
.LBB157_62:
	s_or_b64 exec, exec, s[0:1]
	s_and_b64 exec, exec, s[4:5]
	s_cbranch_execz .LBB157_64
.LBB157_63:
	v_bfe_u32 v0, v9, 16, 1
	s_movk_i32 s0, 0x7fff
	v_add3_u32 v0, v9, v0, s0
	v_lshrrev_b32_e32 v0, 16, v0
	v_mov_b32_e32 v2, 0x7fc0
	v_cmp_o_f32_e32 vcc, v9, v9
	v_cndmask_b32_e32 v2, v2, v0, vcc
	v_add_u32_e32 v0, v1, v4
	v_mov_b32_e32 v1, 0
	v_lshlrev_b64 v[0:1], 1, v[0:1]
	s_waitcnt lgkmcnt(0)
	v_mov_b32_e32 v3, s13
	v_add_co_u32_e32 v0, vcc, s12, v0
	v_addc_co_u32_e32 v1, vcc, v3, v1, vcc
	global_store_short v[0:1], v2, off
.LBB157_64:
	s_endpgm
.LBB157_65:
	v_bfe_u32 v6, v39, 16, 1
	s_movk_i32 s6, 0x7fff
	v_add3_u32 v6, v39, v6, s6
	v_lshrrev_b32_e32 v6, 16, v6
	v_mov_b32_e32 v7, 0x7fc0
	v_cmp_o_f32_e64 s[6:7], v39, v39
	v_cndmask_b32_e64 v32, v7, v6, s[6:7]
	v_add_u32_e32 v6, v5, v0
	v_mov_b32_e32 v7, 0
	v_lshlrev_b64 v[6:7], 1, v[6:7]
	s_waitcnt lgkmcnt(0)
	v_mov_b32_e32 v34, s13
	v_add_co_u32_e64 v6, s[6:7], s12, v6
	v_addc_co_u32_e64 v7, s[6:7], v34, v7, s[6:7]
	global_store_short v[6:7], v32, off
	s_or_b64 exec, exec, s[14:15]
	s_and_saveexec_b64 s[14:15], s[0:1]
	s_cbranch_execz .LBB157_25
.LBB157_66:
	v_bfe_u32 v6, v37, 16, 1
	s_movk_i32 s6, 0x7fff
	v_add3_u32 v6, v37, v6, s6
	v_lshrrev_b32_e32 v6, 16, v6
	v_mov_b32_e32 v7, 0x7fc0
	v_cmp_o_f32_e64 s[6:7], v37, v37
	v_cndmask_b32_e64 v32, v7, v6, s[6:7]
	v_add_u32_e32 v6, v5, v2
	v_mov_b32_e32 v7, 0
	v_lshlrev_b64 v[6:7], 1, v[6:7]
	s_waitcnt lgkmcnt(0)
	v_mov_b32_e32 v34, s13
	v_add_co_u32_e64 v6, s[6:7], s12, v6
	v_addc_co_u32_e64 v7, s[6:7], v34, v7, s[6:7]
	global_store_short v[6:7], v32, off
	s_or_b64 exec, exec, s[14:15]
	s_and_saveexec_b64 s[14:15], s[2:3]
	s_cbranch_execz .LBB157_26
.LBB157_67:
	v_bfe_u32 v6, v35, 16, 1
	s_movk_i32 s6, 0x7fff
	v_add3_u32 v6, v35, v6, s6
	v_lshrrev_b32_e32 v6, 16, v6
	v_mov_b32_e32 v7, 0x7fc0
	v_cmp_o_f32_e64 s[6:7], v35, v35
	v_cndmask_b32_e64 v32, v7, v6, s[6:7]
	v_add_u32_e32 v6, v5, v3
	v_mov_b32_e32 v7, 0
	v_lshlrev_b64 v[6:7], 1, v[6:7]
	s_waitcnt lgkmcnt(0)
	v_mov_b32_e32 v34, s13
	v_add_co_u32_e64 v6, s[6:7], s12, v6
	v_addc_co_u32_e64 v7, s[6:7], v34, v7, s[6:7]
	global_store_short v[6:7], v32, off
	s_or_b64 exec, exec, s[14:15]
	s_and_saveexec_b64 s[14:15], s[4:5]
	s_cbranch_execnz .LBB157_27
	s_branch .LBB157_28
.LBB157_68:
	v_bfe_u32 v6, v30, 16, 1
	s_movk_i32 s6, 0x7fff
	v_add3_u32 v6, v30, v6, s6
	v_lshrrev_b32_e32 v6, 16, v6
	v_mov_b32_e32 v7, 0x7fc0
	v_cmp_o_f32_e64 s[6:7], v30, v30
	v_cndmask_b32_e64 v30, v7, v6, s[6:7]
	v_add_u32_e32 v6, v5, v0
	v_mov_b32_e32 v7, 0
	v_lshlrev_b64 v[6:7], 1, v[6:7]
	s_waitcnt lgkmcnt(0)
	v_mov_b32_e32 v32, s13
	v_add_co_u32_e64 v6, s[6:7], s12, v6
	v_addc_co_u32_e64 v7, s[6:7], v32, v7, s[6:7]
	global_store_short v[6:7], v30, off
	s_or_b64 exec, exec, s[14:15]
	s_and_saveexec_b64 s[14:15], s[0:1]
	s_cbranch_execz .LBB157_31
.LBB157_69:
	v_bfe_u32 v6, v28, 16, 1
	s_movk_i32 s6, 0x7fff
	v_add3_u32 v6, v28, v6, s6
	v_lshrrev_b32_e32 v6, 16, v6
	v_mov_b32_e32 v7, 0x7fc0
	v_cmp_o_f32_e64 s[6:7], v28, v28
	v_cndmask_b32_e64 v28, v7, v6, s[6:7]
	v_add_u32_e32 v6, v5, v2
	v_mov_b32_e32 v7, 0
	v_lshlrev_b64 v[6:7], 1, v[6:7]
	s_waitcnt lgkmcnt(0)
	v_mov_b32_e32 v30, s13
	v_add_co_u32_e64 v6, s[6:7], s12, v6
	v_addc_co_u32_e64 v7, s[6:7], v30, v7, s[6:7]
	global_store_short v[6:7], v28, off
	s_or_b64 exec, exec, s[14:15]
	s_and_saveexec_b64 s[14:15], s[2:3]
	s_cbranch_execz .LBB157_32
.LBB157_70:
	v_bfe_u32 v6, v26, 16, 1
	s_movk_i32 s6, 0x7fff
	v_add3_u32 v6, v26, v6, s6
	v_lshrrev_b32_e32 v6, 16, v6
	v_mov_b32_e32 v7, 0x7fc0
	v_cmp_o_f32_e64 s[6:7], v26, v26
	v_cndmask_b32_e64 v26, v7, v6, s[6:7]
	v_add_u32_e32 v6, v5, v3
	v_mov_b32_e32 v7, 0
	v_lshlrev_b64 v[6:7], 1, v[6:7]
	s_waitcnt lgkmcnt(0)
	v_mov_b32_e32 v28, s13
	v_add_co_u32_e64 v6, s[6:7], s12, v6
	v_addc_co_u32_e64 v7, s[6:7], v28, v7, s[6:7]
	global_store_short v[6:7], v26, off
	s_or_b64 exec, exec, s[14:15]
	s_and_saveexec_b64 s[14:15], s[4:5]
	s_cbranch_execnz .LBB157_33
	s_branch .LBB157_34
.LBB157_71:
	v_bfe_u32 v6, v31, 16, 1
	s_movk_i32 s6, 0x7fff
	v_add3_u32 v6, v31, v6, s6
	v_lshrrev_b32_e32 v6, 16, v6
	v_mov_b32_e32 v7, 0x7fc0
	v_cmp_o_f32_e64 s[6:7], v31, v31
	v_cndmask_b32_e64 v24, v7, v6, s[6:7]
	v_add_u32_e32 v6, v5, v0
	v_mov_b32_e32 v7, 0
	v_lshlrev_b64 v[6:7], 1, v[6:7]
	s_waitcnt lgkmcnt(0)
	v_mov_b32_e32 v26, s13
	v_add_co_u32_e64 v6, s[6:7], s12, v6
	v_addc_co_u32_e64 v7, s[6:7], v26, v7, s[6:7]
	global_store_short v[6:7], v24, off
	s_or_b64 exec, exec, s[14:15]
	s_and_saveexec_b64 s[14:15], s[0:1]
	s_cbranch_execz .LBB157_37
.LBB157_72:
	v_bfe_u32 v6, v29, 16, 1
	s_movk_i32 s6, 0x7fff
	v_add3_u32 v6, v29, v6, s6
	v_lshrrev_b32_e32 v6, 16, v6
	v_mov_b32_e32 v7, 0x7fc0
	v_cmp_o_f32_e64 s[6:7], v29, v29
	v_cndmask_b32_e64 v24, v7, v6, s[6:7]
	v_add_u32_e32 v6, v5, v2
	v_mov_b32_e32 v7, 0
	v_lshlrev_b64 v[6:7], 1, v[6:7]
	s_waitcnt lgkmcnt(0)
	v_mov_b32_e32 v26, s13
	v_add_co_u32_e64 v6, s[6:7], s12, v6
	v_addc_co_u32_e64 v7, s[6:7], v26, v7, s[6:7]
	global_store_short v[6:7], v24, off
	s_or_b64 exec, exec, s[14:15]
	s_and_saveexec_b64 s[14:15], s[2:3]
	s_cbranch_execz .LBB157_38
.LBB157_73:
	v_bfe_u32 v6, v27, 16, 1
	s_movk_i32 s6, 0x7fff
	v_add3_u32 v6, v27, v6, s6
	v_lshrrev_b32_e32 v6, 16, v6
	v_mov_b32_e32 v7, 0x7fc0
	v_cmp_o_f32_e64 s[6:7], v27, v27
	v_cndmask_b32_e64 v24, v7, v6, s[6:7]
	v_add_u32_e32 v6, v5, v3
	v_mov_b32_e32 v7, 0
	v_lshlrev_b64 v[6:7], 1, v[6:7]
	s_waitcnt lgkmcnt(0)
	v_mov_b32_e32 v26, s13
	v_add_co_u32_e64 v6, s[6:7], s12, v6
	v_addc_co_u32_e64 v7, s[6:7], v26, v7, s[6:7]
	global_store_short v[6:7], v24, off
	s_or_b64 exec, exec, s[14:15]
	s_and_saveexec_b64 s[14:15], s[4:5]
	s_cbranch_execnz .LBB157_39
	s_branch .LBB157_40
.LBB157_74:
	v_bfe_u32 v6, v22, 16, 1
	s_movk_i32 s6, 0x7fff
	v_add3_u32 v6, v22, v6, s6
	v_lshrrev_b32_e32 v6, 16, v6
	v_mov_b32_e32 v7, 0x7fc0
	v_cmp_o_f32_e64 s[6:7], v22, v22
	v_cndmask_b32_e64 v22, v7, v6, s[6:7]
	v_add_u32_e32 v6, v5, v0
	v_mov_b32_e32 v7, 0
	v_lshlrev_b64 v[6:7], 1, v[6:7]
	s_waitcnt lgkmcnt(0)
	v_mov_b32_e32 v24, s13
	v_add_co_u32_e64 v6, s[6:7], s12, v6
	v_addc_co_u32_e64 v7, s[6:7], v24, v7, s[6:7]
	global_store_short v[6:7], v22, off
	s_or_b64 exec, exec, s[14:15]
	s_and_saveexec_b64 s[14:15], s[0:1]
	s_cbranch_execz .LBB157_43
.LBB157_75:
	v_bfe_u32 v6, v20, 16, 1
	s_movk_i32 s6, 0x7fff
	v_add3_u32 v6, v20, v6, s6
	v_lshrrev_b32_e32 v6, 16, v6
	v_mov_b32_e32 v7, 0x7fc0
	v_cmp_o_f32_e64 s[6:7], v20, v20
	v_cndmask_b32_e64 v20, v7, v6, s[6:7]
	v_add_u32_e32 v6, v5, v2
	v_mov_b32_e32 v7, 0
	v_lshlrev_b64 v[6:7], 1, v[6:7]
	s_waitcnt lgkmcnt(0)
	v_mov_b32_e32 v22, s13
	v_add_co_u32_e64 v6, s[6:7], s12, v6
	v_addc_co_u32_e64 v7, s[6:7], v22, v7, s[6:7]
	global_store_short v[6:7], v20, off
	s_or_b64 exec, exec, s[14:15]
	s_and_saveexec_b64 s[14:15], s[2:3]
	s_cbranch_execz .LBB157_44
.LBB157_76:
	v_bfe_u32 v6, v18, 16, 1
	s_movk_i32 s6, 0x7fff
	v_add3_u32 v6, v18, v6, s6
	v_lshrrev_b32_e32 v6, 16, v6
	v_mov_b32_e32 v7, 0x7fc0
	v_cmp_o_f32_e64 s[6:7], v18, v18
	v_cndmask_b32_e64 v18, v7, v6, s[6:7]
	v_add_u32_e32 v6, v5, v3
	v_mov_b32_e32 v7, 0
	v_lshlrev_b64 v[6:7], 1, v[6:7]
	s_waitcnt lgkmcnt(0)
	v_mov_b32_e32 v20, s13
	v_add_co_u32_e64 v6, s[6:7], s12, v6
	v_addc_co_u32_e64 v7, s[6:7], v20, v7, s[6:7]
	global_store_short v[6:7], v18, off
	s_or_b64 exec, exec, s[14:15]
	s_and_saveexec_b64 s[14:15], s[4:5]
	s_cbranch_execnz .LBB157_45
	s_branch .LBB157_46
.LBB157_77:
	v_bfe_u32 v6, v23, 16, 1
	s_movk_i32 s6, 0x7fff
	v_add3_u32 v6, v23, v6, s6
	v_lshrrev_b32_e32 v6, 16, v6
	v_mov_b32_e32 v7, 0x7fc0
	v_cmp_o_f32_e64 s[6:7], v23, v23
	v_cndmask_b32_e64 v16, v7, v6, s[6:7]
	v_add_u32_e32 v6, v5, v0
	v_mov_b32_e32 v7, 0
	v_lshlrev_b64 v[6:7], 1, v[6:7]
	s_waitcnt lgkmcnt(0)
	v_mov_b32_e32 v18, s13
	v_add_co_u32_e64 v6, s[6:7], s12, v6
	v_addc_co_u32_e64 v7, s[6:7], v18, v7, s[6:7]
	global_store_short v[6:7], v16, off
	s_or_b64 exec, exec, s[14:15]
	s_and_saveexec_b64 s[14:15], s[0:1]
	s_cbranch_execz .LBB157_49
.LBB157_78:
	v_bfe_u32 v6, v21, 16, 1
	s_movk_i32 s6, 0x7fff
	v_add3_u32 v6, v21, v6, s6
	v_lshrrev_b32_e32 v6, 16, v6
	v_mov_b32_e32 v7, 0x7fc0
	v_cmp_o_f32_e64 s[6:7], v21, v21
	v_cndmask_b32_e64 v16, v7, v6, s[6:7]
	v_add_u32_e32 v6, v5, v2
	v_mov_b32_e32 v7, 0
	v_lshlrev_b64 v[6:7], 1, v[6:7]
	s_waitcnt lgkmcnt(0)
	v_mov_b32_e32 v18, s13
	v_add_co_u32_e64 v6, s[6:7], s12, v6
	v_addc_co_u32_e64 v7, s[6:7], v18, v7, s[6:7]
	global_store_short v[6:7], v16, off
	s_or_b64 exec, exec, s[14:15]
	s_and_saveexec_b64 s[14:15], s[2:3]
	s_cbranch_execz .LBB157_50
.LBB157_79:
	v_bfe_u32 v6, v19, 16, 1
	s_movk_i32 s6, 0x7fff
	v_add3_u32 v6, v19, v6, s6
	v_lshrrev_b32_e32 v6, 16, v6
	v_mov_b32_e32 v7, 0x7fc0
	v_cmp_o_f32_e64 s[6:7], v19, v19
	v_cndmask_b32_e64 v16, v7, v6, s[6:7]
	v_add_u32_e32 v6, v5, v3
	v_mov_b32_e32 v7, 0
	v_lshlrev_b64 v[6:7], 1, v[6:7]
	s_waitcnt lgkmcnt(0)
	v_mov_b32_e32 v18, s13
	v_add_co_u32_e64 v6, s[6:7], s12, v6
	v_addc_co_u32_e64 v7, s[6:7], v18, v7, s[6:7]
	global_store_short v[6:7], v16, off
	s_or_b64 exec, exec, s[14:15]
	s_and_saveexec_b64 s[14:15], s[4:5]
	s_cbranch_execnz .LBB157_51
	s_branch .LBB157_52
.LBB157_80:
	v_bfe_u32 v6, v14, 16, 1
	s_movk_i32 s6, 0x7fff
	v_add3_u32 v6, v14, v6, s6
	v_lshrrev_b32_e32 v6, 16, v6
	v_mov_b32_e32 v7, 0x7fc0
	v_cmp_o_f32_e64 s[6:7], v14, v14
	v_cndmask_b32_e64 v14, v7, v6, s[6:7]
	v_add_u32_e32 v6, v5, v0
	v_mov_b32_e32 v7, 0
	v_lshlrev_b64 v[6:7], 1, v[6:7]
	s_waitcnt lgkmcnt(0)
	v_mov_b32_e32 v16, s13
	v_add_co_u32_e64 v6, s[6:7], s12, v6
	v_addc_co_u32_e64 v7, s[6:7], v16, v7, s[6:7]
	global_store_short v[6:7], v14, off
	s_or_b64 exec, exec, s[14:15]
	s_and_saveexec_b64 s[14:15], s[0:1]
	s_cbranch_execz .LBB157_55
.LBB157_81:
	v_bfe_u32 v6, v12, 16, 1
	s_movk_i32 s6, 0x7fff
	v_add3_u32 v6, v12, v6, s6
	v_lshrrev_b32_e32 v6, 16, v6
	v_mov_b32_e32 v7, 0x7fc0
	v_cmp_o_f32_e64 s[6:7], v12, v12
	v_cndmask_b32_e64 v12, v7, v6, s[6:7]
	v_add_u32_e32 v6, v5, v2
	v_mov_b32_e32 v7, 0
	v_lshlrev_b64 v[6:7], 1, v[6:7]
	s_waitcnt lgkmcnt(0)
	v_mov_b32_e32 v14, s13
	v_add_co_u32_e64 v6, s[6:7], s12, v6
	v_addc_co_u32_e64 v7, s[6:7], v14, v7, s[6:7]
	global_store_short v[6:7], v12, off
	s_or_b64 exec, exec, s[14:15]
	s_and_saveexec_b64 s[14:15], s[2:3]
	s_cbranch_execz .LBB157_56
.LBB157_82:
	v_bfe_u32 v6, v10, 16, 1
	s_movk_i32 s6, 0x7fff
	v_add3_u32 v6, v10, v6, s6
	v_lshrrev_b32_e32 v6, 16, v6
	v_mov_b32_e32 v7, 0x7fc0
	v_cmp_o_f32_e64 s[6:7], v10, v10
	v_cndmask_b32_e64 v10, v7, v6, s[6:7]
	v_add_u32_e32 v6, v5, v3
	v_mov_b32_e32 v7, 0
	v_lshlrev_b64 v[6:7], 1, v[6:7]
	s_waitcnt lgkmcnt(0)
	v_mov_b32_e32 v12, s13
	v_add_co_u32_e64 v6, s[6:7], s12, v6
	v_addc_co_u32_e64 v7, s[6:7], v12, v7, s[6:7]
	global_store_short v[6:7], v10, off
	s_or_b64 exec, exec, s[14:15]
	s_and_saveexec_b64 s[14:15], s[4:5]
	s_cbranch_execnz .LBB157_57
	s_branch .LBB157_58
.LBB157_83:
	v_bfe_u32 v5, v15, 16, 1
	s_movk_i32 s8, 0x7fff
	v_add3_u32 v5, v15, v5, s8
	v_lshrrev_b32_e32 v5, 16, v5
	v_mov_b32_e32 v6, 0x7fc0
	v_cmp_o_f32_e32 vcc, v15, v15
	v_cndmask_b32_e32 v5, v6, v5, vcc
	v_add_u32_e32 v6, v1, v0
	v_mov_b32_e32 v7, 0
	v_lshlrev_b64 v[6:7], 1, v[6:7]
	s_waitcnt lgkmcnt(0)
	v_mov_b32_e32 v0, s13
	v_add_co_u32_e32 v6, vcc, s12, v6
	v_addc_co_u32_e32 v7, vcc, v0, v7, vcc
	global_store_short v[6:7], v5, off
	s_or_b64 exec, exec, s[6:7]
	s_and_saveexec_b64 s[6:7], s[0:1]
	s_cbranch_execz .LBB157_61
.LBB157_84:
	v_bfe_u32 v0, v13, 16, 1
	s_movk_i32 s0, 0x7fff
	v_add3_u32 v0, v13, v0, s0
	v_add_u32_e32 v6, v1, v2
	v_mov_b32_e32 v7, 0
	v_lshrrev_b32_e32 v0, 16, v0
	v_mov_b32_e32 v5, 0x7fc0
	v_cmp_o_f32_e32 vcc, v13, v13
	v_lshlrev_b64 v[6:7], 1, v[6:7]
	v_cndmask_b32_e32 v0, v5, v0, vcc
	s_waitcnt lgkmcnt(0)
	v_mov_b32_e32 v2, s13
	v_add_co_u32_e32 v6, vcc, s12, v6
	v_addc_co_u32_e32 v7, vcc, v2, v7, vcc
	global_store_short v[6:7], v0, off
	s_or_b64 exec, exec, s[6:7]
	s_and_saveexec_b64 s[0:1], s[2:3]
	s_cbranch_execz .LBB157_62
.LBB157_85:
	v_bfe_u32 v0, v11, 16, 1
	s_movk_i32 s2, 0x7fff
	v_add3_u32 v0, v11, v0, s2
	v_lshrrev_b32_e32 v0, 16, v0
	v_mov_b32_e32 v2, 0x7fc0
	v_cmp_o_f32_e32 vcc, v11, v11
	v_cndmask_b32_e32 v0, v2, v0, vcc
	v_add_u32_e32 v2, v1, v3
	v_mov_b32_e32 v3, 0
	v_lshlrev_b64 v[2:3], 1, v[2:3]
	s_waitcnt lgkmcnt(0)
	v_mov_b32_e32 v5, s13
	v_add_co_u32_e32 v2, vcc, s12, v2
	v_addc_co_u32_e32 v3, vcc, v5, v3, vcc
	global_store_short v[2:3], v0, off
	s_or_b64 exec, exec, s[0:1]
	s_and_b64 exec, exec, s[4:5]
	s_cbranch_execnz .LBB157_63
	s_branch .LBB157_64
	.section	.rodata,"a",@progbits
	.p2align	6, 0x0
	.amdhsa_kernel _ZL12mul_mat_q4_0IN3c108BFloat16ELb0EEvPKvS3_PT_iiiii
		.amdhsa_group_segment_fixed_size 30336
		.amdhsa_private_segment_fixed_size 0
		.amdhsa_kernarg_size 44
		.amdhsa_user_sgpr_count 6
		.amdhsa_user_sgpr_private_segment_buffer 1
		.amdhsa_user_sgpr_dispatch_ptr 0
		.amdhsa_user_sgpr_queue_ptr 0
		.amdhsa_user_sgpr_kernarg_segment_ptr 1
		.amdhsa_user_sgpr_dispatch_id 0
		.amdhsa_user_sgpr_flat_scratch_init 0
		.amdhsa_user_sgpr_kernarg_preload_length 0
		.amdhsa_user_sgpr_kernarg_preload_offset 0
		.amdhsa_user_sgpr_private_segment_size 0
		.amdhsa_uses_dynamic_stack 0
		.amdhsa_system_sgpr_private_segment_wavefront_offset 0
		.amdhsa_system_sgpr_workgroup_id_x 1
		.amdhsa_system_sgpr_workgroup_id_y 1
		.amdhsa_system_sgpr_workgroup_id_z 0
		.amdhsa_system_sgpr_workgroup_info 0
		.amdhsa_system_vgpr_workitem_id 1
		.amdhsa_next_free_vgpr 175
		.amdhsa_next_free_sgpr 18
		.amdhsa_accum_offset 176
		.amdhsa_reserve_vcc 1
		.amdhsa_reserve_flat_scratch 0
		.amdhsa_float_round_mode_32 0
		.amdhsa_float_round_mode_16_64 0
		.amdhsa_float_denorm_mode_32 3
		.amdhsa_float_denorm_mode_16_64 3
		.amdhsa_dx10_clamp 1
		.amdhsa_ieee_mode 1
		.amdhsa_fp16_overflow 0
		.amdhsa_tg_split 0
		.amdhsa_exception_fp_ieee_invalid_op 0
		.amdhsa_exception_fp_denorm_src 0
		.amdhsa_exception_fp_ieee_div_zero 0
		.amdhsa_exception_fp_ieee_overflow 0
		.amdhsa_exception_fp_ieee_underflow 0
		.amdhsa_exception_fp_ieee_inexact 0
		.amdhsa_exception_int_div_zero 0
	.end_amdhsa_kernel
	.section	.text._ZL12mul_mat_q4_0IN3c108BFloat16ELb0EEvPKvS3_PT_iiiii,"axG",@progbits,_ZL12mul_mat_q4_0IN3c108BFloat16ELb0EEvPKvS3_PT_iiiii,comdat
.Lfunc_end157:
	.size	_ZL12mul_mat_q4_0IN3c108BFloat16ELb0EEvPKvS3_PT_iiiii, .Lfunc_end157-_ZL12mul_mat_q4_0IN3c108BFloat16ELb0EEvPKvS3_PT_iiiii
                                        ; -- End function
	.section	.AMDGPU.csdata,"",@progbits
; Kernel info:
; codeLenInByte = 11560
; NumSgprs: 22
; NumVgprs: 175
; NumAgprs: 0
; TotalNumVgprs: 175
; ScratchSize: 0
; MemoryBound: 0
; FloatMode: 240
; IeeeMode: 1
; LDSByteSize: 30336 bytes/workgroup (compile time only)
; SGPRBlocks: 2
; VGPRBlocks: 21
; NumSGPRsForWavesPerEU: 22
; NumVGPRsForWavesPerEU: 175
; AccumOffset: 176
; Occupancy: 2
; WaveLimiterHint : 0
; COMPUTE_PGM_RSRC2:SCRATCH_EN: 0
; COMPUTE_PGM_RSRC2:USER_SGPR: 6
; COMPUTE_PGM_RSRC2:TRAP_HANDLER: 0
; COMPUTE_PGM_RSRC2:TGID_X_EN: 1
; COMPUTE_PGM_RSRC2:TGID_Y_EN: 1
; COMPUTE_PGM_RSRC2:TGID_Z_EN: 0
; COMPUTE_PGM_RSRC2:TIDIG_COMP_CNT: 1
; COMPUTE_PGM_RSRC3_GFX90A:ACCUM_OFFSET: 43
; COMPUTE_PGM_RSRC3_GFX90A:TG_SPLIT: 0
	.section	.text._ZL12mul_mat_q4_0IN3c108BFloat16ELb1EEvPKvS3_PT_iiiii,"axG",@progbits,_ZL12mul_mat_q4_0IN3c108BFloat16ELb1EEvPKvS3_PT_iiiii,comdat
	.globl	_ZL12mul_mat_q4_0IN3c108BFloat16ELb1EEvPKvS3_PT_iiiii ; -- Begin function _ZL12mul_mat_q4_0IN3c108BFloat16ELb1EEvPKvS3_PT_iiiii
	.p2align	8
	.type	_ZL12mul_mat_q4_0IN3c108BFloat16ELb1EEvPKvS3_PT_iiiii,@function
_ZL12mul_mat_q4_0IN3c108BFloat16ELb1EEvPKvS3_PT_iiiii: ; @_ZL12mul_mat_q4_0IN3c108BFloat16ELb1EEvPKvS3_PT_iiiii
; %bb.0:
	s_load_dwordx4 s[8:11], s[4:5], 0x18
	s_load_dword s14, s[4:5], 0x28
	s_lshl_b32 s15, s7, 6
	v_bfe_u32 v39, v0, 10, 10
	s_waitcnt lgkmcnt(0)
	s_cmp_gt_i32 s8, 31
	s_cbranch_scc1 .LBB158_2
; %bb.1:
	v_bfe_u32 v1, v0, 10, 10
	s_mov_b32 s0, 0
	v_and_b32_e32 v37, 0x3ff, v0
	v_add_u32_e32 v41, s15, v1
	s_mov_b32 s1, s0
	s_mov_b64 s[2:3], 0
	s_branch .LBB158_3
.LBB158_2:
	s_mov_b64 s[2:3], -1
                                        ; implicit-def: $sgpr0_sgpr1
                                        ; implicit-def: $vgpr1
                                        ; implicit-def: $vgpr37
                                        ; implicit-def: $vgpr41
.LBB158_3:
	s_load_dwordx2 s[12:13], s[4:5], 0x10
	s_lshl_b32 s6, s6, 7
	s_andn2_b64 vcc, exec, s[2:3]
	v_pk_mov_b32 v[8:9], s[0:1], s[0:1] op_sel:[0,1]
	v_pk_mov_b32 v[16:17], s[0:1], s[0:1] op_sel:[0,1]
	;; [unrolled: 1-line block ×16, first 2 shown]
	s_cbranch_vccnz .LBB158_13
; %bb.4:
	s_load_dwordx4 s[0:3], s[4:5], 0x0
	s_ashr_i32 s4, s8, 31
	s_lshr_b32 s4, s4, 27
	s_add_i32 s4, s8, s4
	s_ashr_i32 s5, s4, 5
	s_ashr_i32 s4, s11, 31
	s_lshr_b32 s4, s4, 27
	s_add_i32 s4, s11, s4
	s_mul_i32 s7, s5, s6
	s_ashr_i32 s4, s4, 5
	s_mul_hi_i32 s8, s7, 18
	s_mul_i32 s7, s7, 18
	s_waitcnt lgkmcnt(0)
	s_add_u32 s7, s0, s7
	s_addc_u32 s8, s1, s8
	s_not_b32 s0, s6
	s_add_i32 s9, s0, s9
	v_and_b32_e32 v37, 0x3ff, v0
	v_lshlrev_b32_e32 v0, 2, v37
	v_min_i32_e32 v1, s9, v39
	s_movk_i32 s1, 0x84
	v_add_u32_e32 v4, 8, v39
	v_mul_lo_u32 v40, v1, s5
	v_mad_u64_u32 v[42:43], s[16:17], v1, s1, v[0:1]
	v_min_i32_e32 v1, s9, v4
	v_add_u32_e32 v5, 16, v39
	v_mul_lo_u32 v44, v1, s5
	v_mad_u64_u32 v[46:47], s[16:17], v1, s1, v[0:1]
	v_min_i32_e32 v1, s9, v5
	;; [unrolled: 4-line block ×7, first 2 shown]
	v_mul_lo_u32 v72, v1, s5
	v_mad_u64_u32 v[74:75], s[16:17], v1, s1, v[0:1]
	v_add_u32_e32 v1, 64, v39
	v_min_i32_e32 v1, s9, v1
	v_mul_lo_u32 v76, v1, s5
	v_mad_u64_u32 v[78:79], s[16:17], v1, s1, v[0:1]
	v_add_u32_e32 v1, 0x48, v39
	v_min_i32_e32 v1, s9, v1
	;; [unrolled: 4-line block ×8, first 2 shown]
	v_lshrrev_b32_e32 v43, 3, v37
	v_mul_lo_u32 v104, v1, s5
	v_mad_u64_u32 v[106:107], s[16:17], v1, s1, v[0:1]
	v_lshl_add_u32 v1, v39, 2, v43
	v_min_i32_e32 v2, s9, v1
	v_ashrrev_i32_e32 v3, 31, v2
	v_lshrrev_b32_e32 v3, 30, v3
	v_and_b32_e32 v108, 7, v37
	v_mul_lo_u32 v110, v2, s5
	v_add_u32_e32 v3, v2, v3
	v_lshlrev_b32_e32 v13, 5, v2
	v_add_u32_e32 v2, 32, v1
	v_and_b32_e32 v3, -4, v3
	v_lshlrev_b32_e32 v11, 2, v108
	s_movk_i32 s11, 0x6200
	v_min_i32_e32 v2, s9, v2
	v_add3_u32 v12, v3, v11, s11
	v_ashrrev_i32_e32 v3, 31, v2
	v_lshrrev_b32_e32 v3, 30, v3
	v_mul_lo_u32 v112, v2, s5
	v_add_u32_e32 v3, v2, v3
	v_lshlrev_b32_e32 v15, 5, v2
	v_add_u32_e32 v2, 64, v1
	v_and_b32_e32 v3, -4, v3
	v_min_i32_e32 v2, s9, v2
	v_add3_u32 v14, v3, v11, s11
	v_ashrrev_i32_e32 v3, 31, v2
	v_add_u32_e32 v1, 0x60, v1
	v_lshrrev_b32_e32 v3, 30, v3
	v_min_i32_e32 v1, s9, v1
	v_mul_lo_u32 v114, v2, s5
	v_add_u32_e32 v3, v2, v3
	v_lshlrev_b32_e32 v17, 5, v2
	v_ashrrev_i32_e32 v2, 31, v1
	v_lshrrev_b32_e32 v36, 2, v37
	v_and_b32_e32 v38, 12, v0
	v_lshrrev_b32_e32 v2, 30, v2
	v_and_b32_e32 v0, 28, v0
	v_mul_lo_u32 v116, v1, s5
	v_add_u32_e32 v2, v1, v2
	v_lshlrev_b32_e32 v18, 5, v1
	v_mov_b32_e32 v1, s3
	v_add_co_u32_e32 v118, vcc, s2, v0
	v_lshl_add_u32 v0, v39, 3, v36
	v_addc_co_u32_e32 v119, vcc, 0, v1, vcc
	v_and_b32_e32 v1, 63, v0
	s_add_i32 s9, s10, -1
	v_or_b32_e32 v20, s15, v1
	v_and_b32_e32 v0, 3, v37
	v_min_i32_e32 v20, s9, v20
	v_mad_u64_u32 v[120:121], s[16:17], v20, s4, v[0:1]
	v_lshlrev_b32_e32 v0, 2, v0
	v_and_b32_e32 v3, -4, v3
	v_and_b32_e32 v2, -4, v2
	v_add_u32_e32 v41, s15, v39
	v_lshl_or_b32 v0, v1, 4, v0
	v_add3_u32 v16, v3, v11, s11
	v_add3_u32 v11, v2, v11, s11
	v_cvt_f64_i32_e32 v[2:3], s9
	v_add_u32_e32 v45, 0x7280, v0
	v_cvt_f64_u32_e32 v[0:1], v41
	v_and_b32_e32 v19, 31, v37
	v_min_f64 v[0:1], v[0:1], v[2:3]
	v_cvt_i32_f64_e32 v0, v[0:1]
	v_lshlrev_b32_e32 v19, 2, v19
	v_lshlrev_b32_e32 v20, 7, v39
	v_mul_lo_u32 v47, s4, v0
	v_or_b32_e32 v0, v20, v19
	v_add_u32_e32 v49, 0x4200, v0
	v_add_u32_e32 v0, 8, v41
	v_cvt_f64_u32_e32 v[0:1], v0
	v_min_f64 v[0:1], v[0:1], v[2:3]
	v_cvt_i32_f64_e32 v0, v[0:1]
	v_mul_lo_u32 v53, s4, v0
	v_lshl_or_b32 v0, v4, 7, v19
	v_add_u32_e32 v55, 0x4200, v0
	v_add_u32_e32 v0, 16, v41
	v_cvt_f64_u32_e32 v[0:1], v0
	v_min_f64 v[0:1], v[0:1], v[2:3]
	v_cvt_i32_f64_e32 v0, v[0:1]
	v_mul_lo_u32 v57, s4, v0
	v_lshl_or_b32 v0, v5, 7, v19
	;; [unrolled: 7-line block ×7, first 2 shown]
	v_add_u32_e32 v81, 0x4200, v0
	v_add_u32_e32 v0, 32, v37
	;; [unrolled: 1-line block ×4, first 2 shown]
	s_mov_b32 s0, 0
	v_lshlrev_b32_e32 v3, 5, v37
	v_lshrrev_b32_e32 v85, 3, v0
	v_and_b32_e32 v2, 0x1fc, v2
	v_and_b32_e32 v1, 0x1fc, v1
	;; [unrolled: 1-line block ×4, first 2 shown]
	v_add_u32_e32 v2, v3, v2
	v_add_u32_e32 v1, v3, v1
	;; [unrolled: 1-line block ×4, first 2 shown]
	v_mov_b32_e32 v4, 0x7280
	v_mad_u32_u24 v107, v37, s1, 64
	s_mov_b32 s1, s0
	v_mul_u32_u24_e32 v83, 0x84, v37
	v_add_u32_e32 v87, 0x6e00, v2
	v_add_u32_e32 v89, 0x6a00, v1
	;; [unrolled: 1-line block ×5, first 2 shown]
	v_lshl_add_u32 v97, v39, 4, v4
	v_add_u32_e32 v99, 0x6e10, v2
	v_add_u32_e32 v101, 0x6a10, v1
	;; [unrolled: 1-line block ×4, first 2 shown]
	v_pk_mov_b32 v[68:69], s[0:1], s[0:1] op_sel:[0,1]
	v_add_u32_e32 v109, v12, v13
	v_add_u32_e32 v111, v14, v15
	;; [unrolled: 1-line block ×4, first 2 shown]
	s_mov_b32 s4, 0x41000000
	v_pk_mov_b32 v[30:31], s[0:1], s[0:1] op_sel:[0,1]
	v_pk_mov_b32 v[22:23], s[0:1], s[0:1] op_sel:[0,1]
	;; [unrolled: 1-line block ×15, first 2 shown]
	s_branch .LBB158_6
.LBB158_5:                              ;   in Loop: Header=BB158_6 Depth=1
	s_add_i32 s0, s0, 8
	s_cmp_ge_i32 s0, s5
	s_cbranch_scc1 .LBB158_12
.LBB158_6:                              ; =>This Loop Header: Depth=1
                                        ;     Child Loop BB158_7 Depth 2
                                        ;     Child Loop BB158_10 Depth 2
	s_mul_i32 s9, s0, 18
	s_mul_hi_u32 s1, s0, 18
	s_add_u32 s16, s7, s9
	s_addc_u32 s17, s8, s1
	v_mad_u64_u32 v[0:1], s[18:19], v36, 18, s[16:17]
	v_add_co_u32_e32 v0, vcc, v0, v38
	v_addc_co_u32_e32 v1, vcc, 0, v1, vcc
	v_add_co_u32_e32 v0, vcc, 2, v0
	v_addc_co_u32_e32 v1, vcc, 0, v1, vcc
	v_mad_i64_i32 v[2:3], s[18:19], v40, 18, v[0:1]
	v_mad_i64_i32 v[4:5], s[18:19], v44, 18, v[0:1]
	;; [unrolled: 1-line block ×8, first 2 shown]
	global_load_dword v121, v[2:3], off
	global_load_dword v132, v[4:5], off
	;; [unrolled: 1-line block ×6, first 2 shown]
                                        ; kill: killed $vgpr126_vgpr127
                                        ; kill: killed $vgpr124_vgpr125
	global_load_dword v137, v[128:129], off
	global_load_dword v138, v[130:131], off
	v_mad_i64_i32 v[2:3], s[18:19], v76, 18, v[0:1]
	v_mad_i64_i32 v[4:5], s[18:19], v80, 18, v[0:1]
	;; [unrolled: 1-line block ×8, first 2 shown]
	global_load_dword v130, v[2:3], off
	global_load_dword v131, v[4:5], off
	;; [unrolled: 1-line block ×8, first 2 shown]
	v_mad_u64_u32 v[0:1], s[16:17], v108, 18, s[16:17]
	v_mad_i64_i32 v[2:3], s[16:17], v110, 18, v[0:1]
	v_mad_i64_i32 v[4:5], s[16:17], v112, 18, v[0:1]
	;; [unrolled: 1-line block ×4, first 2 shown]
	v_add_u32_e32 v128, s0, v43
	global_load_ushort v145, v[2:3], off
	global_load_ushort v146, v[4:5], off
	;; [unrolled: 1-line block ×4, first 2 shown]
	v_add_u32_e32 v0, v128, v47
	v_add_u32_e32 v2, v128, v53
	;; [unrolled: 1-line block ×5, first 2 shown]
	v_mad_i64_i32 v[0:1], s[16:17], v0, 36, v[118:119]
	v_mad_i64_i32 v[2:3], s[16:17], v2, 36, v[118:119]
	v_mad_i64_i32 v[4:5], s[16:17], v4, 36, v[118:119]
	v_mad_i64_i32 v[6:7], s[16:17], v6, 36, v[118:119]
	v_mad_i64_i32 v[122:123], s[16:17], v122, 36, v[118:119]
	v_add_u32_e32 v124, v128, v71
	v_add_u32_e32 v126, v128, v75
	;; [unrolled: 1-line block ×3, first 2 shown]
	v_mad_i64_i32 v[124:125], s[16:17], v124, 36, v[118:119]
	v_mad_i64_i32 v[126:127], s[16:17], v126, 36, v[118:119]
	;; [unrolled: 1-line block ×3, first 2 shown]
	global_load_dword v149, v[0:1], off offset:4
	s_nop 0
	global_load_dword v2, v[2:3], off offset:4
	s_nop 0
	global_load_dword v3, v[4:5], off offset:4
	s_nop 0
	global_load_dword v4, v[6:7], off offset:4
	global_load_dword v5, v[122:123], off offset:4
	s_nop 0
	global_load_dword v6, v[124:125], off offset:4
	global_load_dword v7, v[126:127], off offset:4
	;; [unrolled: 1-line block ×3, first 2 shown]
	v_add_u32_e32 v117, s0, v120
	v_mad_u64_u32 v[0:1], s[16:17], v117, 36, s[2:3]
	global_load_dword v0, v[0:1], off
	s_mov_b32 s1, -4
	s_waitcnt vmcnt(28)
	ds_write_b32 v42, v121
	s_waitcnt vmcnt(27)
	ds_write_b32 v46, v132
	;; [unrolled: 2-line block ×16, first 2 shown]
	v_mov_b32_e32 v125, v83
	v_mov_b32_e32 v127, v93
	;; [unrolled: 1-line block ×5, first 2 shown]
	s_waitcnt vmcnt(12)
	v_cvt_f32_f16_e32 v1, v145
	s_waitcnt vmcnt(11)
	v_cvt_f32_f16_e32 v121, v146
	;; [unrolled: 2-line block ×4, first 2 shown]
	ds_write_b32 v109, v1
	ds_write_b32 v111, v121
	;; [unrolled: 1-line block ×4, first 2 shown]
	s_waitcnt vmcnt(8)
	ds_write_b32 v49, v149
	s_waitcnt vmcnt(7)
	ds_write_b32 v55, v2
	;; [unrolled: 2-line block ×9, first 2 shown]
	v_mov_b32_e32 v121, v97
	v_mov_b32_e32 v123, v95
	s_waitcnt lgkmcnt(0)
	s_barrier
.LBB158_7:                              ;   Parent Loop BB158_6 Depth=1
                                        ; =>  This Inner Loop Header: Depth=2
	ds_read_b128 v[0:3], v123
	ds_read_b128 v[4:7], v123 offset:16
	ds_read2_b32 v[130:131], v121 offset1:32
	ds_read_b32 v122, v127
	ds_read2_b32 v[138:139], v125 offset1:1
	ds_read2_b32 v[142:143], v125 offset0:2 offset1:3
	v_add_u32_e32 v126, 0x1080, v125
	v_add_u32_e32 v128, 0x2100, v125
	v_mov_b32_e32 v170, 0
	s_waitcnt lgkmcnt(1)
	v_lshrrev_b32_e32 v124, 4, v138
	v_and_b32_e32 v135, 0xf0f0f0f, v124
	v_lshrrev_b32_e32 v124, 4, v139
	v_and_b32_e32 v137, 0xf0f0f0f, v139
	v_and_b32_e32 v139, 0xf0f0f0f, v124
	s_waitcnt lgkmcnt(0)
	v_lshrrev_b32_e32 v124, 4, v142
	v_and_b32_e32 v141, 0xf0f0f0f, v124
	v_lshrrev_b32_e32 v124, 4, v143
	v_and_b32_e32 v144, 0xf0f0f0f, v124
	ds_read_b32 v124, v129
	ds_read2_b32 v[146:147], v126 offset1:1
	v_and_b32_e32 v134, 0xf0f0f0f, v138
	v_and_b32_e32 v140, 0xf0f0f0f, v142
	v_and_b32_e32 v142, 0xf0f0f0f, v143
	v_mov_b32_e32 v172, 0
	s_waitcnt lgkmcnt(0)
	v_lshrrev_b32_e32 v126, 4, v146
	v_and_b32_e32 v138, 0xf0f0f0f, v126
	v_lshrrev_b32_e32 v126, 4, v147
	v_and_b32_e32 v145, 0xf0f0f0f, v126
	v_add_u32_e32 v126, 0x1088, v125
	v_and_b32_e32 v136, 0xf0f0f0f, v146
	v_and_b32_e32 v143, 0xf0f0f0f, v147
	ds_read2_b32 v[146:147], v126 offset1:1
	v_mov_b32_e32 v173, 0
	v_mov_b32_e32 v174, 0
	v_dot4c_i32_i8_e32 v170, v134, v0
	v_dot4c_i32_i8_e32 v172, v136, v0
	s_waitcnt lgkmcnt(0)
	v_lshrrev_b32_e32 v126, 4, v146
	v_and_b32_e32 v149, 0xf0f0f0f, v126
	v_lshrrev_b32_e32 v126, 4, v147
	v_and_b32_e32 v151, 0xf0f0f0f, v126
	ds_read_b32 v126, v132
	ds_read2_b32 v[152:153], v128 offset1:1
	v_and_b32_e32 v150, 0xf0f0f0f, v147
	v_and_b32_e32 v148, 0xf0f0f0f, v146
	v_dot4c_i32_i8_e32 v170, v135, v4
	v_dot4c_i32_i8_e32 v172, v138, v4
	s_waitcnt lgkmcnt(0)
	v_lshrrev_b32_e32 v128, 4, v152
	v_and_b32_e32 v147, 0xf0f0f0f, v128
	v_lshrrev_b32_e32 v128, 4, v153
	v_and_b32_e32 v146, 0xf0f0f0f, v152
	v_and_b32_e32 v152, 0xf0f0f0f, v153
	;; [unrolled: 1-line block ×3, first 2 shown]
	v_add_u32_e32 v128, 0x2108, v125
	ds_read2_b32 v[154:155], v128 offset1:1
	v_dot4c_i32_i8_e32 v173, v146, v0
	v_dot4c_i32_i8_e32 v173, v147, v4
	;; [unrolled: 1-line block ×4, first 2 shown]
	s_waitcnt lgkmcnt(0)
	v_lshrrev_b32_e32 v128, 4, v154
	v_and_b32_e32 v157, 0xf0f0f0f, v128
	v_lshrrev_b32_e32 v128, 4, v155
	v_and_b32_e32 v156, 0xf0f0f0f, v154
	v_and_b32_e32 v159, 0xf0f0f0f, v128
	v_add_u32_e32 v154, 0x3180, v125
	ds_read_b32 v128, v133
	ds_read2_b32 v[160:161], v154 offset1:1
	v_and_b32_e32 v158, 0xf0f0f0f, v155
	v_dot4c_i32_i8_e32 v173, v152, v1
	v_dot4c_i32_i8_e32 v170, v139, v5
	v_dot4c_i32_i8_e32 v172, v145, v5
	s_waitcnt lgkmcnt(0)
	v_and_b32_e32 v154, 0xf0f0f0f, v160
	v_lshrrev_b32_e32 v155, 4, v160
	v_and_b32_e32 v155, 0xf0f0f0f, v155
	v_dot4c_i32_i8_e32 v174, v154, v0
	v_dot4c_i32_i8_e32 v174, v155, v4
	v_and_b32_e32 v0, 0xf0f0f0f, v161
	v_dot4c_i32_i8_e32 v174, v0, v1
	v_add_u32_e32 v1, 0x3188, v125
	v_lshrrev_b32_e32 v4, 4, v161
	ds_read2_b32 v[160:161], v1 offset1:1
	v_and_b32_e32 v4, 0xf0f0f0f, v4
	v_dot4c_i32_i8_e32 v173, v153, v5
	v_dot4c_i32_i8_e32 v174, v4, v5
	;; [unrolled: 1-line block ×3, first 2 shown]
	s_waitcnt lgkmcnt(0)
	v_and_b32_e32 v1, 0xf0f0f0f, v160
	v_lshrrev_b32_e32 v5, 4, v160
	v_dot4c_i32_i8_e32 v172, v148, v2
	v_dot4c_i32_i8_e32 v173, v156, v2
	v_and_b32_e32 v5, 0xf0f0f0f, v5
	v_dot4c_i32_i8_e32 v174, v1, v2
	v_dot4c_i32_i8_e32 v170, v141, v6
	;; [unrolled: 1-line block ×5, first 2 shown]
	v_and_b32_e32 v2, 0xf0f0f0f, v161
	v_lshrrev_b32_e32 v6, 4, v161
	ds_read_b128 v[160:163], v123 offset:1024
	ds_read_b128 v[164:167], v123 offset:1040
	v_dot4c_i32_i8_e32 v170, v142, v3
	v_dot4c_i32_i8_e32 v172, v150, v3
	;; [unrolled: 1-line block ×4, first 2 shown]
	v_mov_b32_e32 v3, 0
	s_waitcnt lgkmcnt(1)
	v_dot4c_i32_i8_e32 v3, v134, v160
	s_waitcnt lgkmcnt(0)
	v_dot4c_i32_i8_e32 v3, v135, v164
	v_dot4c_i32_i8_e32 v3, v137, v161
	;; [unrolled: 1-line block ×8, first 2 shown]
	v_cvt_f32_f16_e32 v169, v131
	v_cvt_f32_f16_e32 v168, v130
	v_cvt_f32_i32_e32 v171, v3
	v_mov_b32_e32 v3, 0
	v_dot4c_i32_i8_e32 v3, v136, v160
	v_dot4c_i32_i8_e32 v3, v138, v164
	v_cvt_f32_f16_sdwa v131, v131 dst_sel:DWORD dst_unused:UNUSED_PAD src0_sel:WORD_1
	v_cvt_f32_f16_sdwa v130, v130 dst_sel:DWORD dst_unused:UNUSED_PAD src0_sel:WORD_1
	v_dot4c_i32_i8_e32 v3, v143, v161
	v_cvt_f32_i32_e32 v170, v170
	v_dot4c_i32_i8_e32 v3, v145, v165
	v_dot4c_i32_i8_e32 v3, v148, v162
	;; [unrolled: 1-line block ×3, first 2 shown]
	v_pk_mul_f32 v[130:131], v[130:131], s[4:5] op_sel_hi:[1,0]
	v_dot4c_i32_i8_e32 v3, v150, v163
	v_pk_fma_f32 v[170:171], v[168:169], v[170:171], v[130:131] neg_lo:[0,0,1] neg_hi:[0,0,1]
	v_dot4c_i32_i8_e32 v3, v151, v167
	v_pk_fma_f32 v[68:69], v[122:123], v[170:171], v[68:69] op_sel_hi:[0,1,1]
	v_dot4c_i32_i8_e32 v172, v151, v7
	v_and_b32_e32 v6, 0xf0f0f0f, v6
	v_cvt_f32_i32_e32 v171, v3
	v_mov_b32_e32 v3, 0
	v_dot4c_i32_i8_e32 v3, v146, v160
	v_dot4c_i32_i8_e32 v3, v147, v164
	;; [unrolled: 1-line block ×3, first 2 shown]
	v_cvt_f32_i32_e32 v170, v172
	v_dot4c_i32_i8_e32 v3, v153, v165
	v_dot4c_i32_i8_e32 v3, v156, v162
	;; [unrolled: 1-line block ×4, first 2 shown]
	v_pk_fma_f32 v[170:171], v[168:169], v[170:171], v[130:131] neg_lo:[0,0,1] neg_hi:[0,0,1]
	v_dot4c_i32_i8_e32 v3, v159, v167
	v_pk_fma_f32 v[50:51], v[124:125], v[170:171], v[50:51] op_sel_hi:[0,1,1]
	v_dot4c_i32_i8_e32 v173, v159, v7
	v_dot4c_i32_i8_e32 v174, v6, v7
	v_cvt_f32_i32_e32 v171, v3
	v_mov_b32_e32 v3, 0
	v_dot4c_i32_i8_e32 v3, v154, v160
	v_dot4c_i32_i8_e32 v3, v155, v164
	;; [unrolled: 1-line block ×8, first 2 shown]
	v_cvt_f32_i32_e32 v170, v173
	v_cvt_f32_i32_e32 v160, v174
	v_mov_b32_e32 v7, 0
	v_cvt_f32_i32_e32 v161, v3
	v_pk_fma_f32 v[170:171], v[168:169], v[170:171], v[130:131] neg_lo:[0,0,1] neg_hi:[0,0,1]
	v_mov_b32_e32 v3, 0
	v_mov_b32_e32 v172, 0
	v_pk_fma_f32 v[130:131], v[168:169], v[160:161], v[130:131] neg_lo:[0,0,1] neg_hi:[0,0,1]
	v_pk_fma_f32 v[32:33], v[128:129], v[130:131], v[32:33] op_sel_hi:[0,1,1]
	ds_read_b128 v[160:163], v123 offset:2048
	ds_read_b128 v[164:167], v123 offset:2064
	ds_read2_b32 v[130:131], v121 offset0:64 offset1:96
	v_mov_b32_e32 v173, 0
	v_pk_fma_f32 v[34:35], v[126:127], v[170:171], v[34:35] op_sel_hi:[0,1,1]
	s_waitcnt lgkmcnt(2)
	v_dot4c_i32_i8_e32 v3, v134, v160
	v_dot4c_i32_i8_e32 v7, v136, v160
	;; [unrolled: 1-line block ×4, first 2 shown]
	s_waitcnt lgkmcnt(1)
	v_dot4c_i32_i8_e32 v3, v135, v164
	v_dot4c_i32_i8_e32 v7, v138, v164
	;; [unrolled: 1-line block ×28, first 2 shown]
	ds_read_b128 v[160:163], v123 offset:3072
	ds_read_b128 v[164:167], v123 offset:3088
	v_mov_b32_e32 v170, 0
	s_waitcnt lgkmcnt(2)
	v_cvt_f32_f16_e32 v169, v131
	v_cvt_f32_f16_e32 v168, v130
	s_waitcnt lgkmcnt(1)
	v_dot4c_i32_i8_e32 v170, v134, v160
	s_waitcnt lgkmcnt(0)
	v_dot4c_i32_i8_e32 v170, v135, v164
	v_dot4c_i32_i8_e32 v170, v137, v161
	;; [unrolled: 1-line block ×7, first 2 shown]
	v_cvt_f32_f16_sdwa v131, v131 dst_sel:DWORD dst_unused:UNUSED_PAD src0_sel:WORD_1
	v_cvt_f32_f16_sdwa v130, v130 dst_sel:DWORD dst_unused:UNUSED_PAD src0_sel:WORD_1
	s_add_i32 s1, s1, 4
	v_cvt_f32_i32_e32 v171, v170
	v_cvt_f32_i32_e32 v170, v3
	v_mov_b32_e32 v3, 0
	v_dot4c_i32_i8_e32 v3, v136, v160
	v_dot4c_i32_i8_e32 v3, v138, v164
	;; [unrolled: 1-line block ×6, first 2 shown]
	v_pk_mul_f32 v[130:131], v[130:131], s[4:5] op_sel_hi:[1,0]
	v_dot4c_i32_i8_e32 v3, v150, v163
	v_pk_fma_f32 v[170:171], v[170:171], v[168:169], v[130:131] neg_lo:[0,0,1] neg_hi:[0,0,1]
	v_dot4c_i32_i8_e32 v3, v151, v167
	v_pk_fma_f32 v[30:31], v[122:123], v[170:171], v[30:31] op_sel_hi:[0,1,1]
	v_cvt_f32_i32_e32 v170, v7
	v_mov_b32_e32 v7, 0
	v_cvt_f32_i32_e32 v171, v3
	v_mov_b32_e32 v3, 0
	v_dot4c_i32_i8_e32 v3, v146, v160
	v_dot4c_i32_i8_e32 v3, v147, v164
	;; [unrolled: 1-line block ×7, first 2 shown]
	v_pk_fma_f32 v[170:171], v[170:171], v[168:169], v[130:131] neg_lo:[0,0,1] neg_hi:[0,0,1]
	v_dot4c_i32_i8_e32 v3, v159, v167
	v_pk_fma_f32 v[28:29], v[124:125], v[170:171], v[28:29] op_sel_hi:[0,1,1]
	v_cvt_f32_i32_e32 v170, v172
	v_mov_b32_e32 v172, 0
	v_cvt_f32_i32_e32 v171, v3
	v_mov_b32_e32 v3, 0
	v_dot4c_i32_i8_e32 v3, v154, v160
	v_dot4c_i32_i8_e32 v3, v155, v164
	;; [unrolled: 1-line block ×8, first 2 shown]
	v_cvt_f32_i32_e32 v160, v173
	v_pk_fma_f32 v[170:171], v[170:171], v[168:169], v[130:131] neg_lo:[0,0,1] neg_hi:[0,0,1]
	v_mov_b32_e32 v173, 0
	v_cvt_f32_i32_e32 v161, v3
	v_mov_b32_e32 v3, 0
	v_pk_fma_f32 v[26:27], v[126:127], v[170:171], v[26:27] op_sel_hi:[0,1,1]
	v_mov_b32_e32 v170, 0
	v_pk_fma_f32 v[130:131], v[160:161], v[168:169], v[130:131] neg_lo:[0,0,1] neg_hi:[0,0,1]
	v_pk_fma_f32 v[24:25], v[128:129], v[130:131], v[24:25] op_sel_hi:[0,1,1]
	ds_read_b128 v[160:163], v123 offset:4096
	ds_read_b128 v[164:167], v123 offset:4112
	ds_read2_b32 v[130:131], v121 offset0:128 offset1:160
	v_add_u32_e32 v133, 4, v133
	v_add_u32_e32 v132, 4, v132
	s_waitcnt lgkmcnt(2)
	v_dot4c_i32_i8_e32 v3, v134, v160
	v_dot4c_i32_i8_e32 v7, v136, v160
	v_dot4c_i32_i8_e32 v172, v146, v160
	v_dot4c_i32_i8_e32 v173, v154, v160
	s_waitcnt lgkmcnt(1)
	v_dot4c_i32_i8_e32 v3, v135, v164
	v_dot4c_i32_i8_e32 v7, v138, v164
	;; [unrolled: 1-line block ×28, first 2 shown]
	ds_read_b128 v[160:163], v123 offset:5120
	ds_read_b128 v[164:167], v123 offset:5136
	s_waitcnt lgkmcnt(2)
	v_cvt_f32_f16_e32 v169, v131
	v_cvt_f32_f16_e32 v168, v130
	v_cvt_f32_f16_sdwa v131, v131 dst_sel:DWORD dst_unused:UNUSED_PAD src0_sel:WORD_1
	s_waitcnt lgkmcnt(1)
	v_dot4c_i32_i8_e32 v170, v134, v160
	s_waitcnt lgkmcnt(0)
	v_dot4c_i32_i8_e32 v170, v135, v164
	v_dot4c_i32_i8_e32 v170, v137, v161
	;; [unrolled: 1-line block ×7, first 2 shown]
	v_cvt_f32_f16_sdwa v130, v130 dst_sel:DWORD dst_unused:UNUSED_PAD src0_sel:WORD_1
	s_cmp_lt_u32 s1, 12
	v_pk_mul_f32 v[130:131], v[130:131], s[4:5] op_sel_hi:[1,0]
	v_cvt_f32_i32_e32 v171, v170
	v_cvt_f32_i32_e32 v170, v3
	v_mov_b32_e32 v3, 0
	v_dot4c_i32_i8_e32 v3, v136, v160
	v_dot4c_i32_i8_e32 v3, v138, v164
	;; [unrolled: 1-line block ×7, first 2 shown]
	v_pk_fma_f32 v[170:171], v[170:171], v[168:169], v[130:131] neg_lo:[0,0,1] neg_hi:[0,0,1]
	v_dot4c_i32_i8_e32 v3, v151, v167
	v_pk_fma_f32 v[22:23], v[122:123], v[170:171], v[22:23] op_sel_hi:[0,1,1]
	v_cvt_f32_i32_e32 v170, v7
	v_mov_b32_e32 v7, 0
	v_cvt_f32_i32_e32 v171, v3
	v_mov_b32_e32 v3, 0
	v_dot4c_i32_i8_e32 v3, v146, v160
	v_dot4c_i32_i8_e32 v3, v147, v164
	;; [unrolled: 1-line block ×7, first 2 shown]
	v_pk_fma_f32 v[170:171], v[170:171], v[168:169], v[130:131] neg_lo:[0,0,1] neg_hi:[0,0,1]
	v_dot4c_i32_i8_e32 v3, v159, v167
	v_pk_fma_f32 v[20:21], v[124:125], v[170:171], v[20:21] op_sel_hi:[0,1,1]
	v_cvt_f32_i32_e32 v170, v172
	s_nop 0
	v_cvt_f32_i32_e32 v171, v3
	v_mov_b32_e32 v3, 0
	v_dot4c_i32_i8_e32 v3, v154, v160
	v_dot4c_i32_i8_e32 v3, v155, v164
	;; [unrolled: 1-line block ×8, first 2 shown]
	v_cvt_f32_i32_e32 v160, v173
	v_pk_fma_f32 v[170:171], v[170:171], v[168:169], v[130:131] neg_lo:[0,0,1] neg_hi:[0,0,1]
	v_pk_fma_f32 v[18:19], v[126:127], v[170:171], v[18:19] op_sel_hi:[0,1,1]
	v_cvt_f32_i32_e32 v161, v3
	v_mov_b32_e32 v3, 0
	v_mov_b32_e32 v170, 0
	v_pk_fma_f32 v[130:131], v[160:161], v[168:169], v[130:131] neg_lo:[0,0,1] neg_hi:[0,0,1]
	v_pk_fma_f32 v[16:17], v[128:129], v[130:131], v[16:17] op_sel_hi:[0,1,1]
	ds_read_b128 v[160:163], v123 offset:6144
	ds_read_b128 v[164:167], v123 offset:6160
	ds_read2_b32 v[130:131], v121 offset0:192 offset1:224
	v_mov_b32_e32 v168, 0
	v_mov_b32_e32 v169, 0
	s_waitcnt lgkmcnt(2)
	v_dot4c_i32_i8_e32 v3, v134, v160
	v_dot4c_i32_i8_e32 v7, v136, v160
	;; [unrolled: 1-line block ×4, first 2 shown]
	s_waitcnt lgkmcnt(1)
	v_dot4c_i32_i8_e32 v3, v135, v164
	v_dot4c_i32_i8_e32 v7, v138, v164
	;; [unrolled: 1-line block ×28, first 2 shown]
	ds_read_b128 v[160:163], v123 offset:7168
	ds_read_b128 v[164:167], v123 offset:7184
	v_add_u32_e32 v121, 4, v121
	s_waitcnt lgkmcnt(1)
	v_dot4c_i32_i8_e32 v170, v134, v160
	s_waitcnt lgkmcnt(0)
	v_dot4c_i32_i8_e32 v170, v135, v164
	v_dot4c_i32_i8_e32 v170, v137, v161
	;; [unrolled: 1-line block ×4, first 2 shown]
	v_cvt_f32_i32_e32 v140, v3
	v_mov_b32_e32 v3, 0
	v_dot4c_i32_i8_e32 v3, v136, v160
	v_dot4c_i32_i8_e32 v3, v138, v164
	;; [unrolled: 1-line block ×8, first 2 shown]
	v_cvt_f32_f16_e32 v135, v131
	v_cvt_f32_f16_e32 v134, v130
	v_cvt_f32_f16_sdwa v131, v131 dst_sel:DWORD dst_unused:UNUSED_PAD src0_sel:WORD_1
	v_cvt_f32_i32_e32 v137, v3
	v_mov_b32_e32 v3, 0
	v_dot4c_i32_i8_e32 v3, v146, v160
	v_dot4c_i32_i8_e32 v3, v147, v164
	v_cvt_f32_f16_sdwa v130, v130 dst_sel:DWORD dst_unused:UNUSED_PAD src0_sel:WORD_1
	v_dot4c_i32_i8_e32 v3, v152, v161
	v_cvt_f32_i32_e32 v136, v7
	v_dot4c_i32_i8_e32 v3, v153, v165
	v_dot4c_i32_i8_e32 v3, v156, v162
	;; [unrolled: 1-line block ×3, first 2 shown]
	v_pk_mul_f32 v[130:131], v[130:131], s[4:5] op_sel_hi:[1,0]
	v_dot4c_i32_i8_e32 v3, v158, v163
	v_pk_fma_f32 v[136:137], v[136:137], v[134:135], v[130:131] neg_lo:[0,0,1] neg_hi:[0,0,1]
	v_dot4c_i32_i8_e32 v3, v159, v167
	v_pk_fma_f32 v[12:13], v[124:125], v[136:137], v[12:13] op_sel_hi:[0,1,1]
	v_dot4c_i32_i8_e32 v170, v141, v166
	v_dot4c_i32_i8_e32 v170, v142, v163
	v_cvt_f32_i32_e32 v137, v3
	v_mov_b32_e32 v3, 0
	v_dot4c_i32_i8_e32 v3, v154, v160
	v_dot4c_i32_i8_e32 v3, v155, v164
	v_dot4c_i32_i8_e32 v3, v0, v161
	v_dot4c_i32_i8_e32 v3, v4, v165
	v_dot4c_i32_i8_e32 v3, v1, v162
	v_dot4c_i32_i8_e32 v3, v5, v166
	v_dot4c_i32_i8_e32 v3, v2, v163
	v_dot4c_i32_i8_e32 v170, v144, v167
	v_dot4c_i32_i8_e32 v3, v6, v167
	v_cvt_f32_i32_e32 v136, v168
	v_cvt_f32_i32_e32 v0, v169
	;; [unrolled: 1-line block ×4, first 2 shown]
	v_pk_fma_f32 v[136:137], v[136:137], v[134:135], v[130:131] neg_lo:[0,0,1] neg_hi:[0,0,1]
	v_pk_fma_f32 v[10:11], v[126:127], v[136:137], v[10:11] op_sel_hi:[0,1,1]
	v_pk_fma_f32 v[140:141], v[140:141], v[134:135], v[130:131] neg_lo:[0,0,1] neg_hi:[0,0,1]
	v_pk_fma_f32 v[0:1], v[0:1], v[134:135], v[130:131] neg_lo:[0,0,1] neg_hi:[0,0,1]
	v_pk_fma_f32 v[14:15], v[122:123], v[140:141], v[14:15] op_sel_hi:[0,1,1]
	v_pk_fma_f32 v[8:9], v[128:129], v[0:1], v[8:9] op_sel_hi:[0,1,1]
	v_add_u32_e32 v129, 4, v129
	v_add_u32_e32 v127, 4, v127
	;; [unrolled: 1-line block ×4, first 2 shown]
	s_cbranch_scc1 .LBB158_7
; %bb.8:                                ;   in Loop: Header=BB158_6 Depth=1
	s_or_b32 s1, s0, 4
	s_cmp_ge_i32 s1, s5
	s_barrier
	s_cbranch_scc1 .LBB158_5
; %bb.9:                                ;   in Loop: Header=BB158_6 Depth=1
	v_add_u32_e32 v121, s0, v85
	v_add_u32_e32 v0, v121, v47
	;; [unrolled: 1-line block ×6, first 2 shown]
	v_mad_i64_i32 v[0:1], s[16:17], v0, 36, v[118:119]
	v_mad_i64_i32 v[2:3], s[16:17], v2, 36, v[118:119]
	;; [unrolled: 1-line block ×5, first 2 shown]
	v_add_u32_e32 v124, v121, v71
	v_add_u32_e32 v126, v121, v75
	;; [unrolled: 1-line block ×3, first 2 shown]
	v_mad_i64_i32 v[124:125], s[16:17], v124, 36, v[118:119]
	v_mad_i64_i32 v[126:127], s[16:17], v126, 36, v[118:119]
	v_mad_i64_i32 v[128:129], s[16:17], v121, 36, v[118:119]
	global_load_dword v130, v[0:1], off offset:4
	s_nop 0
	global_load_dword v2, v[2:3], off offset:4
	s_nop 0
	global_load_dword v3, v[4:5], off offset:4
	s_nop 0
	global_load_dword v4, v[6:7], off offset:4
	global_load_dword v5, v[122:123], off offset:4
                                        ; kill: killed $vgpr122_vgpr123
                                        ; kill: killed $vgpr6_vgpr7
	s_nop 0
	global_load_dword v6, v[124:125], off offset:4
	global_load_dword v7, v[126:127], off offset:4
	global_load_dword v122, v[128:129], off offset:4
	v_add_u32_e32 v0, 4, v117
	v_mad_u64_u32 v[0:1], s[16:17], v0, 36, s[2:3]
	global_load_dword v0, v[0:1], off
	s_mov_b32 s1, 12
	v_mov_b32_e32 v117, v97
	v_mov_b32_e32 v121, v95
	;; [unrolled: 1-line block ×7, first 2 shown]
	s_waitcnt vmcnt(8)
	ds_write_b32 v49, v130
	s_waitcnt vmcnt(7)
	ds_write_b32 v55, v2
	;; [unrolled: 2-line block ×9, first 2 shown]
	s_waitcnt lgkmcnt(0)
	s_barrier
.LBB158_10:                             ;   Parent Loop BB158_6 Depth=1
                                        ; =>  This Inner Loop Header: Depth=2
	ds_read_b128 v[0:3], v121
	ds_read_b128 v[4:7], v121 offset:16
	ds_read2_b32 v[130:131], v117 offset1:32
	ds_read_b32 v122, v125
	ds_read2_b32 v[134:135], v123 offset1:1
	ds_read2_b32 v[142:143], v123 offset0:2 offset1:3
	v_add_u32_e32 v126, 0x1080, v123
	v_add_u32_e32 v128, 0x2100, v123
	v_mov_b32_e32 v170, 0
	s_waitcnt lgkmcnt(1)
	v_lshrrev_b32_e32 v124, 4, v134
	v_and_b32_e32 v133, 0xf0f0f0f, v134
	v_and_b32_e32 v134, 0xf0f0f0f, v124
	v_lshrrev_b32_e32 v124, 4, v135
	v_and_b32_e32 v138, 0xf0f0f0f, v124
	s_waitcnt lgkmcnt(0)
	v_lshrrev_b32_e32 v124, 4, v142
	v_and_b32_e32 v140, 0xf0f0f0f, v124
	v_lshrrev_b32_e32 v124, 4, v143
	v_and_b32_e32 v141, 0xf0f0f0f, v143
	v_and_b32_e32 v143, 0xf0f0f0f, v124
	ds_read_b32 v124, v127
	ds_read2_b32 v[144:145], v126 offset1:1
	v_and_b32_e32 v136, 0xf0f0f0f, v135
	v_and_b32_e32 v139, 0xf0f0f0f, v142
	v_mov_b32_e32 v172, 0
	v_mov_b32_e32 v173, 0
	s_waitcnt lgkmcnt(0)
	v_lshrrev_b32_e32 v126, 4, v144
	v_and_b32_e32 v137, 0xf0f0f0f, v126
	v_lshrrev_b32_e32 v126, 4, v145
	v_and_b32_e32 v135, 0xf0f0f0f, v144
	v_and_b32_e32 v144, 0xf0f0f0f, v126
	v_add_u32_e32 v126, 0x1088, v123
	ds_read2_b32 v[150:151], v126 offset1:1
	v_and_b32_e32 v142, 0xf0f0f0f, v145
	v_dot4c_i32_i8_e32 v170, v133, v0
	v_dot4c_i32_i8_e32 v172, v135, v0
	;; [unrolled: 1-line block ×3, first 2 shown]
	s_waitcnt lgkmcnt(0)
	v_lshrrev_b32_e32 v126, 4, v150
	v_and_b32_e32 v148, 0xf0f0f0f, v126
	v_lshrrev_b32_e32 v126, 4, v151
	v_and_b32_e32 v147, 0xf0f0f0f, v150
	v_and_b32_e32 v150, 0xf0f0f0f, v126
	ds_read_b32 v126, v129
	ds_read2_b32 v[152:153], v128 offset1:1
	v_and_b32_e32 v149, 0xf0f0f0f, v151
	v_dot4c_i32_i8_e32 v172, v137, v4
	v_dot4c_i32_i8_e32 v170, v136, v1
	;; [unrolled: 1-line block ×3, first 2 shown]
	s_waitcnt lgkmcnt(0)
	v_lshrrev_b32_e32 v128, 4, v152
	v_and_b32_e32 v146, 0xf0f0f0f, v128
	v_lshrrev_b32_e32 v128, 4, v153
	v_and_b32_e32 v145, 0xf0f0f0f, v152
	v_and_b32_e32 v152, 0xf0f0f0f, v128
	v_add_u32_e32 v128, 0x2108, v123
	ds_read2_b32 v[158:159], v128 offset1:1
	v_and_b32_e32 v151, 0xf0f0f0f, v153
	v_add_u32_e32 v153, 0x3180, v123
	v_dot4c_i32_i8_e32 v173, v145, v0
	v_dot4c_i32_i8_e32 v173, v146, v4
	s_waitcnt lgkmcnt(0)
	v_lshrrev_b32_e32 v128, 4, v158
	v_and_b32_e32 v156, 0xf0f0f0f, v128
	v_lshrrev_b32_e32 v128, 4, v159
	v_and_b32_e32 v155, 0xf0f0f0f, v158
	v_and_b32_e32 v158, 0xf0f0f0f, v128
	ds_read_b32 v128, v132
	ds_read2_b32 v[160:161], v153 offset1:1
	v_and_b32_e32 v157, 0xf0f0f0f, v159
	v_mov_b32_e32 v159, 0
	v_dot4c_i32_i8_e32 v173, v151, v1
	v_dot4c_i32_i8_e32 v170, v138, v5
	s_waitcnt lgkmcnt(0)
	v_and_b32_e32 v153, 0xf0f0f0f, v160
	v_lshrrev_b32_e32 v154, 4, v160
	v_and_b32_e32 v154, 0xf0f0f0f, v154
	v_dot4c_i32_i8_e32 v159, v153, v0
	v_dot4c_i32_i8_e32 v159, v154, v4
	v_and_b32_e32 v0, 0xf0f0f0f, v161
	v_dot4c_i32_i8_e32 v159, v0, v1
	v_add_u32_e32 v1, 0x3188, v123
	v_lshrrev_b32_e32 v4, 4, v161
	ds_read2_b32 v[160:161], v1 offset1:1
	v_and_b32_e32 v4, 0xf0f0f0f, v4
	v_dot4c_i32_i8_e32 v172, v144, v5
	v_dot4c_i32_i8_e32 v173, v152, v5
	;; [unrolled: 1-line block ×3, first 2 shown]
	s_waitcnt lgkmcnt(0)
	v_and_b32_e32 v1, 0xf0f0f0f, v160
	v_lshrrev_b32_e32 v5, 4, v160
	v_dot4c_i32_i8_e32 v170, v139, v2
	v_dot4c_i32_i8_e32 v172, v147, v2
	;; [unrolled: 1-line block ×3, first 2 shown]
	v_and_b32_e32 v5, 0xf0f0f0f, v5
	v_dot4c_i32_i8_e32 v159, v1, v2
	v_dot4c_i32_i8_e32 v170, v140, v6
	;; [unrolled: 1-line block ×5, first 2 shown]
	v_and_b32_e32 v2, 0xf0f0f0f, v161
	v_lshrrev_b32_e32 v6, 4, v161
	ds_read_b128 v[160:163], v121 offset:1024
	ds_read_b128 v[164:167], v121 offset:1040
	v_dot4c_i32_i8_e32 v170, v141, v3
	v_dot4c_i32_i8_e32 v172, v149, v3
	;; [unrolled: 1-line block ×4, first 2 shown]
	v_mov_b32_e32 v3, 0
	s_waitcnt lgkmcnt(1)
	v_dot4c_i32_i8_e32 v3, v133, v160
	s_waitcnt lgkmcnt(0)
	v_dot4c_i32_i8_e32 v3, v134, v164
	v_dot4c_i32_i8_e32 v3, v136, v161
	;; [unrolled: 1-line block ×8, first 2 shown]
	v_cvt_f32_f16_e32 v169, v131
	v_cvt_f32_f16_e32 v168, v130
	v_cvt_f32_i32_e32 v171, v3
	v_mov_b32_e32 v3, 0
	v_dot4c_i32_i8_e32 v3, v135, v160
	v_dot4c_i32_i8_e32 v3, v137, v164
	v_cvt_f32_f16_sdwa v131, v131 dst_sel:DWORD dst_unused:UNUSED_PAD src0_sel:WORD_1
	v_cvt_f32_f16_sdwa v130, v130 dst_sel:DWORD dst_unused:UNUSED_PAD src0_sel:WORD_1
	v_dot4c_i32_i8_e32 v3, v142, v161
	v_cvt_f32_i32_e32 v170, v170
	v_dot4c_i32_i8_e32 v3, v144, v165
	v_dot4c_i32_i8_e32 v3, v147, v162
	;; [unrolled: 1-line block ×3, first 2 shown]
	v_pk_mul_f32 v[130:131], v[130:131], s[4:5] op_sel_hi:[1,0]
	v_dot4c_i32_i8_e32 v3, v149, v163
	v_pk_fma_f32 v[170:171], v[168:169], v[170:171], v[130:131] neg_lo:[0,0,1] neg_hi:[0,0,1]
	v_dot4c_i32_i8_e32 v3, v150, v167
	v_pk_fma_f32 v[68:69], v[122:123], v[170:171], v[68:69] op_sel_hi:[0,1,1]
	v_dot4c_i32_i8_e32 v172, v150, v7
	v_and_b32_e32 v6, 0xf0f0f0f, v6
	v_cvt_f32_i32_e32 v171, v3
	v_mov_b32_e32 v3, 0
	v_dot4c_i32_i8_e32 v3, v145, v160
	v_dot4c_i32_i8_e32 v3, v146, v164
	;; [unrolled: 1-line block ×3, first 2 shown]
	v_cvt_f32_i32_e32 v170, v172
	v_dot4c_i32_i8_e32 v3, v152, v165
	v_dot4c_i32_i8_e32 v3, v155, v162
	v_dot4c_i32_i8_e32 v3, v156, v166
	v_dot4c_i32_i8_e32 v3, v157, v163
	v_pk_fma_f32 v[170:171], v[168:169], v[170:171], v[130:131] neg_lo:[0,0,1] neg_hi:[0,0,1]
	v_dot4c_i32_i8_e32 v3, v158, v167
	v_pk_fma_f32 v[50:51], v[124:125], v[170:171], v[50:51] op_sel_hi:[0,1,1]
	v_dot4c_i32_i8_e32 v173, v158, v7
	v_dot4c_i32_i8_e32 v159, v6, v7
	v_cvt_f32_i32_e32 v171, v3
	v_mov_b32_e32 v3, 0
	v_dot4c_i32_i8_e32 v3, v153, v160
	v_dot4c_i32_i8_e32 v3, v154, v164
	;; [unrolled: 1-line block ×8, first 2 shown]
	v_cvt_f32_i32_e32 v170, v173
	v_cvt_f32_i32_e32 v160, v159
	v_mov_b32_e32 v7, 0
	v_cvt_f32_i32_e32 v161, v3
	v_pk_fma_f32 v[170:171], v[168:169], v[170:171], v[130:131] neg_lo:[0,0,1] neg_hi:[0,0,1]
	v_mov_b32_e32 v3, 0
	v_mov_b32_e32 v159, 0
	v_pk_fma_f32 v[130:131], v[168:169], v[160:161], v[130:131] neg_lo:[0,0,1] neg_hi:[0,0,1]
	v_pk_fma_f32 v[32:33], v[128:129], v[130:131], v[32:33] op_sel_hi:[0,1,1]
	ds_read_b128 v[160:163], v121 offset:2048
	ds_read_b128 v[164:167], v121 offset:2064
	ds_read2_b32 v[130:131], v117 offset0:64 offset1:96
	v_mov_b32_e32 v172, 0
	v_pk_fma_f32 v[34:35], v[126:127], v[170:171], v[34:35] op_sel_hi:[0,1,1]
	s_waitcnt lgkmcnt(2)
	v_dot4c_i32_i8_e32 v3, v133, v160
	v_dot4c_i32_i8_e32 v7, v135, v160
	;; [unrolled: 1-line block ×4, first 2 shown]
	s_waitcnt lgkmcnt(1)
	v_dot4c_i32_i8_e32 v3, v134, v164
	v_dot4c_i32_i8_e32 v7, v137, v164
	;; [unrolled: 1-line block ×28, first 2 shown]
	ds_read_b128 v[160:163], v121 offset:3072
	ds_read_b128 v[164:167], v121 offset:3088
	v_mov_b32_e32 v170, 0
	s_waitcnt lgkmcnt(2)
	v_cvt_f32_f16_e32 v169, v131
	v_cvt_f32_f16_e32 v168, v130
	s_waitcnt lgkmcnt(1)
	v_dot4c_i32_i8_e32 v170, v133, v160
	s_waitcnt lgkmcnt(0)
	v_dot4c_i32_i8_e32 v170, v134, v164
	v_dot4c_i32_i8_e32 v170, v136, v161
	;; [unrolled: 1-line block ×7, first 2 shown]
	v_cvt_f32_f16_sdwa v131, v131 dst_sel:DWORD dst_unused:UNUSED_PAD src0_sel:WORD_1
	v_cvt_f32_f16_sdwa v130, v130 dst_sel:DWORD dst_unused:UNUSED_PAD src0_sel:WORD_1
	s_add_i32 s1, s1, 4
	v_cvt_f32_i32_e32 v171, v170
	v_cvt_f32_i32_e32 v170, v3
	v_mov_b32_e32 v3, 0
	v_dot4c_i32_i8_e32 v3, v135, v160
	v_dot4c_i32_i8_e32 v3, v137, v164
	;; [unrolled: 1-line block ×6, first 2 shown]
	v_pk_mul_f32 v[130:131], v[130:131], s[4:5] op_sel_hi:[1,0]
	v_dot4c_i32_i8_e32 v3, v149, v163
	v_pk_fma_f32 v[170:171], v[170:171], v[168:169], v[130:131] neg_lo:[0,0,1] neg_hi:[0,0,1]
	v_dot4c_i32_i8_e32 v3, v150, v167
	v_pk_fma_f32 v[30:31], v[122:123], v[170:171], v[30:31] op_sel_hi:[0,1,1]
	v_cvt_f32_i32_e32 v170, v7
	v_mov_b32_e32 v7, 0
	v_cvt_f32_i32_e32 v171, v3
	v_mov_b32_e32 v3, 0
	v_dot4c_i32_i8_e32 v3, v145, v160
	v_dot4c_i32_i8_e32 v3, v146, v164
	;; [unrolled: 1-line block ×7, first 2 shown]
	v_pk_fma_f32 v[170:171], v[170:171], v[168:169], v[130:131] neg_lo:[0,0,1] neg_hi:[0,0,1]
	v_dot4c_i32_i8_e32 v3, v158, v167
	v_pk_fma_f32 v[28:29], v[124:125], v[170:171], v[28:29] op_sel_hi:[0,1,1]
	v_cvt_f32_i32_e32 v170, v159
	v_mov_b32_e32 v159, 0
	v_cvt_f32_i32_e32 v171, v3
	v_mov_b32_e32 v3, 0
	v_dot4c_i32_i8_e32 v3, v153, v160
	v_dot4c_i32_i8_e32 v3, v154, v164
	;; [unrolled: 1-line block ×8, first 2 shown]
	v_cvt_f32_i32_e32 v160, v172
	v_pk_fma_f32 v[170:171], v[170:171], v[168:169], v[130:131] neg_lo:[0,0,1] neg_hi:[0,0,1]
	v_mov_b32_e32 v172, 0
	v_cvt_f32_i32_e32 v161, v3
	v_mov_b32_e32 v3, 0
	v_pk_fma_f32 v[26:27], v[126:127], v[170:171], v[26:27] op_sel_hi:[0,1,1]
	v_mov_b32_e32 v170, 0
	v_pk_fma_f32 v[130:131], v[160:161], v[168:169], v[130:131] neg_lo:[0,0,1] neg_hi:[0,0,1]
	v_pk_fma_f32 v[24:25], v[128:129], v[130:131], v[24:25] op_sel_hi:[0,1,1]
	ds_read_b128 v[160:163], v121 offset:4096
	ds_read_b128 v[164:167], v121 offset:4112
	ds_read2_b32 v[130:131], v117 offset0:128 offset1:160
	v_add_u32_e32 v132, 4, v132
	s_cmp_lt_u32 s1, 28
	s_waitcnt lgkmcnt(2)
	v_dot4c_i32_i8_e32 v3, v133, v160
	v_dot4c_i32_i8_e32 v7, v135, v160
	;; [unrolled: 1-line block ×4, first 2 shown]
	s_waitcnt lgkmcnt(1)
	v_dot4c_i32_i8_e32 v3, v134, v164
	v_dot4c_i32_i8_e32 v7, v137, v164
	v_dot4c_i32_i8_e32 v159, v146, v164
	v_dot4c_i32_i8_e32 v172, v154, v164
	v_dot4c_i32_i8_e32 v3, v136, v161
	v_dot4c_i32_i8_e32 v7, v142, v161
	v_dot4c_i32_i8_e32 v159, v151, v161
	v_dot4c_i32_i8_e32 v172, v0, v161
	v_dot4c_i32_i8_e32 v3, v138, v165
	v_dot4c_i32_i8_e32 v7, v144, v165
	v_dot4c_i32_i8_e32 v159, v152, v165
	v_dot4c_i32_i8_e32 v172, v4, v165
	v_dot4c_i32_i8_e32 v3, v139, v162
	v_dot4c_i32_i8_e32 v7, v147, v162
	v_dot4c_i32_i8_e32 v159, v155, v162
	v_dot4c_i32_i8_e32 v172, v1, v162
	v_dot4c_i32_i8_e32 v3, v140, v166
	v_dot4c_i32_i8_e32 v7, v148, v166
	v_dot4c_i32_i8_e32 v159, v156, v166
	v_dot4c_i32_i8_e32 v172, v5, v166
	v_dot4c_i32_i8_e32 v3, v141, v163
	v_dot4c_i32_i8_e32 v7, v149, v163
	v_dot4c_i32_i8_e32 v159, v157, v163
	v_dot4c_i32_i8_e32 v172, v2, v163
	v_dot4c_i32_i8_e32 v3, v143, v167
	v_dot4c_i32_i8_e32 v7, v150, v167
	v_dot4c_i32_i8_e32 v159, v158, v167
	v_dot4c_i32_i8_e32 v172, v6, v167
	ds_read_b128 v[160:163], v121 offset:5120
	ds_read_b128 v[164:167], v121 offset:5136
	s_waitcnt lgkmcnt(2)
	v_cvt_f32_f16_e32 v169, v131
	v_cvt_f32_f16_e32 v168, v130
	v_cvt_f32_f16_sdwa v131, v131 dst_sel:DWORD dst_unused:UNUSED_PAD src0_sel:WORD_1
	s_waitcnt lgkmcnt(1)
	v_dot4c_i32_i8_e32 v170, v133, v160
	s_waitcnt lgkmcnt(0)
	v_dot4c_i32_i8_e32 v170, v134, v164
	v_dot4c_i32_i8_e32 v170, v136, v161
	;; [unrolled: 1-line block ×7, first 2 shown]
	v_cvt_f32_f16_sdwa v130, v130 dst_sel:DWORD dst_unused:UNUSED_PAD src0_sel:WORD_1
	v_pk_mul_f32 v[130:131], v[130:131], s[4:5] op_sel_hi:[1,0]
	s_nop 0
	v_cvt_f32_i32_e32 v171, v170
	v_cvt_f32_i32_e32 v170, v3
	v_mov_b32_e32 v3, 0
	v_dot4c_i32_i8_e32 v3, v135, v160
	v_dot4c_i32_i8_e32 v3, v137, v164
	;; [unrolled: 1-line block ×7, first 2 shown]
	v_pk_fma_f32 v[170:171], v[170:171], v[168:169], v[130:131] neg_lo:[0,0,1] neg_hi:[0,0,1]
	v_dot4c_i32_i8_e32 v3, v150, v167
	v_pk_fma_f32 v[22:23], v[122:123], v[170:171], v[22:23] op_sel_hi:[0,1,1]
	v_cvt_f32_i32_e32 v170, v7
	v_mov_b32_e32 v7, 0
	v_cvt_f32_i32_e32 v171, v3
	v_mov_b32_e32 v3, 0
	v_dot4c_i32_i8_e32 v3, v145, v160
	v_dot4c_i32_i8_e32 v3, v146, v164
	;; [unrolled: 1-line block ×7, first 2 shown]
	v_pk_fma_f32 v[170:171], v[170:171], v[168:169], v[130:131] neg_lo:[0,0,1] neg_hi:[0,0,1]
	v_dot4c_i32_i8_e32 v3, v158, v167
	v_pk_fma_f32 v[20:21], v[124:125], v[170:171], v[20:21] op_sel_hi:[0,1,1]
	v_cvt_f32_i32_e32 v170, v159
	v_mov_b32_e32 v159, 0
	v_cvt_f32_i32_e32 v171, v3
	v_mov_b32_e32 v3, 0
	v_dot4c_i32_i8_e32 v3, v153, v160
	v_dot4c_i32_i8_e32 v3, v154, v164
	;; [unrolled: 1-line block ×8, first 2 shown]
	v_cvt_f32_i32_e32 v160, v172
	v_pk_fma_f32 v[170:171], v[170:171], v[168:169], v[130:131] neg_lo:[0,0,1] neg_hi:[0,0,1]
	v_pk_fma_f32 v[18:19], v[126:127], v[170:171], v[18:19] op_sel_hi:[0,1,1]
	v_cvt_f32_i32_e32 v161, v3
	v_mov_b32_e32 v3, 0
	v_pk_fma_f32 v[130:131], v[160:161], v[168:169], v[130:131] neg_lo:[0,0,1] neg_hi:[0,0,1]
	v_pk_fma_f32 v[16:17], v[128:129], v[130:131], v[16:17] op_sel_hi:[0,1,1]
	ds_read_b128 v[160:163], v121 offset:6144
	ds_read_b128 v[164:167], v121 offset:6160
	ds_read2_b32 v[130:131], v117 offset0:192 offset1:224
	v_mov_b32_e32 v168, 0
	v_mov_b32_e32 v169, 0
	s_waitcnt lgkmcnt(2)
	v_dot4c_i32_i8_e32 v3, v133, v160
	v_dot4c_i32_i8_e32 v7, v135, v160
	;; [unrolled: 1-line block ×4, first 2 shown]
	s_waitcnt lgkmcnt(1)
	v_dot4c_i32_i8_e32 v3, v134, v164
	v_dot4c_i32_i8_e32 v7, v137, v164
	;; [unrolled: 1-line block ×28, first 2 shown]
	ds_read_b128 v[160:163], v121 offset:7168
	ds_read_b128 v[164:167], v121 offset:7184
	v_add_u32_e32 v121, 32, v121
	v_add_u32_e32 v117, 4, v117
	s_waitcnt lgkmcnt(1)
	v_dot4c_i32_i8_e32 v169, v133, v160
	s_waitcnt lgkmcnt(0)
	v_dot4c_i32_i8_e32 v169, v134, v164
	v_dot4c_i32_i8_e32 v169, v136, v161
	;; [unrolled: 1-line block ×5, first 2 shown]
	v_cvt_f32_i32_e32 v140, v3
	v_mov_b32_e32 v3, 0
	v_dot4c_i32_i8_e32 v3, v135, v160
	v_dot4c_i32_i8_e32 v3, v137, v164
	;; [unrolled: 1-line block ×8, first 2 shown]
	v_cvt_f32_f16_e32 v139, v131
	v_cvt_f32_f16_e32 v138, v130
	v_cvt_f32_f16_sdwa v131, v131 dst_sel:DWORD dst_unused:UNUSED_PAD src0_sel:WORD_1
	v_cvt_f32_i32_e32 v135, v3
	v_mov_b32_e32 v3, 0
	v_dot4c_i32_i8_e32 v3, v145, v160
	v_dot4c_i32_i8_e32 v3, v146, v164
	v_cvt_f32_f16_sdwa v130, v130 dst_sel:DWORD dst_unused:UNUSED_PAD src0_sel:WORD_1
	v_dot4c_i32_i8_e32 v3, v151, v161
	v_cvt_f32_i32_e32 v134, v7
	v_dot4c_i32_i8_e32 v3, v152, v165
	v_dot4c_i32_i8_e32 v3, v155, v162
	v_dot4c_i32_i8_e32 v3, v156, v166
	v_pk_mul_f32 v[130:131], v[130:131], s[4:5] op_sel_hi:[1,0]
	v_dot4c_i32_i8_e32 v3, v157, v163
	v_pk_fma_f32 v[134:135], v[134:135], v[138:139], v[130:131] neg_lo:[0,0,1] neg_hi:[0,0,1]
	v_dot4c_i32_i8_e32 v3, v158, v167
	v_pk_fma_f32 v[12:13], v[124:125], v[134:135], v[12:13] op_sel_hi:[0,1,1]
	v_dot4c_i32_i8_e32 v169, v141, v163
	v_dot4c_i32_i8_e32 v169, v143, v167
	v_cvt_f32_i32_e32 v135, v3
	v_mov_b32_e32 v3, 0
	v_dot4c_i32_i8_e32 v3, v153, v160
	v_dot4c_i32_i8_e32 v3, v154, v164
	;; [unrolled: 1-line block ×8, first 2 shown]
	v_cvt_f32_i32_e32 v141, v169
	v_cvt_f32_i32_e32 v134, v159
	;; [unrolled: 1-line block ×4, first 2 shown]
	v_pk_fma_f32 v[140:141], v[140:141], v[138:139], v[130:131] neg_lo:[0,0,1] neg_hi:[0,0,1]
	v_pk_fma_f32 v[134:135], v[134:135], v[138:139], v[130:131] neg_lo:[0,0,1] neg_hi:[0,0,1]
	v_pk_fma_f32 v[14:15], v[122:123], v[140:141], v[14:15] op_sel_hi:[0,1,1]
	v_pk_fma_f32 v[0:1], v[0:1], v[138:139], v[130:131] neg_lo:[0,0,1] neg_hi:[0,0,1]
	v_pk_fma_f32 v[10:11], v[126:127], v[134:135], v[10:11] op_sel_hi:[0,1,1]
	v_pk_fma_f32 v[8:9], v[128:129], v[0:1], v[8:9] op_sel_hi:[0,1,1]
	v_add_u32_e32 v129, 4, v129
	v_add_u32_e32 v127, 4, v127
	;; [unrolled: 1-line block ×4, first 2 shown]
	s_cbranch_scc1 .LBB158_10
; %bb.11:                               ;   in Loop: Header=BB158_6 Depth=1
	s_barrier
	s_branch .LBB158_5
.LBB158_12:
	v_mov_b32_e32 v1, v39
.LBB158_13:
	v_cmp_gt_u32_e32 vcc, s10, v41
	s_and_saveexec_b64 s[0:1], vcc
	s_cbranch_execz .LBB158_64
; %bb.14:
	v_add_u32_e32 v0, s6, v37
	v_mul_lo_u32 v5, v41, s14
	v_cmp_gt_u32_e32 vcc, s14, v0
	s_and_saveexec_b64 s[2:3], vcc
	s_cbranch_execz .LBB158_16
; %bb.15:
	v_bfe_u32 v2, v68, 16, 1
	s_movk_i32 s0, 0x7fff
	v_add3_u32 v2, v68, v2, s0
	v_lshrrev_b32_e32 v2, 16, v2
	v_mov_b32_e32 v3, 0x7fc0
	v_cmp_o_f32_e64 s[0:1], v68, v68
	v_cndmask_b32_e64 v4, v3, v2, s[0:1]
	v_add_u32_e32 v2, v0, v5
	v_mov_b32_e32 v3, 0
	v_lshlrev_b64 v[2:3], 1, v[2:3]
	s_waitcnt lgkmcnt(0)
	v_mov_b32_e32 v6, s13
	v_add_co_u32_e64 v2, s[0:1], s12, v2
	v_addc_co_u32_e64 v3, s[0:1], v6, v3, s[0:1]
	global_store_short v[2:3], v4, off
.LBB158_16:
	s_or_b64 exec, exec, s[2:3]
	v_add_u32_e32 v2, 32, v0
	v_cmp_gt_u32_e64 s[0:1], s14, v2
	s_and_saveexec_b64 s[4:5], s[0:1]
	s_cbranch_execz .LBB158_18
; %bb.17:
	v_bfe_u32 v3, v50, 16, 1
	s_movk_i32 s2, 0x7fff
	v_add3_u32 v3, v50, v3, s2
	v_add_u32_e32 v6, v2, v5
	v_mov_b32_e32 v7, 0
	v_lshrrev_b32_e32 v3, 16, v3
	v_mov_b32_e32 v4, 0x7fc0
	v_cmp_o_f32_e64 s[2:3], v50, v50
	v_lshlrev_b64 v[6:7], 1, v[6:7]
	v_cndmask_b32_e64 v3, v4, v3, s[2:3]
	s_waitcnt lgkmcnt(0)
	v_mov_b32_e32 v4, s13
	v_add_co_u32_e64 v6, s[2:3], s12, v6
	v_addc_co_u32_e64 v7, s[2:3], v4, v7, s[2:3]
	global_store_short v[6:7], v3, off
.LBB158_18:
	s_or_b64 exec, exec, s[4:5]
	v_add_u32_e32 v3, 64, v0
	v_cmp_gt_u32_e64 s[2:3], s14, v3
	s_and_saveexec_b64 s[6:7], s[2:3]
	s_cbranch_execz .LBB158_20
; %bb.19:
	v_bfe_u32 v4, v34, 16, 1
	s_movk_i32 s4, 0x7fff
	v_add3_u32 v4, v34, v4, s4
	v_lshrrev_b32_e32 v4, 16, v4
	v_mov_b32_e32 v6, 0x7fc0
	v_cmp_o_f32_e64 s[4:5], v34, v34
	v_cndmask_b32_e64 v4, v6, v4, s[4:5]
	v_add_u32_e32 v6, v3, v5
	v_mov_b32_e32 v7, 0
	v_lshlrev_b64 v[6:7], 1, v[6:7]
	s_waitcnt lgkmcnt(0)
	v_mov_b32_e32 v34, s13
	v_add_co_u32_e64 v6, s[4:5], s12, v6
	v_addc_co_u32_e64 v7, s[4:5], v34, v7, s[4:5]
	global_store_short v[6:7], v4, off
.LBB158_20:
	s_or_b64 exec, exec, s[6:7]
	v_add_u32_e32 v4, 0x60, v0
	v_cmp_gt_u32_e64 s[4:5], s14, v4
	s_and_saveexec_b64 s[8:9], s[4:5]
	s_cbranch_execz .LBB158_22
; %bb.21:
	v_bfe_u32 v6, v32, 16, 1
	s_movk_i32 s6, 0x7fff
	v_add3_u32 v6, v32, v6, s6
	v_lshrrev_b32_e32 v6, 16, v6
	v_mov_b32_e32 v7, 0x7fc0
	v_cmp_o_f32_e64 s[6:7], v32, v32
	v_cndmask_b32_e64 v32, v7, v6, s[6:7]
	v_add_u32_e32 v6, v4, v5
	v_mov_b32_e32 v7, 0
	v_lshlrev_b64 v[6:7], 1, v[6:7]
	s_waitcnt lgkmcnt(0)
	v_mov_b32_e32 v5, s13
	v_add_co_u32_e64 v6, s[6:7], s12, v6
	v_addc_co_u32_e64 v7, s[6:7], v5, v7, s[6:7]
	global_store_short v[6:7], v32, off
.LBB158_22:
	s_or_b64 exec, exec, s[8:9]
	v_add3_u32 v5, v1, s15, 8
	v_cmp_gt_u32_e64 s[6:7], s10, v5
	s_and_b64 exec, exec, s[6:7]
	s_cbranch_execz .LBB158_64
; %bb.23:
	v_mul_lo_u32 v5, v5, s14
	s_and_saveexec_b64 s[8:9], vcc
	s_cbranch_execnz .LBB158_65
; %bb.24:
	s_or_b64 exec, exec, s[8:9]
	s_and_saveexec_b64 s[8:9], s[0:1]
	s_cbranch_execnz .LBB158_66
.LBB158_25:
	s_or_b64 exec, exec, s[8:9]
	s_and_saveexec_b64 s[8:9], s[2:3]
	s_cbranch_execnz .LBB158_67
.LBB158_26:
	s_or_b64 exec, exec, s[8:9]
	s_and_saveexec_b64 s[8:9], s[4:5]
	s_cbranch_execz .LBB158_28
.LBB158_27:
	v_bfe_u32 v6, v33, 16, 1
	s_movk_i32 s6, 0x7fff
	v_add3_u32 v6, v33, v6, s6
	v_lshrrev_b32_e32 v6, 16, v6
	v_mov_b32_e32 v7, 0x7fc0
	v_cmp_o_f32_e64 s[6:7], v33, v33
	v_cndmask_b32_e64 v32, v7, v6, s[6:7]
	v_add_u32_e32 v6, v5, v4
	v_mov_b32_e32 v7, 0
	v_lshlrev_b64 v[6:7], 1, v[6:7]
	s_waitcnt lgkmcnt(0)
	v_mov_b32_e32 v5, s13
	v_add_co_u32_e64 v6, s[6:7], s12, v6
	v_addc_co_u32_e64 v7, s[6:7], v5, v7, s[6:7]
	global_store_short v[6:7], v32, off
.LBB158_28:
	s_or_b64 exec, exec, s[8:9]
	v_add3_u32 v5, v1, s15, 16
	v_cmp_gt_u32_e64 s[6:7], s10, v5
	s_and_b64 exec, exec, s[6:7]
	s_cbranch_execz .LBB158_64
; %bb.29:
	v_mul_lo_u32 v5, v5, s14
	s_and_saveexec_b64 s[8:9], vcc
	s_cbranch_execnz .LBB158_68
; %bb.30:
	s_or_b64 exec, exec, s[8:9]
	s_and_saveexec_b64 s[8:9], s[0:1]
	s_cbranch_execnz .LBB158_69
.LBB158_31:
	s_or_b64 exec, exec, s[8:9]
	s_and_saveexec_b64 s[8:9], s[2:3]
	s_cbranch_execnz .LBB158_70
.LBB158_32:
	s_or_b64 exec, exec, s[8:9]
	s_and_saveexec_b64 s[8:9], s[4:5]
	s_cbranch_execz .LBB158_34
.LBB158_33:
	v_bfe_u32 v6, v24, 16, 1
	s_movk_i32 s6, 0x7fff
	v_add3_u32 v6, v24, v6, s6
	v_lshrrev_b32_e32 v6, 16, v6
	v_mov_b32_e32 v7, 0x7fc0
	v_cmp_o_f32_e64 s[6:7], v24, v24
	v_cndmask_b32_e64 v24, v7, v6, s[6:7]
	v_add_u32_e32 v6, v5, v4
	v_mov_b32_e32 v7, 0
	v_lshlrev_b64 v[6:7], 1, v[6:7]
	s_waitcnt lgkmcnt(0)
	v_mov_b32_e32 v5, s13
	v_add_co_u32_e64 v6, s[6:7], s12, v6
	v_addc_co_u32_e64 v7, s[6:7], v5, v7, s[6:7]
	global_store_short v[6:7], v24, off
.LBB158_34:
	s_or_b64 exec, exec, s[8:9]
	v_add3_u32 v5, v1, s15, 24
	v_cmp_gt_u32_e64 s[6:7], s10, v5
	s_and_b64 exec, exec, s[6:7]
	s_cbranch_execz .LBB158_64
; %bb.35:
	v_mul_lo_u32 v5, v5, s14
	s_and_saveexec_b64 s[8:9], vcc
	s_cbranch_execnz .LBB158_71
; %bb.36:
	s_or_b64 exec, exec, s[8:9]
	s_and_saveexec_b64 s[8:9], s[0:1]
	s_cbranch_execnz .LBB158_72
.LBB158_37:
	s_or_b64 exec, exec, s[8:9]
	s_and_saveexec_b64 s[8:9], s[2:3]
	s_cbranch_execnz .LBB158_73
.LBB158_38:
	s_or_b64 exec, exec, s[8:9]
	s_and_saveexec_b64 s[8:9], s[4:5]
	s_cbranch_execz .LBB158_40
.LBB158_39:
	v_bfe_u32 v6, v25, 16, 1
	s_movk_i32 s6, 0x7fff
	v_add3_u32 v6, v25, v6, s6
	v_lshrrev_b32_e32 v6, 16, v6
	v_mov_b32_e32 v7, 0x7fc0
	v_cmp_o_f32_e64 s[6:7], v25, v25
	v_cndmask_b32_e64 v24, v7, v6, s[6:7]
	v_add_u32_e32 v6, v5, v4
	v_mov_b32_e32 v7, 0
	v_lshlrev_b64 v[6:7], 1, v[6:7]
	s_waitcnt lgkmcnt(0)
	v_mov_b32_e32 v5, s13
	v_add_co_u32_e64 v6, s[6:7], s12, v6
	v_addc_co_u32_e64 v7, s[6:7], v5, v7, s[6:7]
	global_store_short v[6:7], v24, off
.LBB158_40:
	s_or_b64 exec, exec, s[8:9]
	v_add3_u32 v5, v1, s15, 32
	v_cmp_gt_u32_e64 s[6:7], s10, v5
	s_and_b64 exec, exec, s[6:7]
	s_cbranch_execz .LBB158_64
; %bb.41:
	v_mul_lo_u32 v5, v5, s14
	s_and_saveexec_b64 s[8:9], vcc
	s_cbranch_execnz .LBB158_74
; %bb.42:
	s_or_b64 exec, exec, s[8:9]
	s_and_saveexec_b64 s[8:9], s[0:1]
	s_cbranch_execnz .LBB158_75
.LBB158_43:
	s_or_b64 exec, exec, s[8:9]
	s_and_saveexec_b64 s[8:9], s[2:3]
	s_cbranch_execnz .LBB158_76
.LBB158_44:
	s_or_b64 exec, exec, s[8:9]
	s_and_saveexec_b64 s[8:9], s[4:5]
	s_cbranch_execz .LBB158_46
.LBB158_45:
	v_bfe_u32 v6, v16, 16, 1
	s_movk_i32 s6, 0x7fff
	v_add3_u32 v6, v16, v6, s6
	v_lshrrev_b32_e32 v6, 16, v6
	v_mov_b32_e32 v7, 0x7fc0
	v_cmp_o_f32_e64 s[6:7], v16, v16
	v_cndmask_b32_e64 v16, v7, v6, s[6:7]
	v_add_u32_e32 v6, v5, v4
	v_mov_b32_e32 v7, 0
	v_lshlrev_b64 v[6:7], 1, v[6:7]
	s_waitcnt lgkmcnt(0)
	v_mov_b32_e32 v5, s13
	v_add_co_u32_e64 v6, s[6:7], s12, v6
	v_addc_co_u32_e64 v7, s[6:7], v5, v7, s[6:7]
	global_store_short v[6:7], v16, off
.LBB158_46:
	s_or_b64 exec, exec, s[8:9]
	v_add3_u32 v5, v1, s15, 40
	v_cmp_gt_u32_e64 s[6:7], s10, v5
	s_and_b64 exec, exec, s[6:7]
	s_cbranch_execz .LBB158_64
; %bb.47:
	v_mul_lo_u32 v5, v5, s14
	s_and_saveexec_b64 s[8:9], vcc
	s_cbranch_execnz .LBB158_77
; %bb.48:
	s_or_b64 exec, exec, s[8:9]
	s_and_saveexec_b64 s[8:9], s[0:1]
	s_cbranch_execnz .LBB158_78
.LBB158_49:
	s_or_b64 exec, exec, s[8:9]
	s_and_saveexec_b64 s[8:9], s[2:3]
	s_cbranch_execnz .LBB158_79
.LBB158_50:
	s_or_b64 exec, exec, s[8:9]
	s_and_saveexec_b64 s[8:9], s[4:5]
	s_cbranch_execz .LBB158_52
.LBB158_51:
	v_bfe_u32 v6, v17, 16, 1
	s_movk_i32 s6, 0x7fff
	v_add3_u32 v6, v17, v6, s6
	v_lshrrev_b32_e32 v6, 16, v6
	v_mov_b32_e32 v7, 0x7fc0
	v_cmp_o_f32_e64 s[6:7], v17, v17
	v_cndmask_b32_e64 v16, v7, v6, s[6:7]
	v_add_u32_e32 v6, v5, v4
	v_mov_b32_e32 v7, 0
	v_lshlrev_b64 v[6:7], 1, v[6:7]
	s_waitcnt lgkmcnt(0)
	v_mov_b32_e32 v5, s13
	v_add_co_u32_e64 v6, s[6:7], s12, v6
	v_addc_co_u32_e64 v7, s[6:7], v5, v7, s[6:7]
	global_store_short v[6:7], v16, off
.LBB158_52:
	s_or_b64 exec, exec, s[8:9]
	v_add3_u32 v5, v1, s15, 48
	v_cmp_gt_u32_e64 s[6:7], s10, v5
	s_and_b64 exec, exec, s[6:7]
	s_cbranch_execz .LBB158_64
; %bb.53:
	v_mul_lo_u32 v5, v5, s14
	s_and_saveexec_b64 s[8:9], vcc
	s_cbranch_execnz .LBB158_80
; %bb.54:
	s_or_b64 exec, exec, s[8:9]
	s_and_saveexec_b64 s[8:9], s[0:1]
	s_cbranch_execnz .LBB158_81
.LBB158_55:
	s_or_b64 exec, exec, s[8:9]
	s_and_saveexec_b64 s[8:9], s[2:3]
	s_cbranch_execnz .LBB158_82
.LBB158_56:
	s_or_b64 exec, exec, s[8:9]
	s_and_saveexec_b64 s[8:9], s[4:5]
	s_cbranch_execz .LBB158_58
.LBB158_57:
	v_bfe_u32 v6, v8, 16, 1
	s_movk_i32 s6, 0x7fff
	v_add3_u32 v6, v8, v6, s6
	v_lshrrev_b32_e32 v6, 16, v6
	v_mov_b32_e32 v7, 0x7fc0
	v_cmp_o_f32_e64 s[6:7], v8, v8
	v_cndmask_b32_e64 v8, v7, v6, s[6:7]
	v_add_u32_e32 v6, v5, v4
	v_mov_b32_e32 v7, 0
	v_lshlrev_b64 v[6:7], 1, v[6:7]
	s_waitcnt lgkmcnt(0)
	v_mov_b32_e32 v5, s13
	v_add_co_u32_e64 v6, s[6:7], s12, v6
	v_addc_co_u32_e64 v7, s[6:7], v5, v7, s[6:7]
	global_store_short v[6:7], v8, off
.LBB158_58:
	s_or_b64 exec, exec, s[8:9]
	v_add3_u32 v1, v1, s15, 56
	v_cmp_gt_u32_e64 s[6:7], s10, v1
	s_and_b64 exec, exec, s[6:7]
	s_cbranch_execz .LBB158_64
; %bb.59:
	v_mul_lo_u32 v1, v1, s14
	s_and_saveexec_b64 s[6:7], vcc
	s_cbranch_execnz .LBB158_83
; %bb.60:
	s_or_b64 exec, exec, s[6:7]
	s_and_saveexec_b64 s[6:7], s[0:1]
	s_cbranch_execnz .LBB158_84
.LBB158_61:
	s_or_b64 exec, exec, s[6:7]
	s_and_saveexec_b64 s[0:1], s[2:3]
	s_cbranch_execnz .LBB158_85
.LBB158_62:
	s_or_b64 exec, exec, s[0:1]
	s_and_b64 exec, exec, s[4:5]
	s_cbranch_execz .LBB158_64
.LBB158_63:
	v_bfe_u32 v0, v9, 16, 1
	s_movk_i32 s0, 0x7fff
	v_add3_u32 v0, v9, v0, s0
	v_lshrrev_b32_e32 v0, 16, v0
	v_mov_b32_e32 v2, 0x7fc0
	v_cmp_o_f32_e32 vcc, v9, v9
	v_cndmask_b32_e32 v2, v2, v0, vcc
	v_add_u32_e32 v0, v1, v4
	v_mov_b32_e32 v1, 0
	v_lshlrev_b64 v[0:1], 1, v[0:1]
	s_waitcnt lgkmcnt(0)
	v_mov_b32_e32 v3, s13
	v_add_co_u32_e32 v0, vcc, s12, v0
	v_addc_co_u32_e32 v1, vcc, v3, v1, vcc
	global_store_short v[0:1], v2, off
.LBB158_64:
	s_endpgm
.LBB158_65:
	v_bfe_u32 v6, v69, 16, 1
	s_movk_i32 s6, 0x7fff
	v_add3_u32 v6, v69, v6, s6
	v_lshrrev_b32_e32 v6, 16, v6
	v_mov_b32_e32 v7, 0x7fc0
	v_cmp_o_f32_e64 s[6:7], v69, v69
	v_cndmask_b32_e64 v32, v7, v6, s[6:7]
	v_add_u32_e32 v6, v5, v0
	v_mov_b32_e32 v7, 0
	v_lshlrev_b64 v[6:7], 1, v[6:7]
	s_waitcnt lgkmcnt(0)
	v_mov_b32_e32 v34, s13
	v_add_co_u32_e64 v6, s[6:7], s12, v6
	v_addc_co_u32_e64 v7, s[6:7], v34, v7, s[6:7]
	global_store_short v[6:7], v32, off
	s_or_b64 exec, exec, s[8:9]
	s_and_saveexec_b64 s[8:9], s[0:1]
	s_cbranch_execz .LBB158_25
.LBB158_66:
	v_bfe_u32 v6, v51, 16, 1
	s_movk_i32 s6, 0x7fff
	v_add3_u32 v6, v51, v6, s6
	v_lshrrev_b32_e32 v6, 16, v6
	v_mov_b32_e32 v7, 0x7fc0
	v_cmp_o_f32_e64 s[6:7], v51, v51
	v_cndmask_b32_e64 v32, v7, v6, s[6:7]
	v_add_u32_e32 v6, v5, v2
	v_mov_b32_e32 v7, 0
	v_lshlrev_b64 v[6:7], 1, v[6:7]
	s_waitcnt lgkmcnt(0)
	v_mov_b32_e32 v34, s13
	v_add_co_u32_e64 v6, s[6:7], s12, v6
	v_addc_co_u32_e64 v7, s[6:7], v34, v7, s[6:7]
	global_store_short v[6:7], v32, off
	s_or_b64 exec, exec, s[8:9]
	s_and_saveexec_b64 s[8:9], s[2:3]
	s_cbranch_execz .LBB158_26
.LBB158_67:
	v_bfe_u32 v6, v35, 16, 1
	s_movk_i32 s6, 0x7fff
	v_add3_u32 v6, v35, v6, s6
	v_lshrrev_b32_e32 v6, 16, v6
	v_mov_b32_e32 v7, 0x7fc0
	v_cmp_o_f32_e64 s[6:7], v35, v35
	v_cndmask_b32_e64 v32, v7, v6, s[6:7]
	v_add_u32_e32 v6, v5, v3
	v_mov_b32_e32 v7, 0
	v_lshlrev_b64 v[6:7], 1, v[6:7]
	s_waitcnt lgkmcnt(0)
	v_mov_b32_e32 v34, s13
	v_add_co_u32_e64 v6, s[6:7], s12, v6
	v_addc_co_u32_e64 v7, s[6:7], v34, v7, s[6:7]
	global_store_short v[6:7], v32, off
	s_or_b64 exec, exec, s[8:9]
	s_and_saveexec_b64 s[8:9], s[4:5]
	s_cbranch_execnz .LBB158_27
	s_branch .LBB158_28
.LBB158_68:
	v_bfe_u32 v6, v30, 16, 1
	s_movk_i32 s6, 0x7fff
	v_add3_u32 v6, v30, v6, s6
	v_lshrrev_b32_e32 v6, 16, v6
	v_mov_b32_e32 v7, 0x7fc0
	v_cmp_o_f32_e64 s[6:7], v30, v30
	v_cndmask_b32_e64 v30, v7, v6, s[6:7]
	v_add_u32_e32 v6, v5, v0
	v_mov_b32_e32 v7, 0
	v_lshlrev_b64 v[6:7], 1, v[6:7]
	s_waitcnt lgkmcnt(0)
	v_mov_b32_e32 v32, s13
	v_add_co_u32_e64 v6, s[6:7], s12, v6
	v_addc_co_u32_e64 v7, s[6:7], v32, v7, s[6:7]
	global_store_short v[6:7], v30, off
	s_or_b64 exec, exec, s[8:9]
	s_and_saveexec_b64 s[8:9], s[0:1]
	s_cbranch_execz .LBB158_31
.LBB158_69:
	v_bfe_u32 v6, v28, 16, 1
	s_movk_i32 s6, 0x7fff
	v_add3_u32 v6, v28, v6, s6
	v_lshrrev_b32_e32 v6, 16, v6
	v_mov_b32_e32 v7, 0x7fc0
	v_cmp_o_f32_e64 s[6:7], v28, v28
	v_cndmask_b32_e64 v28, v7, v6, s[6:7]
	v_add_u32_e32 v6, v5, v2
	v_mov_b32_e32 v7, 0
	v_lshlrev_b64 v[6:7], 1, v[6:7]
	s_waitcnt lgkmcnt(0)
	v_mov_b32_e32 v30, s13
	v_add_co_u32_e64 v6, s[6:7], s12, v6
	v_addc_co_u32_e64 v7, s[6:7], v30, v7, s[6:7]
	global_store_short v[6:7], v28, off
	s_or_b64 exec, exec, s[8:9]
	s_and_saveexec_b64 s[8:9], s[2:3]
	s_cbranch_execz .LBB158_32
.LBB158_70:
	v_bfe_u32 v6, v26, 16, 1
	s_movk_i32 s6, 0x7fff
	v_add3_u32 v6, v26, v6, s6
	v_lshrrev_b32_e32 v6, 16, v6
	v_mov_b32_e32 v7, 0x7fc0
	v_cmp_o_f32_e64 s[6:7], v26, v26
	v_cndmask_b32_e64 v26, v7, v6, s[6:7]
	v_add_u32_e32 v6, v5, v3
	v_mov_b32_e32 v7, 0
	v_lshlrev_b64 v[6:7], 1, v[6:7]
	s_waitcnt lgkmcnt(0)
	v_mov_b32_e32 v28, s13
	v_add_co_u32_e64 v6, s[6:7], s12, v6
	v_addc_co_u32_e64 v7, s[6:7], v28, v7, s[6:7]
	global_store_short v[6:7], v26, off
	s_or_b64 exec, exec, s[8:9]
	s_and_saveexec_b64 s[8:9], s[4:5]
	s_cbranch_execnz .LBB158_33
	s_branch .LBB158_34
.LBB158_71:
	v_bfe_u32 v6, v31, 16, 1
	s_movk_i32 s6, 0x7fff
	v_add3_u32 v6, v31, v6, s6
	v_lshrrev_b32_e32 v6, 16, v6
	v_mov_b32_e32 v7, 0x7fc0
	v_cmp_o_f32_e64 s[6:7], v31, v31
	v_cndmask_b32_e64 v24, v7, v6, s[6:7]
	v_add_u32_e32 v6, v5, v0
	v_mov_b32_e32 v7, 0
	v_lshlrev_b64 v[6:7], 1, v[6:7]
	s_waitcnt lgkmcnt(0)
	v_mov_b32_e32 v26, s13
	v_add_co_u32_e64 v6, s[6:7], s12, v6
	v_addc_co_u32_e64 v7, s[6:7], v26, v7, s[6:7]
	global_store_short v[6:7], v24, off
	s_or_b64 exec, exec, s[8:9]
	s_and_saveexec_b64 s[8:9], s[0:1]
	s_cbranch_execz .LBB158_37
.LBB158_72:
	v_bfe_u32 v6, v29, 16, 1
	s_movk_i32 s6, 0x7fff
	v_add3_u32 v6, v29, v6, s6
	v_lshrrev_b32_e32 v6, 16, v6
	v_mov_b32_e32 v7, 0x7fc0
	v_cmp_o_f32_e64 s[6:7], v29, v29
	v_cndmask_b32_e64 v24, v7, v6, s[6:7]
	v_add_u32_e32 v6, v5, v2
	v_mov_b32_e32 v7, 0
	v_lshlrev_b64 v[6:7], 1, v[6:7]
	s_waitcnt lgkmcnt(0)
	v_mov_b32_e32 v26, s13
	v_add_co_u32_e64 v6, s[6:7], s12, v6
	v_addc_co_u32_e64 v7, s[6:7], v26, v7, s[6:7]
	global_store_short v[6:7], v24, off
	s_or_b64 exec, exec, s[8:9]
	s_and_saveexec_b64 s[8:9], s[2:3]
	s_cbranch_execz .LBB158_38
.LBB158_73:
	v_bfe_u32 v6, v27, 16, 1
	s_movk_i32 s6, 0x7fff
	v_add3_u32 v6, v27, v6, s6
	v_lshrrev_b32_e32 v6, 16, v6
	v_mov_b32_e32 v7, 0x7fc0
	v_cmp_o_f32_e64 s[6:7], v27, v27
	v_cndmask_b32_e64 v24, v7, v6, s[6:7]
	v_add_u32_e32 v6, v5, v3
	v_mov_b32_e32 v7, 0
	v_lshlrev_b64 v[6:7], 1, v[6:7]
	s_waitcnt lgkmcnt(0)
	v_mov_b32_e32 v26, s13
	v_add_co_u32_e64 v6, s[6:7], s12, v6
	v_addc_co_u32_e64 v7, s[6:7], v26, v7, s[6:7]
	global_store_short v[6:7], v24, off
	s_or_b64 exec, exec, s[8:9]
	s_and_saveexec_b64 s[8:9], s[4:5]
	s_cbranch_execnz .LBB158_39
	s_branch .LBB158_40
.LBB158_74:
	v_bfe_u32 v6, v22, 16, 1
	s_movk_i32 s6, 0x7fff
	v_add3_u32 v6, v22, v6, s6
	v_lshrrev_b32_e32 v6, 16, v6
	v_mov_b32_e32 v7, 0x7fc0
	v_cmp_o_f32_e64 s[6:7], v22, v22
	v_cndmask_b32_e64 v22, v7, v6, s[6:7]
	v_add_u32_e32 v6, v5, v0
	v_mov_b32_e32 v7, 0
	v_lshlrev_b64 v[6:7], 1, v[6:7]
	s_waitcnt lgkmcnt(0)
	v_mov_b32_e32 v24, s13
	v_add_co_u32_e64 v6, s[6:7], s12, v6
	v_addc_co_u32_e64 v7, s[6:7], v24, v7, s[6:7]
	global_store_short v[6:7], v22, off
	s_or_b64 exec, exec, s[8:9]
	s_and_saveexec_b64 s[8:9], s[0:1]
	s_cbranch_execz .LBB158_43
.LBB158_75:
	v_bfe_u32 v6, v20, 16, 1
	s_movk_i32 s6, 0x7fff
	v_add3_u32 v6, v20, v6, s6
	v_lshrrev_b32_e32 v6, 16, v6
	v_mov_b32_e32 v7, 0x7fc0
	v_cmp_o_f32_e64 s[6:7], v20, v20
	v_cndmask_b32_e64 v20, v7, v6, s[6:7]
	v_add_u32_e32 v6, v5, v2
	v_mov_b32_e32 v7, 0
	v_lshlrev_b64 v[6:7], 1, v[6:7]
	s_waitcnt lgkmcnt(0)
	v_mov_b32_e32 v22, s13
	v_add_co_u32_e64 v6, s[6:7], s12, v6
	v_addc_co_u32_e64 v7, s[6:7], v22, v7, s[6:7]
	global_store_short v[6:7], v20, off
	s_or_b64 exec, exec, s[8:9]
	s_and_saveexec_b64 s[8:9], s[2:3]
	s_cbranch_execz .LBB158_44
.LBB158_76:
	v_bfe_u32 v6, v18, 16, 1
	s_movk_i32 s6, 0x7fff
	v_add3_u32 v6, v18, v6, s6
	v_lshrrev_b32_e32 v6, 16, v6
	v_mov_b32_e32 v7, 0x7fc0
	v_cmp_o_f32_e64 s[6:7], v18, v18
	v_cndmask_b32_e64 v18, v7, v6, s[6:7]
	v_add_u32_e32 v6, v5, v3
	v_mov_b32_e32 v7, 0
	v_lshlrev_b64 v[6:7], 1, v[6:7]
	s_waitcnt lgkmcnt(0)
	v_mov_b32_e32 v20, s13
	v_add_co_u32_e64 v6, s[6:7], s12, v6
	v_addc_co_u32_e64 v7, s[6:7], v20, v7, s[6:7]
	global_store_short v[6:7], v18, off
	s_or_b64 exec, exec, s[8:9]
	s_and_saveexec_b64 s[8:9], s[4:5]
	s_cbranch_execnz .LBB158_45
	s_branch .LBB158_46
.LBB158_77:
	v_bfe_u32 v6, v23, 16, 1
	s_movk_i32 s6, 0x7fff
	v_add3_u32 v6, v23, v6, s6
	v_lshrrev_b32_e32 v6, 16, v6
	v_mov_b32_e32 v7, 0x7fc0
	v_cmp_o_f32_e64 s[6:7], v23, v23
	v_cndmask_b32_e64 v16, v7, v6, s[6:7]
	v_add_u32_e32 v6, v5, v0
	v_mov_b32_e32 v7, 0
	v_lshlrev_b64 v[6:7], 1, v[6:7]
	s_waitcnt lgkmcnt(0)
	v_mov_b32_e32 v18, s13
	v_add_co_u32_e64 v6, s[6:7], s12, v6
	v_addc_co_u32_e64 v7, s[6:7], v18, v7, s[6:7]
	global_store_short v[6:7], v16, off
	s_or_b64 exec, exec, s[8:9]
	s_and_saveexec_b64 s[8:9], s[0:1]
	s_cbranch_execz .LBB158_49
.LBB158_78:
	v_bfe_u32 v6, v21, 16, 1
	s_movk_i32 s6, 0x7fff
	v_add3_u32 v6, v21, v6, s6
	v_lshrrev_b32_e32 v6, 16, v6
	v_mov_b32_e32 v7, 0x7fc0
	v_cmp_o_f32_e64 s[6:7], v21, v21
	v_cndmask_b32_e64 v16, v7, v6, s[6:7]
	v_add_u32_e32 v6, v5, v2
	v_mov_b32_e32 v7, 0
	v_lshlrev_b64 v[6:7], 1, v[6:7]
	s_waitcnt lgkmcnt(0)
	v_mov_b32_e32 v18, s13
	v_add_co_u32_e64 v6, s[6:7], s12, v6
	v_addc_co_u32_e64 v7, s[6:7], v18, v7, s[6:7]
	global_store_short v[6:7], v16, off
	s_or_b64 exec, exec, s[8:9]
	s_and_saveexec_b64 s[8:9], s[2:3]
	s_cbranch_execz .LBB158_50
.LBB158_79:
	v_bfe_u32 v6, v19, 16, 1
	s_movk_i32 s6, 0x7fff
	v_add3_u32 v6, v19, v6, s6
	v_lshrrev_b32_e32 v6, 16, v6
	v_mov_b32_e32 v7, 0x7fc0
	v_cmp_o_f32_e64 s[6:7], v19, v19
	v_cndmask_b32_e64 v16, v7, v6, s[6:7]
	v_add_u32_e32 v6, v5, v3
	v_mov_b32_e32 v7, 0
	v_lshlrev_b64 v[6:7], 1, v[6:7]
	s_waitcnt lgkmcnt(0)
	v_mov_b32_e32 v18, s13
	v_add_co_u32_e64 v6, s[6:7], s12, v6
	v_addc_co_u32_e64 v7, s[6:7], v18, v7, s[6:7]
	global_store_short v[6:7], v16, off
	s_or_b64 exec, exec, s[8:9]
	s_and_saveexec_b64 s[8:9], s[4:5]
	s_cbranch_execnz .LBB158_51
	s_branch .LBB158_52
.LBB158_80:
	v_bfe_u32 v6, v14, 16, 1
	s_movk_i32 s6, 0x7fff
	v_add3_u32 v6, v14, v6, s6
	v_lshrrev_b32_e32 v6, 16, v6
	v_mov_b32_e32 v7, 0x7fc0
	v_cmp_o_f32_e64 s[6:7], v14, v14
	v_cndmask_b32_e64 v14, v7, v6, s[6:7]
	v_add_u32_e32 v6, v5, v0
	v_mov_b32_e32 v7, 0
	v_lshlrev_b64 v[6:7], 1, v[6:7]
	s_waitcnt lgkmcnt(0)
	v_mov_b32_e32 v16, s13
	v_add_co_u32_e64 v6, s[6:7], s12, v6
	v_addc_co_u32_e64 v7, s[6:7], v16, v7, s[6:7]
	global_store_short v[6:7], v14, off
	s_or_b64 exec, exec, s[8:9]
	s_and_saveexec_b64 s[8:9], s[0:1]
	s_cbranch_execz .LBB158_55
.LBB158_81:
	v_bfe_u32 v6, v12, 16, 1
	s_movk_i32 s6, 0x7fff
	v_add3_u32 v6, v12, v6, s6
	v_lshrrev_b32_e32 v6, 16, v6
	v_mov_b32_e32 v7, 0x7fc0
	v_cmp_o_f32_e64 s[6:7], v12, v12
	v_cndmask_b32_e64 v12, v7, v6, s[6:7]
	v_add_u32_e32 v6, v5, v2
	v_mov_b32_e32 v7, 0
	v_lshlrev_b64 v[6:7], 1, v[6:7]
	s_waitcnt lgkmcnt(0)
	v_mov_b32_e32 v14, s13
	v_add_co_u32_e64 v6, s[6:7], s12, v6
	v_addc_co_u32_e64 v7, s[6:7], v14, v7, s[6:7]
	global_store_short v[6:7], v12, off
	s_or_b64 exec, exec, s[8:9]
	s_and_saveexec_b64 s[8:9], s[2:3]
	s_cbranch_execz .LBB158_56
.LBB158_82:
	v_bfe_u32 v6, v10, 16, 1
	s_movk_i32 s6, 0x7fff
	v_add3_u32 v6, v10, v6, s6
	v_lshrrev_b32_e32 v6, 16, v6
	v_mov_b32_e32 v7, 0x7fc0
	v_cmp_o_f32_e64 s[6:7], v10, v10
	v_cndmask_b32_e64 v10, v7, v6, s[6:7]
	v_add_u32_e32 v6, v5, v3
	v_mov_b32_e32 v7, 0
	v_lshlrev_b64 v[6:7], 1, v[6:7]
	s_waitcnt lgkmcnt(0)
	v_mov_b32_e32 v12, s13
	v_add_co_u32_e64 v6, s[6:7], s12, v6
	v_addc_co_u32_e64 v7, s[6:7], v12, v7, s[6:7]
	global_store_short v[6:7], v10, off
	s_or_b64 exec, exec, s[8:9]
	s_and_saveexec_b64 s[8:9], s[4:5]
	s_cbranch_execnz .LBB158_57
	s_branch .LBB158_58
.LBB158_83:
	v_bfe_u32 v5, v15, 16, 1
	s_movk_i32 s8, 0x7fff
	v_add3_u32 v5, v15, v5, s8
	v_lshrrev_b32_e32 v5, 16, v5
	v_mov_b32_e32 v6, 0x7fc0
	v_cmp_o_f32_e32 vcc, v15, v15
	v_cndmask_b32_e32 v5, v6, v5, vcc
	v_add_u32_e32 v6, v1, v0
	v_mov_b32_e32 v7, 0
	v_lshlrev_b64 v[6:7], 1, v[6:7]
	s_waitcnt lgkmcnt(0)
	v_mov_b32_e32 v0, s13
	v_add_co_u32_e32 v6, vcc, s12, v6
	v_addc_co_u32_e32 v7, vcc, v0, v7, vcc
	global_store_short v[6:7], v5, off
	s_or_b64 exec, exec, s[6:7]
	s_and_saveexec_b64 s[6:7], s[0:1]
	s_cbranch_execz .LBB158_61
.LBB158_84:
	v_bfe_u32 v0, v13, 16, 1
	s_movk_i32 s0, 0x7fff
	v_add3_u32 v0, v13, v0, s0
	v_add_u32_e32 v6, v1, v2
	v_mov_b32_e32 v7, 0
	v_lshrrev_b32_e32 v0, 16, v0
	v_mov_b32_e32 v5, 0x7fc0
	v_cmp_o_f32_e32 vcc, v13, v13
	v_lshlrev_b64 v[6:7], 1, v[6:7]
	v_cndmask_b32_e32 v0, v5, v0, vcc
	s_waitcnt lgkmcnt(0)
	v_mov_b32_e32 v2, s13
	v_add_co_u32_e32 v6, vcc, s12, v6
	v_addc_co_u32_e32 v7, vcc, v2, v7, vcc
	global_store_short v[6:7], v0, off
	s_or_b64 exec, exec, s[6:7]
	s_and_saveexec_b64 s[0:1], s[2:3]
	s_cbranch_execz .LBB158_62
.LBB158_85:
	v_bfe_u32 v0, v11, 16, 1
	s_movk_i32 s2, 0x7fff
	v_add3_u32 v0, v11, v0, s2
	v_lshrrev_b32_e32 v0, 16, v0
	v_mov_b32_e32 v2, 0x7fc0
	v_cmp_o_f32_e32 vcc, v11, v11
	v_cndmask_b32_e32 v0, v2, v0, vcc
	v_add_u32_e32 v2, v1, v3
	v_mov_b32_e32 v3, 0
	v_lshlrev_b64 v[2:3], 1, v[2:3]
	s_waitcnt lgkmcnt(0)
	v_mov_b32_e32 v5, s13
	v_add_co_u32_e32 v2, vcc, s12, v2
	v_addc_co_u32_e32 v3, vcc, v5, v3, vcc
	global_store_short v[2:3], v0, off
	s_or_b64 exec, exec, s[0:1]
	s_and_b64 exec, exec, s[4:5]
	s_cbranch_execnz .LBB158_63
	s_branch .LBB158_64
	.section	.rodata,"a",@progbits
	.p2align	6, 0x0
	.amdhsa_kernel _ZL12mul_mat_q4_0IN3c108BFloat16ELb1EEvPKvS3_PT_iiiii
		.amdhsa_group_segment_fixed_size 30336
		.amdhsa_private_segment_fixed_size 0
		.amdhsa_kernarg_size 44
		.amdhsa_user_sgpr_count 6
		.amdhsa_user_sgpr_private_segment_buffer 1
		.amdhsa_user_sgpr_dispatch_ptr 0
		.amdhsa_user_sgpr_queue_ptr 0
		.amdhsa_user_sgpr_kernarg_segment_ptr 1
		.amdhsa_user_sgpr_dispatch_id 0
		.amdhsa_user_sgpr_flat_scratch_init 0
		.amdhsa_user_sgpr_kernarg_preload_length 0
		.amdhsa_user_sgpr_kernarg_preload_offset 0
		.amdhsa_user_sgpr_private_segment_size 0
		.amdhsa_uses_dynamic_stack 0
		.amdhsa_system_sgpr_private_segment_wavefront_offset 0
		.amdhsa_system_sgpr_workgroup_id_x 1
		.amdhsa_system_sgpr_workgroup_id_y 1
		.amdhsa_system_sgpr_workgroup_id_z 0
		.amdhsa_system_sgpr_workgroup_info 0
		.amdhsa_system_vgpr_workitem_id 1
		.amdhsa_next_free_vgpr 175
		.amdhsa_next_free_sgpr 20
		.amdhsa_accum_offset 176
		.amdhsa_reserve_vcc 1
		.amdhsa_reserve_flat_scratch 0
		.amdhsa_float_round_mode_32 0
		.amdhsa_float_round_mode_16_64 0
		.amdhsa_float_denorm_mode_32 3
		.amdhsa_float_denorm_mode_16_64 3
		.amdhsa_dx10_clamp 1
		.amdhsa_ieee_mode 1
		.amdhsa_fp16_overflow 0
		.amdhsa_tg_split 0
		.amdhsa_exception_fp_ieee_invalid_op 0
		.amdhsa_exception_fp_denorm_src 0
		.amdhsa_exception_fp_ieee_div_zero 0
		.amdhsa_exception_fp_ieee_overflow 0
		.amdhsa_exception_fp_ieee_underflow 0
		.amdhsa_exception_fp_ieee_inexact 0
		.amdhsa_exception_int_div_zero 0
	.end_amdhsa_kernel
	.section	.text._ZL12mul_mat_q4_0IN3c108BFloat16ELb1EEvPKvS3_PT_iiiii,"axG",@progbits,_ZL12mul_mat_q4_0IN3c108BFloat16ELb1EEvPKvS3_PT_iiiii,comdat
.Lfunc_end158:
	.size	_ZL12mul_mat_q4_0IN3c108BFloat16ELb1EEvPKvS3_PT_iiiii, .Lfunc_end158-_ZL12mul_mat_q4_0IN3c108BFloat16ELb1EEvPKvS3_PT_iiiii
                                        ; -- End function
	.section	.AMDGPU.csdata,"",@progbits
; Kernel info:
; codeLenInByte = 11888
; NumSgprs: 24
; NumVgprs: 175
; NumAgprs: 0
; TotalNumVgprs: 175
; ScratchSize: 0
; MemoryBound: 0
; FloatMode: 240
; IeeeMode: 1
; LDSByteSize: 30336 bytes/workgroup (compile time only)
; SGPRBlocks: 2
; VGPRBlocks: 21
; NumSGPRsForWavesPerEU: 24
; NumVGPRsForWavesPerEU: 175
; AccumOffset: 176
; Occupancy: 2
; WaveLimiterHint : 0
; COMPUTE_PGM_RSRC2:SCRATCH_EN: 0
; COMPUTE_PGM_RSRC2:USER_SGPR: 6
; COMPUTE_PGM_RSRC2:TRAP_HANDLER: 0
; COMPUTE_PGM_RSRC2:TGID_X_EN: 1
; COMPUTE_PGM_RSRC2:TGID_Y_EN: 1
; COMPUTE_PGM_RSRC2:TGID_Z_EN: 0
; COMPUTE_PGM_RSRC2:TIDIG_COMP_CNT: 1
; COMPUTE_PGM_RSRC3_GFX90A:ACCUM_OFFSET: 43
; COMPUTE_PGM_RSRC3_GFX90A:TG_SPLIT: 0
	.section	.text._ZL12mul_mat_q4_1IN3c108BFloat16ELb0EEvPKvS3_PT_iiiii,"axG",@progbits,_ZL12mul_mat_q4_1IN3c108BFloat16ELb0EEvPKvS3_PT_iiiii,comdat
	.globl	_ZL12mul_mat_q4_1IN3c108BFloat16ELb0EEvPKvS3_PT_iiiii ; -- Begin function _ZL12mul_mat_q4_1IN3c108BFloat16ELb0EEvPKvS3_PT_iiiii
	.p2align	8
	.type	_ZL12mul_mat_q4_1IN3c108BFloat16ELb0EEvPKvS3_PT_iiiii,@function
_ZL12mul_mat_q4_1IN3c108BFloat16ELb0EEvPKvS3_PT_iiiii: ; @_ZL12mul_mat_q4_1IN3c108BFloat16ELb0EEvPKvS3_PT_iiiii
; %bb.0:
	s_load_dword s14, s[4:5], 0x18
	s_load_dwordx4 s[8:11], s[4:5], 0x20
	s_waitcnt lgkmcnt(0)
	s_lshl_b32 s11, s7, 6
	v_bfe_u32 v62, v0, 10, 10
	s_cmp_gt_i32 s14, 31
	s_cbranch_scc1 .LBB159_2
; %bb.1:
	v_bfe_u32 v1, v0, 10, 10
	v_and_b32_e32 v60, 0x3ff, v0
	v_add_u32_e32 v66, s11, v1
	s_mov_b64 s[0:1], 0
	s_mov_b32 s2, 0
	s_branch .LBB159_3
.LBB159_2:
	s_mov_b64 s[0:1], -1
                                        ; implicit-def: $sgpr2
                                        ; implicit-def: $vgpr1
                                        ; implicit-def: $vgpr60
                                        ; implicit-def: $vgpr66
.LBB159_3:
	s_load_dwordx2 s[12:13], s[4:5], 0x10
	s_lshl_b32 s6, s6, 7
	s_andn2_b64 vcc, exec, s[0:1]
	v_mov_b32_e32 v9, s2
	v_mov_b32_e32 v17, s2
	;; [unrolled: 1-line block ×32, first 2 shown]
	s_cbranch_vccnz .LBB159_13
; %bb.4:
	s_load_dwordx4 s[0:3], s[4:5], 0x0
	s_ashr_i32 s4, s14, 31
	s_lshr_b32 s4, s4, 27
	s_ashr_i32 s5, s9, 31
	s_add_i32 s7, s14, s4
	s_lshr_b32 s5, s5, 27
	s_ashr_i32 s4, s7, 5
	s_add_i32 s5, s9, s5
	s_ashr_i32 s9, s5, 5
	s_mul_i32 s5, s4, s6
	s_mul_hi_i32 s14, s5, 20
	s_mul_i32 s5, s5, 20
	s_waitcnt lgkmcnt(0)
	s_add_u32 s0, s0, s5
	s_addc_u32 s1, s1, s14
	v_mul_lo_u32 v12, s4, v62
	s_lshl_b32 s14, s4, 3
	v_add_u32_e32 v14, s14, v12
	v_add_u32_e32 v16, s14, v14
	;; [unrolled: 1-line block ×11, first 2 shown]
	v_and_b32_e32 v60, 0x3ff, v0
	v_add_u32_e32 v36, s14, v34
	v_add_u32_e32 v38, s14, v36
	v_lshrrev_b32_e32 v87, 3, v60
	v_add_u32_e32 v40, s14, v38
	v_and_b32_e32 v44, 7, v60
	v_lshl_add_u32 v0, v62, 2, v87
	v_add_u32_e32 v42, s14, v40
	v_and_b32_e32 v1, 0x7fc, v0
	v_lshlrev_b32_e32 v3, 2, v44
	s_movk_i32 s14, 0x6200
	v_add3_u32 v4, v1, v3, s14
	v_add_u32_e32 v1, 32, v0
	v_lshlrev_b32_e32 v2, 2, v60
	s_movk_i32 s16, 0x84
	v_mul_lo_u32 v46, s4, v0
	v_lshlrev_b32_e32 v5, 5, v0
	v_and_b32_e32 v6, 0xffc, v1
	v_lshlrev_b32_e32 v7, 5, v1
	v_add_u32_e32 v1, 64, v0
	v_add_u32_e32 v0, 0x60, v0
	v_lshrrev_b32_e32 v8, 2, v60
	v_and_b32_e32 v10, 12, v2
	v_mad_u32_u24 v69, v62, s16, v2
	s_andn2_b32 s7, s7, 31
	v_and_b32_e32 v9, 0xffc, v1
	v_lshlrev_b32_e32 v11, 5, v1
	v_and_b32_e32 v1, 0xffc, v0
	v_and_b32_e32 v2, 28, v2
	v_add_u32_e32 v48, s7, v46
	v_add3_u32 v6, v6, v3, s14
	v_add3_u32 v9, v9, v3, s14
	;; [unrolled: 1-line block ×3, first 2 shown]
	v_mov_b32_e32 v3, s3
	v_add_co_u32_e32 v54, vcc, s2, v2
	v_lshl_add_u32 v2, v62, 3, v8
	v_add_u32_e32 v50, s7, v48
	v_addc_co_u32_e32 v55, vcc, 0, v3, vcc
	v_and_b32_e32 v3, 63, v2
	v_add_u32_e32 v52, s7, v50
	s_add_i32 s7, s8, -1
	v_or_b32_e32 v19, s11, v3
	v_and_b32_e32 v2, 3, v60
	v_min_i32_e32 v19, s7, v19
	v_mad_u64_u32 v[56:57], s[14:15], v19, s9, v[2:3]
	v_lshlrev_b32_e32 v2, 2, v2
	v_add_u32_e32 v66, s11, v62
	v_lshl_or_b32 v2, v3, 4, v2
	v_lshlrev_b32_e32 v15, 5, v0
	v_cvt_f64_i32_e32 v[0:1], s7
	v_add_u32_e32 v88, 0x7280, v2
	v_cvt_f64_u32_e32 v[2:3], v66
	v_min_f64 v[2:3], v[2:3], v[0:1]
	v_cvt_i32_f64_e32 v2, v[2:3]
	v_mul_lo_u32 v89, s9, v2
	v_add_u32_e32 v2, 8, v66
	v_cvt_f64_u32_e32 v[2:3], v2
	v_min_f64 v[2:3], v[2:3], v[0:1]
	v_cvt_i32_f64_e32 v2, v[2:3]
	v_mul_lo_u32 v91, s9, v2
	;; [unrolled: 5-line block ×7, first 2 shown]
	v_add_u32_e32 v2, 56, v66
	v_cvt_f64_u32_e32 v[2:3], v2
	v_min_f64 v[0:1], v[2:3], v[0:1]
	v_and_b32_e32 v17, 31, v60
	v_lshlrev_b32_e32 v19, 7, v62
	v_cvt_i32_f64_e32 v0, v[0:1]
	v_lshl_or_b32 v17, v17, 2, v19
	v_mul_lo_u32 v103, s9, v0
	v_add_u32_e32 v0, 32, v60
	v_add_u32_e32 v1, 64, v60
	v_add_u32_e32 v2, 0x60, v60
	v_add_u32_e32 v90, 0x4200, v17
	v_add_u32_e32 v92, 0x4600, v17
	v_add_u32_e32 v94, 0x4a00, v17
	v_add_u32_e32 v96, 0x4e00, v17
	v_add_u32_e32 v98, 0x5200, v17
	v_add_u32_e32 v100, 0x5600, v17
	v_add_u32_e32 v102, 0x5a00, v17
	v_add_u32_e32 v104, 0x5e00, v17
	v_lshlrev_b32_e32 v3, 5, v60
	v_lshrrev_b32_e32 v106, 3, v0
	v_and_b32_e32 v2, 0x1fc, v2
	v_and_b32_e32 v1, 0x1fc, v1
	;; [unrolled: 1-line block ×4, first 2 shown]
	v_add_u32_e32 v2, v3, v2
	v_add_u32_e32 v1, v3, v1
	;; [unrolled: 1-line block ×4, first 2 shown]
	v_mov_b32_e32 v17, 0x7280
	s_mov_b32 s5, 0
	v_mov_b32_e32 v63, 0
	v_add_u32_e32 v70, 0x420, v69
	v_add_u32_e32 v71, 0x840, v69
	;; [unrolled: 1-line block ×15, first 2 shown]
	v_mul_u32_u24_e32 v105, 0x84, v60
	v_add_u32_e32 v107, 0x6e00, v2
	v_add_u32_e32 v108, 0x6a00, v1
	;; [unrolled: 1-line block ×5, first 2 shown]
	v_lshl_add_u32 v112, v62, 4, v17
	v_add_u32_e32 v113, 0x6e10, v2
	v_add_u32_e32 v114, 0x6a10, v1
	;; [unrolled: 1-line block ×4, first 2 shown]
	v_mad_u32_u24 v117, v60, s16, 64
	v_add_u32_e32 v118, v4, v5
	v_add_u32_e32 v119, v6, v7
	v_add_u32_e32 v120, v9, v11
	v_add_u32_e32 v121, v13, v15
	v_mov_b32_e32 v67, 0
	v_mov_b32_e32 v57, 0
	;; [unrolled: 1-line block ×31, first 2 shown]
	s_branch .LBB159_6
.LBB159_5:                              ;   in Loop: Header=BB159_6 Depth=1
	s_add_i32 s5, s5, 8
	s_cmp_ge_i32 s5, s4
	s_cbranch_scc1 .LBB159_12
.LBB159_6:                              ; =>This Loop Header: Depth=1
                                        ;     Child Loop BB159_7 Depth 2
                                        ;     Child Loop BB159_10 Depth 2
	s_mul_i32 s9, s5, 20
	s_mul_hi_u32 s7, s5, 20
	s_add_u32 s14, s0, s9
	s_addc_u32 s15, s1, s7
	v_mad_u64_u32 v[0:1], s[16:17], v8, 20, s[14:15]
	v_add_co_u32_e32 v0, vcc, v0, v10
	v_addc_co_u32_e32 v1, vcc, 0, v1, vcc
	v_add_co_u32_e32 v0, vcc, 4, v0
	v_addc_co_u32_e32 v1, vcc, 0, v1, vcc
	v_mad_u64_u32 v[2:3], s[16:17], v12, 20, v[0:1]
	v_mad_u64_u32 v[4:5], s[16:17], v14, 20, v[0:1]
	;; [unrolled: 1-line block ×8, first 2 shown]
	global_load_dword v130, v[2:3], off
	global_load_dword v131, v[4:5], off
	;; [unrolled: 1-line block ×6, first 2 shown]
                                        ; kill: killed $vgpr124_vgpr125
                                        ; kill: killed $vgpr122_vgpr123
	global_load_dword v136, v[126:127], off
	global_load_dword v137, v[128:129], off
	v_mad_u64_u32 v[2:3], s[16:17], v28, 20, v[0:1]
	v_mad_u64_u32 v[4:5], s[16:17], v30, 20, v[0:1]
	;; [unrolled: 1-line block ×8, first 2 shown]
	global_load_dword v138, v[2:3], off
	global_load_dword v139, v[4:5], off
	;; [unrolled: 1-line block ×4, first 2 shown]
	s_nop 0
	global_load_dword v123, v[122:123], off
	s_nop 0
	global_load_dword v142, v[124:125], off
	global_load_dword v143, v[126:127], off
	global_load_dword v144, v[0:1], off
	v_mad_u64_u32 v[0:1], s[14:15], v44, 20, s[14:15]
	v_mad_u64_u32 v[2:3], s[14:15], v46, 20, v[0:1]
	;; [unrolled: 1-line block ×5, first 2 shown]
	v_add_u32_e32 v128, s5, v87
	global_load_dword v145, v[2:3], off
	global_load_dword v146, v[4:5], off
	global_load_dword v147, v[6:7], off
	global_load_dword v148, v[0:1], off
	v_add_u32_e32 v0, v128, v89
	v_add_u32_e32 v2, v128, v91
	;; [unrolled: 1-line block ×5, first 2 shown]
	v_mad_i64_i32 v[0:1], s[14:15], v0, 36, v[54:55]
	v_mad_i64_i32 v[2:3], s[14:15], v2, 36, v[54:55]
	;; [unrolled: 1-line block ×5, first 2 shown]
	v_add_u32_e32 v124, v128, v99
	v_add_u32_e32 v126, v128, v101
	;; [unrolled: 1-line block ×3, first 2 shown]
	v_mad_i64_i32 v[124:125], s[14:15], v124, 36, v[54:55]
	v_mad_i64_i32 v[126:127], s[14:15], v126, 36, v[54:55]
	;; [unrolled: 1-line block ×3, first 2 shown]
	global_load_dword v149, v[0:1], off offset:4
	s_nop 0
	global_load_dword v2, v[2:3], off offset:4
	s_nop 0
	;; [unrolled: 2-line block ×3, first 2 shown]
	global_load_dword v4, v[6:7], off offset:4
	global_load_dword v5, v[58:59], off offset:4
	s_nop 0
	global_load_dword v6, v[124:125], off offset:4
	global_load_dword v7, v[126:127], off offset:4
	;; [unrolled: 1-line block ×3, first 2 shown]
	v_add_u32_e32 v122, s5, v56
	v_mad_u64_u32 v[0:1], s[14:15], v122, 36, s[2:3]
	global_load_dword v0, v[0:1], off
	s_mov_b32 s7, -4
	v_mov_b32_e32 v124, v111
	v_mov_b32_e32 v125, v105
	;; [unrolled: 1-line block ×4, first 2 shown]
	s_waitcnt vmcnt(28)
	ds_write_b32 v69, v130
	s_waitcnt vmcnt(27)
	ds_write_b32 v70, v131
	s_waitcnt vmcnt(26)
	ds_write_b32 v71, v132
	s_waitcnt vmcnt(25)
	ds_write_b32 v72, v133
	s_waitcnt vmcnt(24)
	ds_write_b32 v74, v134
	s_waitcnt vmcnt(23)
	ds_write_b32 v75, v135
	s_waitcnt vmcnt(22)
	ds_write_b32 v76, v136
	s_waitcnt vmcnt(21)
	ds_write_b32 v77, v137
	s_waitcnt vmcnt(20)
	ds_write_b32 v78, v138
	s_waitcnt vmcnt(19)
	ds_write_b32 v79, v139
	s_waitcnt vmcnt(18)
	ds_write_b32 v80, v140
	s_waitcnt vmcnt(17)
	ds_write_b32 v81, v141
	s_waitcnt vmcnt(16)
	ds_write_b32 v82, v123
	s_waitcnt vmcnt(15)
	ds_write_b32 v83, v142
	s_waitcnt vmcnt(14)
	ds_write_b32 v85, v143
	s_waitcnt vmcnt(13)
	ds_write_b32 v86, v144
	s_waitcnt vmcnt(12)
	ds_write_b32 v118, v145
	s_waitcnt vmcnt(11)
	ds_write_b32 v119, v146
	s_waitcnt vmcnt(10)
	ds_write_b32 v120, v147
	s_waitcnt vmcnt(9)
	ds_write_b32 v121, v148
	s_waitcnt vmcnt(8)
	ds_write_b32 v90, v149
	s_waitcnt vmcnt(7)
	ds_write_b32 v92, v2
	s_waitcnt vmcnt(6)
	ds_write_b32 v94, v3
	s_waitcnt vmcnt(5)
	ds_write_b32 v96, v4
	s_waitcnt vmcnt(4)
	ds_write_b32 v98, v5
	s_waitcnt vmcnt(3)
	ds_write_b32 v100, v6
	s_waitcnt vmcnt(2)
	ds_write_b32 v102, v7
	s_waitcnt vmcnt(1)
	ds_write_b32 v104, v58
	s_waitcnt vmcnt(0)
	ds_write_b32 v88, v0
	v_mov_b32_e32 v123, v112
	v_mov_b32_e32 v128, v108
	v_mov_b32_e32 v129, v107
	s_waitcnt lgkmcnt(0)
	s_barrier
.LBB159_7:                              ;   Parent Loop BB159_6 Depth=1
                                        ; =>  This Inner Loop Header: Depth=2
	ds_read_b128 v[0:3], v124
	ds_read_b128 v[4:7], v124 offset:16
	ds_read2_b32 v[58:59], v123 offset1:32
	ds_read_b32 v130, v126
	ds_read2_b32 v[134:135], v125 offset1:1
	ds_read2_b32 v[138:139], v125 offset0:2 offset1:3
	v_mov_b32_e32 v140, 0
	v_add_u32_e32 v144, 0x1088, v125
	v_mov_b32_e32 v146, 0
	s_waitcnt lgkmcnt(1)
	v_and_b32_e32 v131, 0xf0f0f0f, v134
	v_lshrrev_b32_e32 v132, 4, v134
	v_and_b32_e32 v132, 0xf0f0f0f, v132
	v_dot4c_i32_i8_e32 v140, v131, v0
	v_dot4c_i32_i8_e32 v140, v132, v4
	v_and_b32_e32 v133, 0xf0f0f0f, v135
	v_lshrrev_b32_e32 v134, 4, v135
	v_and_b32_e32 v134, 0xf0f0f0f, v134
	v_dot4c_i32_i8_e32 v140, v133, v1
	v_dot4c_i32_i8_e32 v140, v134, v5
	s_waitcnt lgkmcnt(0)
	v_and_b32_e32 v135, 0xf0f0f0f, v138
	v_lshrrev_b32_e32 v136, 4, v138
	v_and_b32_e32 v136, 0xf0f0f0f, v136
	v_dot4c_i32_i8_e32 v140, v135, v2
	v_dot4c_i32_i8_e32 v140, v136, v6
	v_and_b32_e32 v137, 0xf0f0f0f, v139
	v_lshrrev_b32_e32 v138, 4, v139
	v_and_b32_e32 v138, 0xf0f0f0f, v138
	v_dot4c_i32_i8_e32 v140, v137, v3
	v_dot4c_i32_i8_e32 v140, v138, v7
	v_pk_mul_f16 v139, v58, v130
	v_mov_b32_e32 v158, 0
	v_mov_b32_e32 v162, 0
	v_cvt_f32_i32_e32 v140, v140
	s_add_i32 s7, s7, 4
	v_add_u32_e32 v126, 4, v126
	s_cmp_lt_u32 s7, 12
	v_fma_mix_f32 v139, v139, v140, v139 op_sel:[0,0,1] op_sel_hi:[1,0,1]
	v_add_f32_e32 v63, v63, v139
	v_add_u32_e32 v140, 0x1080, v125
	ds_read_b32 v139, v127
	ds_read2_b32 v[142:143], v140 offset1:1
	ds_read2_b32 v[148:149], v144 offset1:1
	v_add_u32_e32 v127, 4, v127
	s_waitcnt lgkmcnt(1)
	v_and_b32_e32 v140, 0xf0f0f0f, v142
	v_lshrrev_b32_e32 v141, 4, v142
	v_and_b32_e32 v141, 0xf0f0f0f, v141
	v_dot4c_i32_i8_e32 v146, v140, v0
	v_dot4c_i32_i8_e32 v146, v141, v4
	v_and_b32_e32 v142, 0xf0f0f0f, v143
	v_lshrrev_b32_e32 v143, 4, v143
	v_and_b32_e32 v143, 0xf0f0f0f, v143
	v_dot4c_i32_i8_e32 v146, v142, v1
	v_dot4c_i32_i8_e32 v146, v143, v5
	s_waitcnt lgkmcnt(0)
	v_and_b32_e32 v144, 0xf0f0f0f, v148
	v_lshrrev_b32_e32 v145, 4, v148
	v_and_b32_e32 v145, 0xf0f0f0f, v145
	v_dot4c_i32_i8_e32 v146, v144, v2
	v_dot4c_i32_i8_e32 v146, v145, v6
	v_and_b32_e32 v147, 0xf0f0f0f, v149
	v_lshrrev_b32_e32 v148, 4, v149
	v_and_b32_e32 v148, 0xf0f0f0f, v148
	v_dot4c_i32_i8_e32 v146, v147, v3
	v_dot4c_i32_i8_e32 v146, v148, v7
	v_pk_mul_f16 v149, v58, v139
	s_nop 1
	v_cvt_f32_i32_e32 v146, v146
	v_fma_mix_f32 v146, v149, v146, v149 op_sel:[0,0,1] op_sel_hi:[1,0,1]
	v_add_f32_e32 v84, v84, v146
	v_add_u32_e32 v149, 0x2100, v125
	ds_read_b32 v146, v128
	ds_read2_b32 v[152:153], v149 offset1:1
	v_add_u32_e32 v128, 4, v128
	s_waitcnt lgkmcnt(0)
	v_and_b32_e32 v149, 0xf0f0f0f, v152
	v_lshrrev_b32_e32 v150, 4, v152
	v_and_b32_e32 v151, 0xf0f0f0f, v153
	v_lshrrev_b32_e32 v152, 4, v153
	v_add_u32_e32 v153, 0x2108, v125
	ds_read2_b32 v[154:155], v153 offset1:1
	v_and_b32_e32 v150, 0xf0f0f0f, v150
	v_dot4c_i32_i8_e32 v158, v149, v0
	v_dot4c_i32_i8_e32 v158, v150, v4
	v_and_b32_e32 v152, 0xf0f0f0f, v152
	v_dot4c_i32_i8_e32 v158, v151, v1
	v_dot4c_i32_i8_e32 v158, v152, v5
	s_waitcnt lgkmcnt(0)
	v_and_b32_e32 v153, 0xf0f0f0f, v154
	v_lshrrev_b32_e32 v154, 4, v154
	v_and_b32_e32 v154, 0xf0f0f0f, v154
	v_dot4c_i32_i8_e32 v158, v153, v2
	v_dot4c_i32_i8_e32 v158, v154, v6
	v_and_b32_e32 v156, 0xf0f0f0f, v155
	v_lshrrev_b32_e32 v155, 4, v155
	v_and_b32_e32 v157, 0xf0f0f0f, v155
	v_dot4c_i32_i8_e32 v158, v156, v3
	v_dot4c_i32_i8_e32 v158, v157, v7
	v_pk_mul_f16 v155, v58, v146
	s_nop 1
	v_cvt_f32_i32_e32 v158, v158
	v_fma_mix_f32 v155, v155, v158, v155 op_sel:[0,0,1] op_sel_hi:[1,0,1]
	v_add_f32_e32 v73, v73, v155
	v_add_u32_e32 v158, 0x3180, v125
	ds_read_b32 v155, v129
	ds_read2_b32 v[160:161], v158 offset1:1
	v_add_u32_e32 v129, 4, v129
	s_waitcnt lgkmcnt(0)
	v_and_b32_e32 v158, 0xf0f0f0f, v160
	v_lshrrev_b32_e32 v159, 4, v160
	v_and_b32_e32 v159, 0xf0f0f0f, v159
	v_dot4c_i32_i8_e32 v162, v158, v0
	v_lshrrev_b32_e32 v0, 4, v161
	v_dot4c_i32_i8_e32 v162, v159, v4
	v_and_b32_e32 v4, 0xf0f0f0f, v161
	v_and_b32_e32 v160, 0xf0f0f0f, v0
	v_add_u32_e32 v0, 0x3188, v125
	v_dot4c_i32_i8_e32 v162, v4, v1
	ds_read2_b32 v[0:1], v0 offset1:1
	v_dot4c_i32_i8_e32 v162, v160, v5
	v_add_u32_e32 v125, 16, v125
	s_waitcnt lgkmcnt(0)
	v_and_b32_e32 v5, 0xf0f0f0f, v0
	v_lshrrev_b32_e32 v0, 4, v0
	v_and_b32_e32 v161, 0xf0f0f0f, v0
	v_dot4c_i32_i8_e32 v162, v5, v2
	v_dot4c_i32_i8_e32 v162, v161, v6
	v_and_b32_e32 v2, 0xf0f0f0f, v1
	v_lshrrev_b32_e32 v0, 4, v1
	v_and_b32_e32 v6, 0xf0f0f0f, v0
	v_dot4c_i32_i8_e32 v162, v2, v3
	v_dot4c_i32_i8_e32 v162, v6, v7
	v_pk_mul_f16 v0, v58, v155
	v_mov_b32_e32 v3, 0
	s_nop 0
	v_cvt_f32_i32_e32 v1, v162
	ds_read_b128 v[162:165], v124 offset:1024
	ds_read_b128 v[166:169], v124 offset:1040
	v_fma_mix_f32 v0, v0, v1, v0 op_sel:[0,0,1] op_sel_hi:[1,0,1]
	v_add_f32_e32 v68, v68, v0
	v_mov_b32_e32 v0, 0
	s_waitcnt lgkmcnt(1)
	v_dot4c_i32_i8_e32 v0, v131, v162
	s_waitcnt lgkmcnt(0)
	v_dot4c_i32_i8_e32 v0, v132, v166
	v_dot4c_i32_i8_e32 v0, v133, v163
	v_dot4c_i32_i8_e32 v0, v134, v167
	v_dot4c_i32_i8_e32 v0, v135, v164
	v_dot4c_i32_i8_e32 v0, v136, v168
	v_dot4c_i32_i8_e32 v0, v137, v165
	v_dot4c_i32_i8_e32 v0, v138, v169
	v_pk_mul_f16 v1, v130, v59
	s_nop 1
	v_cvt_f32_i32_e32 v0, v0
	v_fma_mix_f32 v0, v0, v1, v1 op_sel:[0,0,1] op_sel_hi:[0,1,1]
	v_add_f32_e32 v67, v67, v0
	v_mov_b32_e32 v0, 0
	v_dot4c_i32_i8_e32 v0, v140, v162
	v_dot4c_i32_i8_e32 v0, v141, v166
	v_dot4c_i32_i8_e32 v0, v142, v163
	v_dot4c_i32_i8_e32 v0, v143, v167
	v_dot4c_i32_i8_e32 v0, v144, v164
	v_dot4c_i32_i8_e32 v0, v145, v168
	v_dot4c_i32_i8_e32 v0, v147, v165
	v_dot4c_i32_i8_e32 v0, v148, v169
	v_pk_mul_f16 v1, v139, v59
	s_nop 1
	v_cvt_f32_i32_e32 v0, v0
	v_fma_mix_f32 v0, v0, v1, v1 op_sel:[0,0,1] op_sel_hi:[0,1,1]
	v_add_f32_e32 v65, v65, v0
	v_mov_b32_e32 v0, 0
	v_dot4c_i32_i8_e32 v0, v149, v162
	;; [unrolled: 14-line block ×3, first 2 shown]
	v_dot4c_i32_i8_e32 v0, v159, v166
	v_dot4c_i32_i8_e32 v0, v4, v163
	;; [unrolled: 1-line block ×7, first 2 shown]
	v_pk_mul_f16 v1, v155, v59
	s_nop 1
	v_cvt_f32_i32_e32 v0, v0
	v_fma_mix_f32 v0, v0, v1, v1 op_sel:[0,0,1] op_sel_hi:[0,1,1]
	v_add_f32_e32 v61, v61, v0
	ds_read_b128 v[162:165], v124 offset:2048
	ds_read_b128 v[166:169], v124 offset:2064
	ds_read2_b32 v[0:1], v123 offset0:64 offset1:96
	s_waitcnt lgkmcnt(2)
	v_dot4c_i32_i8_e32 v3, v131, v162
	s_waitcnt lgkmcnt(1)
	v_dot4c_i32_i8_e32 v3, v132, v166
	v_dot4c_i32_i8_e32 v3, v133, v163
	;; [unrolled: 1-line block ×7, first 2 shown]
	s_waitcnt lgkmcnt(0)
	v_pk_mul_f16 v7, v130, v0
	s_nop 0
	v_cvt_f32_i32_e32 v3, v3
	v_fma_mix_f32 v3, v3, v7, v7 op_sel:[0,0,1] op_sel_hi:[0,1,1]
	v_add_f32_e32 v57, v57, v3
	v_mov_b32_e32 v3, 0
	v_dot4c_i32_i8_e32 v3, v140, v162
	v_dot4c_i32_i8_e32 v3, v141, v166
	;; [unrolled: 1-line block ×8, first 2 shown]
	v_pk_mul_f16 v7, v139, v0
	s_nop 1
	v_cvt_f32_i32_e32 v3, v3
	v_fma_mix_f32 v3, v3, v7, v7 op_sel:[0,0,1] op_sel_hi:[0,1,1]
	v_add_f32_e32 v53, v53, v3
	v_mov_b32_e32 v3, 0
	v_dot4c_i32_i8_e32 v3, v149, v162
	v_dot4c_i32_i8_e32 v3, v150, v166
	;; [unrolled: 1-line block ×8, first 2 shown]
	v_pk_mul_f16 v7, v146, v0
	v_pk_mul_f16 v0, v155, v0
	s_nop 0
	v_cvt_f32_i32_e32 v3, v3
	v_fma_mix_f32 v3, v3, v7, v7 op_sel:[0,0,1] op_sel_hi:[0,1,1]
	v_add_f32_e32 v51, v51, v3
	v_mov_b32_e32 v3, 0
	v_dot4c_i32_i8_e32 v3, v158, v162
	v_dot4c_i32_i8_e32 v3, v159, v166
	;; [unrolled: 1-line block ×8, first 2 shown]
	ds_read_b128 v[162:165], v124 offset:3072
	ds_read_b128 v[166:169], v124 offset:3088
	s_nop 0
	v_cvt_f32_i32_e32 v3, v3
	v_fma_mix_f32 v0, v3, v0, v0 op_sel:[0,0,1] op_sel_hi:[0,1,1]
	v_add_f32_e32 v49, v49, v0
	v_mov_b32_e32 v0, 0
	s_waitcnt lgkmcnt(1)
	v_dot4c_i32_i8_e32 v0, v131, v162
	s_waitcnt lgkmcnt(0)
	v_dot4c_i32_i8_e32 v0, v132, v166
	v_dot4c_i32_i8_e32 v0, v133, v163
	;; [unrolled: 1-line block ×7, first 2 shown]
	v_pk_mul_f16 v3, v130, v1
	s_nop 1
	v_cvt_f32_i32_e32 v0, v0
	v_fma_mix_f32 v0, v0, v3, v3 op_sel:[0,0,1] op_sel_hi:[0,1,1]
	v_add_f32_e32 v47, v47, v0
	v_mov_b32_e32 v0, 0
	v_dot4c_i32_i8_e32 v0, v140, v162
	v_dot4c_i32_i8_e32 v0, v141, v166
	v_dot4c_i32_i8_e32 v0, v142, v163
	v_dot4c_i32_i8_e32 v0, v143, v167
	v_dot4c_i32_i8_e32 v0, v144, v164
	v_dot4c_i32_i8_e32 v0, v145, v168
	v_dot4c_i32_i8_e32 v0, v147, v165
	v_dot4c_i32_i8_e32 v0, v148, v169
	v_pk_mul_f16 v3, v139, v1
	s_nop 1
	v_cvt_f32_i32_e32 v0, v0
	v_fma_mix_f32 v0, v0, v3, v3 op_sel:[0,0,1] op_sel_hi:[0,1,1]
	v_add_f32_e32 v45, v45, v0
	v_mov_b32_e32 v0, 0
	v_dot4c_i32_i8_e32 v0, v149, v162
	v_dot4c_i32_i8_e32 v0, v150, v166
	;; [unrolled: 1-line block ×8, first 2 shown]
	v_pk_mul_f16 v3, v146, v1
	v_pk_mul_f16 v1, v155, v1
	s_nop 0
	v_cvt_f32_i32_e32 v0, v0
	v_fma_mix_f32 v0, v0, v3, v3 op_sel:[0,0,1] op_sel_hi:[0,1,1]
	v_add_f32_e32 v43, v43, v0
	v_mov_b32_e32 v0, 0
	v_dot4c_i32_i8_e32 v0, v158, v162
	v_dot4c_i32_i8_e32 v0, v159, v166
	;; [unrolled: 1-line block ×8, first 2 shown]
	v_mov_b32_e32 v3, 0
	s_nop 1
	v_cvt_f32_i32_e32 v0, v0
	v_fma_mix_f32 v0, v0, v1, v1 op_sel:[0,0,1] op_sel_hi:[0,1,1]
	v_add_f32_e32 v41, v41, v0
	ds_read_b128 v[162:165], v124 offset:4096
	ds_read_b128 v[166:169], v124 offset:4112
	ds_read2_b32 v[0:1], v123 offset0:128 offset1:160
	s_waitcnt lgkmcnt(2)
	v_dot4c_i32_i8_e32 v3, v131, v162
	s_waitcnt lgkmcnt(1)
	v_dot4c_i32_i8_e32 v3, v132, v166
	v_dot4c_i32_i8_e32 v3, v133, v163
	v_dot4c_i32_i8_e32 v3, v134, v167
	v_dot4c_i32_i8_e32 v3, v135, v164
	v_dot4c_i32_i8_e32 v3, v136, v168
	v_dot4c_i32_i8_e32 v3, v137, v165
	v_dot4c_i32_i8_e32 v3, v138, v169
	s_waitcnt lgkmcnt(0)
	v_pk_mul_f16 v7, v130, v0
	s_nop 0
	v_cvt_f32_i32_e32 v3, v3
	v_fma_mix_f32 v3, v3, v7, v7 op_sel:[0,0,1] op_sel_hi:[0,1,1]
	v_add_f32_e32 v39, v39, v3
	v_mov_b32_e32 v3, 0
	v_dot4c_i32_i8_e32 v3, v140, v162
	v_dot4c_i32_i8_e32 v3, v141, v166
	;; [unrolled: 1-line block ×8, first 2 shown]
	v_pk_mul_f16 v7, v139, v0
	s_nop 1
	v_cvt_f32_i32_e32 v3, v3
	v_fma_mix_f32 v3, v3, v7, v7 op_sel:[0,0,1] op_sel_hi:[0,1,1]
	v_add_f32_e32 v37, v37, v3
	v_mov_b32_e32 v3, 0
	v_dot4c_i32_i8_e32 v3, v149, v162
	v_dot4c_i32_i8_e32 v3, v150, v166
	;; [unrolled: 1-line block ×8, first 2 shown]
	v_pk_mul_f16 v7, v146, v0
	v_pk_mul_f16 v0, v155, v0
	s_nop 0
	v_cvt_f32_i32_e32 v3, v3
	v_fma_mix_f32 v3, v3, v7, v7 op_sel:[0,0,1] op_sel_hi:[0,1,1]
	v_add_f32_e32 v35, v35, v3
	v_mov_b32_e32 v3, 0
	v_dot4c_i32_i8_e32 v3, v158, v162
	v_dot4c_i32_i8_e32 v3, v159, v166
	;; [unrolled: 1-line block ×8, first 2 shown]
	ds_read_b128 v[162:165], v124 offset:5120
	ds_read_b128 v[166:169], v124 offset:5136
	s_nop 0
	v_cvt_f32_i32_e32 v3, v3
	v_fma_mix_f32 v0, v3, v0, v0 op_sel:[0,0,1] op_sel_hi:[0,1,1]
	v_add_f32_e32 v33, v33, v0
	v_mov_b32_e32 v0, 0
	s_waitcnt lgkmcnt(1)
	v_dot4c_i32_i8_e32 v0, v131, v162
	s_waitcnt lgkmcnt(0)
	v_dot4c_i32_i8_e32 v0, v132, v166
	v_dot4c_i32_i8_e32 v0, v133, v163
	;; [unrolled: 1-line block ×7, first 2 shown]
	v_pk_mul_f16 v3, v130, v1
	s_nop 1
	v_cvt_f32_i32_e32 v0, v0
	v_fma_mix_f32 v0, v0, v3, v3 op_sel:[0,0,1] op_sel_hi:[0,1,1]
	v_add_f32_e32 v31, v31, v0
	v_mov_b32_e32 v0, 0
	v_dot4c_i32_i8_e32 v0, v140, v162
	v_dot4c_i32_i8_e32 v0, v141, v166
	;; [unrolled: 1-line block ×8, first 2 shown]
	v_pk_mul_f16 v3, v139, v1
	s_nop 1
	v_cvt_f32_i32_e32 v0, v0
	v_fma_mix_f32 v0, v0, v3, v3 op_sel:[0,0,1] op_sel_hi:[0,1,1]
	v_add_f32_e32 v29, v29, v0
	v_mov_b32_e32 v0, 0
	v_dot4c_i32_i8_e32 v0, v149, v162
	v_dot4c_i32_i8_e32 v0, v150, v166
	;; [unrolled: 1-line block ×8, first 2 shown]
	v_pk_mul_f16 v3, v146, v1
	v_pk_mul_f16 v1, v155, v1
	s_nop 0
	v_cvt_f32_i32_e32 v0, v0
	v_fma_mix_f32 v0, v0, v3, v3 op_sel:[0,0,1] op_sel_hi:[0,1,1]
	v_add_f32_e32 v27, v27, v0
	v_mov_b32_e32 v0, 0
	v_dot4c_i32_i8_e32 v0, v158, v162
	v_dot4c_i32_i8_e32 v0, v159, v166
	;; [unrolled: 1-line block ×8, first 2 shown]
	v_mov_b32_e32 v3, 0
	s_nop 1
	v_cvt_f32_i32_e32 v0, v0
	v_fma_mix_f32 v0, v0, v1, v1 op_sel:[0,0,1] op_sel_hi:[0,1,1]
	v_add_f32_e32 v25, v25, v0
	ds_read_b128 v[162:165], v124 offset:6144
	ds_read_b128 v[166:169], v124 offset:6160
	ds_read2_b32 v[0:1], v123 offset0:192 offset1:224
	v_add_u32_e32 v123, 4, v123
	s_waitcnt lgkmcnt(2)
	v_dot4c_i32_i8_e32 v3, v131, v162
	s_waitcnt lgkmcnt(1)
	v_dot4c_i32_i8_e32 v3, v132, v166
	v_dot4c_i32_i8_e32 v3, v133, v163
	;; [unrolled: 1-line block ×7, first 2 shown]
	s_waitcnt lgkmcnt(0)
	v_pk_mul_f16 v7, v130, v0
	s_nop 0
	v_cvt_f32_i32_e32 v3, v3
	v_fma_mix_f32 v3, v3, v7, v7 op_sel:[0,0,1] op_sel_hi:[0,1,1]
	v_add_f32_e32 v23, v23, v3
	v_mov_b32_e32 v3, 0
	v_dot4c_i32_i8_e32 v3, v140, v162
	v_dot4c_i32_i8_e32 v3, v141, v166
	;; [unrolled: 1-line block ×8, first 2 shown]
	v_pk_mul_f16 v7, v139, v0
	s_nop 1
	v_cvt_f32_i32_e32 v3, v3
	v_fma_mix_f32 v3, v3, v7, v7 op_sel:[0,0,1] op_sel_hi:[0,1,1]
	v_add_f32_e32 v21, v21, v3
	v_mov_b32_e32 v3, 0
	v_dot4c_i32_i8_e32 v3, v149, v162
	v_dot4c_i32_i8_e32 v3, v150, v166
	;; [unrolled: 1-line block ×8, first 2 shown]
	v_pk_mul_f16 v7, v146, v0
	v_pk_mul_f16 v0, v155, v0
	s_nop 0
	v_cvt_f32_i32_e32 v3, v3
	v_fma_mix_f32 v3, v3, v7, v7 op_sel:[0,0,1] op_sel_hi:[0,1,1]
	v_add_f32_e32 v19, v19, v3
	v_mov_b32_e32 v3, 0
	v_dot4c_i32_i8_e32 v3, v158, v162
	v_dot4c_i32_i8_e32 v3, v159, v166
	v_dot4c_i32_i8_e32 v3, v4, v163
	v_dot4c_i32_i8_e32 v3, v160, v167
	v_dot4c_i32_i8_e32 v3, v5, v164
	v_dot4c_i32_i8_e32 v3, v161, v168
	v_dot4c_i32_i8_e32 v3, v2, v165
	v_dot4c_i32_i8_e32 v3, v6, v169
	ds_read_b128 v[162:165], v124 offset:7168
	ds_read_b128 v[166:169], v124 offset:7184
	v_add_u32_e32 v124, 32, v124
	v_cvt_f32_i32_e32 v3, v3
	v_fma_mix_f32 v0, v3, v0, v0 op_sel:[0,0,1] op_sel_hi:[0,1,1]
	v_add_f32_e32 v17, v17, v0
	v_mov_b32_e32 v0, 0
	s_waitcnt lgkmcnt(1)
	v_dot4c_i32_i8_e32 v0, v131, v162
	s_waitcnt lgkmcnt(0)
	v_dot4c_i32_i8_e32 v0, v132, v166
	v_dot4c_i32_i8_e32 v0, v133, v163
	;; [unrolled: 1-line block ×7, first 2 shown]
	v_pk_mul_f16 v3, v130, v1
	s_nop 1
	v_cvt_f32_i32_e32 v0, v0
	v_fma_mix_f32 v0, v0, v3, v3 op_sel:[0,0,1] op_sel_hi:[0,1,1]
	v_add_f32_e32 v15, v15, v0
	v_mov_b32_e32 v0, 0
	v_dot4c_i32_i8_e32 v0, v140, v162
	v_dot4c_i32_i8_e32 v0, v141, v166
	;; [unrolled: 1-line block ×8, first 2 shown]
	v_pk_mul_f16 v3, v139, v1
	s_nop 1
	v_cvt_f32_i32_e32 v0, v0
	v_fma_mix_f32 v0, v0, v3, v3 op_sel:[0,0,1] op_sel_hi:[0,1,1]
	v_add_f32_e32 v13, v13, v0
	v_mov_b32_e32 v0, 0
	v_dot4c_i32_i8_e32 v0, v149, v162
	v_dot4c_i32_i8_e32 v0, v150, v166
	;; [unrolled: 1-line block ×8, first 2 shown]
	v_pk_mul_f16 v3, v146, v1
	v_pk_mul_f16 v1, v155, v1
	s_nop 0
	v_cvt_f32_i32_e32 v0, v0
	v_fma_mix_f32 v0, v0, v3, v3 op_sel:[0,0,1] op_sel_hi:[0,1,1]
	v_add_f32_e32 v11, v11, v0
	v_mov_b32_e32 v0, 0
	v_dot4c_i32_i8_e32 v0, v158, v162
	v_dot4c_i32_i8_e32 v0, v159, v166
	;; [unrolled: 1-line block ×8, first 2 shown]
	s_nop 2
	v_cvt_f32_i32_e32 v0, v0
	v_fma_mix_f32 v0, v0, v1, v1 op_sel:[0,0,1] op_sel_hi:[0,1,1]
	v_add_f32_e32 v9, v9, v0
	s_cbranch_scc1 .LBB159_7
; %bb.8:                                ;   in Loop: Header=BB159_6 Depth=1
	s_or_b32 s7, s5, 4
	s_cmp_ge_i32 s7, s4
	s_barrier
	s_cbranch_scc1 .LBB159_5
; %bb.9:                                ;   in Loop: Header=BB159_6 Depth=1
	v_add_u32_e32 v123, s5, v106
	v_add_u32_e32 v0, v123, v89
	;; [unrolled: 1-line block ×6, first 2 shown]
	v_mad_i64_i32 v[0:1], s[14:15], v0, 36, v[54:55]
	v_mad_i64_i32 v[2:3], s[14:15], v2, 36, v[54:55]
	;; [unrolled: 1-line block ×5, first 2 shown]
	v_add_u32_e32 v124, v123, v99
	v_add_u32_e32 v126, v123, v101
	;; [unrolled: 1-line block ×3, first 2 shown]
	v_mad_i64_i32 v[124:125], s[14:15], v124, 36, v[54:55]
	v_mad_i64_i32 v[126:127], s[14:15], v126, 36, v[54:55]
	;; [unrolled: 1-line block ×3, first 2 shown]
	global_load_dword v130, v[0:1], off offset:4
	s_nop 0
	global_load_dword v2, v[2:3], off offset:4
	s_nop 0
	;; [unrolled: 2-line block ×3, first 2 shown]
	global_load_dword v4, v[6:7], off offset:4
	global_load_dword v5, v[58:59], off offset:4
                                        ; kill: killed $vgpr6_vgpr7
                                        ; kill: killed $vgpr58_vgpr59
	s_nop 0
	global_load_dword v6, v[124:125], off offset:4
	global_load_dword v7, v[126:127], off offset:4
	;; [unrolled: 1-line block ×3, first 2 shown]
	v_add_u32_e32 v0, 4, v122
	v_mad_u64_u32 v[0:1], s[14:15], v0, 36, s[2:3]
	global_load_dword v0, v[0:1], off
	s_mov_b32 s7, 12
	v_mov_b32_e32 v122, v112
	v_mov_b32_e32 v123, v111
	;; [unrolled: 1-line block ×7, first 2 shown]
	s_waitcnt vmcnt(8)
	ds_write_b32 v90, v130
	s_waitcnt vmcnt(7)
	ds_write_b32 v92, v2
	;; [unrolled: 2-line block ×9, first 2 shown]
	s_waitcnt lgkmcnt(0)
	s_barrier
.LBB159_10:                             ;   Parent Loop BB159_6 Depth=1
                                        ; =>  This Inner Loop Header: Depth=2
	ds_read_b128 v[0:3], v123
	ds_read_b128 v[4:7], v123 offset:16
	ds_read2_b32 v[58:59], v122 offset1:32
	ds_read_b32 v129, v125
	ds_read2_b32 v[132:133], v124 offset1:1
	ds_read2_b32 v[136:137], v124 offset0:2 offset1:3
	v_mov_b32_e32 v138, 0
	v_mov_b32_e32 v148, 0
	s_waitcnt lgkmcnt(2)
	v_pk_mul_f16 v139, v58, v129
	s_waitcnt lgkmcnt(1)
	v_and_b32_e32 v130, 0xf0f0f0f, v132
	v_lshrrev_b32_e32 v131, 4, v132
	v_and_b32_e32 v131, 0xf0f0f0f, v131
	v_dot4c_i32_i8_e32 v138, v130, v0
	v_dot4c_i32_i8_e32 v138, v131, v4
	v_and_b32_e32 v132, 0xf0f0f0f, v133
	v_lshrrev_b32_e32 v133, 4, v133
	v_and_b32_e32 v133, 0xf0f0f0f, v133
	v_dot4c_i32_i8_e32 v138, v132, v1
	v_dot4c_i32_i8_e32 v138, v133, v5
	s_waitcnt lgkmcnt(0)
	v_and_b32_e32 v134, 0xf0f0f0f, v136
	v_lshrrev_b32_e32 v135, 4, v136
	v_and_b32_e32 v135, 0xf0f0f0f, v135
	v_dot4c_i32_i8_e32 v138, v134, v2
	v_dot4c_i32_i8_e32 v138, v135, v6
	v_and_b32_e32 v136, 0xf0f0f0f, v137
	v_lshrrev_b32_e32 v137, 4, v137
	v_and_b32_e32 v137, 0xf0f0f0f, v137
	v_dot4c_i32_i8_e32 v138, v136, v3
	v_dot4c_i32_i8_e32 v138, v137, v7
	v_add_u32_e32 v152, 0x2108, v124
	v_mov_b32_e32 v154, 0
	v_mov_b32_e32 v161, 0
	v_cvt_f32_i32_e32 v138, v138
	s_add_i32 s7, s7, 4
	v_add_u32_e32 v125, 4, v125
	s_cmp_lt_u32 s7, 28
	v_fma_mix_f32 v138, v139, v138, v139 op_sel:[0,0,1] op_sel_hi:[1,0,1]
	v_add_f32_e32 v63, v63, v138
	v_add_u32_e32 v139, 0x1080, v124
	ds_read_b32 v138, v126
	ds_read2_b32 v[142:143], v139 offset1:1
	v_add_u32_e32 v126, 4, v126
	s_waitcnt lgkmcnt(0)
	v_and_b32_e32 v139, 0xf0f0f0f, v142
	v_lshrrev_b32_e32 v140, 4, v142
	v_and_b32_e32 v141, 0xf0f0f0f, v143
	v_lshrrev_b32_e32 v142, 4, v143
	v_add_u32_e32 v143, 0x1088, v124
	ds_read2_b32 v[144:145], v143 offset1:1
	v_and_b32_e32 v140, 0xf0f0f0f, v140
	v_dot4c_i32_i8_e32 v148, v139, v0
	v_dot4c_i32_i8_e32 v148, v140, v4
	v_and_b32_e32 v142, 0xf0f0f0f, v142
	v_dot4c_i32_i8_e32 v148, v141, v1
	v_dot4c_i32_i8_e32 v148, v142, v5
	s_waitcnt lgkmcnt(0)
	v_and_b32_e32 v143, 0xf0f0f0f, v144
	v_lshrrev_b32_e32 v144, 4, v144
	v_and_b32_e32 v144, 0xf0f0f0f, v144
	v_dot4c_i32_i8_e32 v148, v143, v2
	v_dot4c_i32_i8_e32 v148, v144, v6
	v_and_b32_e32 v146, 0xf0f0f0f, v145
	v_lshrrev_b32_e32 v145, 4, v145
	v_and_b32_e32 v147, 0xf0f0f0f, v145
	v_dot4c_i32_i8_e32 v148, v146, v3
	v_dot4c_i32_i8_e32 v148, v147, v7
	v_pk_mul_f16 v145, v58, v138
	s_nop 1
	v_cvt_f32_i32_e32 v148, v148
	v_fma_mix_f32 v145, v145, v148, v145 op_sel:[0,0,1] op_sel_hi:[1,0,1]
	v_add_f32_e32 v84, v84, v145
	v_add_u32_e32 v148, 0x2100, v124
	ds_read_b32 v145, v127
	ds_read2_b32 v[150:151], v148 offset1:1
	ds_read2_b32 v[156:157], v152 offset1:1
	v_add_u32_e32 v127, 4, v127
	s_waitcnt lgkmcnt(1)
	v_and_b32_e32 v148, 0xf0f0f0f, v150
	v_lshrrev_b32_e32 v149, 4, v150
	v_and_b32_e32 v149, 0xf0f0f0f, v149
	v_dot4c_i32_i8_e32 v154, v148, v0
	v_dot4c_i32_i8_e32 v154, v149, v4
	v_and_b32_e32 v150, 0xf0f0f0f, v151
	v_lshrrev_b32_e32 v151, 4, v151
	v_and_b32_e32 v151, 0xf0f0f0f, v151
	v_dot4c_i32_i8_e32 v154, v150, v1
	v_dot4c_i32_i8_e32 v154, v151, v5
	s_waitcnt lgkmcnt(0)
	v_and_b32_e32 v152, 0xf0f0f0f, v156
	v_lshrrev_b32_e32 v153, 4, v156
	v_and_b32_e32 v153, 0xf0f0f0f, v153
	v_dot4c_i32_i8_e32 v154, v152, v2
	v_dot4c_i32_i8_e32 v154, v153, v6
	v_and_b32_e32 v155, 0xf0f0f0f, v157
	v_lshrrev_b32_e32 v156, 4, v157
	v_and_b32_e32 v156, 0xf0f0f0f, v156
	v_dot4c_i32_i8_e32 v154, v155, v3
	v_dot4c_i32_i8_e32 v154, v156, v7
	v_pk_mul_f16 v157, v58, v145
	s_nop 1
	v_cvt_f32_i32_e32 v154, v154
	v_fma_mix_f32 v154, v157, v154, v157 op_sel:[0,0,1] op_sel_hi:[1,0,1]
	v_add_f32_e32 v73, v73, v154
	v_add_u32_e32 v157, 0x3180, v124
	ds_read_b32 v154, v128
	ds_read2_b32 v[158:159], v157 offset1:1
	v_add_u32_e32 v128, 4, v128
	s_waitcnt lgkmcnt(0)
	v_and_b32_e32 v157, 0xf0f0f0f, v158
	v_lshrrev_b32_e32 v158, 4, v158
	v_and_b32_e32 v158, 0xf0f0f0f, v158
	v_dot4c_i32_i8_e32 v161, v157, v0
	v_lshrrev_b32_e32 v0, 4, v159
	v_dot4c_i32_i8_e32 v161, v158, v4
	v_and_b32_e32 v4, 0xf0f0f0f, v159
	v_and_b32_e32 v159, 0xf0f0f0f, v0
	v_add_u32_e32 v0, 0x3188, v124
	v_dot4c_i32_i8_e32 v161, v4, v1
	ds_read2_b32 v[0:1], v0 offset1:1
	v_dot4c_i32_i8_e32 v161, v159, v5
	ds_read_b128 v[162:165], v123 offset:1024
	ds_read_b128 v[166:169], v123 offset:1040
	v_add_u32_e32 v124, 16, v124
	s_waitcnt lgkmcnt(2)
	v_and_b32_e32 v5, 0xf0f0f0f, v0
	v_lshrrev_b32_e32 v0, 4, v0
	v_and_b32_e32 v160, 0xf0f0f0f, v0
	v_dot4c_i32_i8_e32 v161, v5, v2
	v_dot4c_i32_i8_e32 v161, v160, v6
	v_and_b32_e32 v2, 0xf0f0f0f, v1
	v_lshrrev_b32_e32 v0, 4, v1
	v_and_b32_e32 v6, 0xf0f0f0f, v0
	v_dot4c_i32_i8_e32 v161, v2, v3
	v_dot4c_i32_i8_e32 v161, v6, v7
	v_pk_mul_f16 v0, v58, v154
	v_mov_b32_e32 v3, 0
	s_nop 0
	v_cvt_f32_i32_e32 v1, v161
	v_fma_mix_f32 v0, v0, v1, v0 op_sel:[0,0,1] op_sel_hi:[1,0,1]
	v_add_f32_e32 v68, v68, v0
	v_mov_b32_e32 v0, 0
	s_waitcnt lgkmcnt(1)
	v_dot4c_i32_i8_e32 v0, v130, v162
	s_waitcnt lgkmcnt(0)
	v_dot4c_i32_i8_e32 v0, v131, v166
	v_dot4c_i32_i8_e32 v0, v132, v163
	v_dot4c_i32_i8_e32 v0, v133, v167
	v_dot4c_i32_i8_e32 v0, v134, v164
	v_dot4c_i32_i8_e32 v0, v135, v168
	v_dot4c_i32_i8_e32 v0, v136, v165
	v_dot4c_i32_i8_e32 v0, v137, v169
	v_pk_mul_f16 v1, v129, v59
	s_nop 1
	v_cvt_f32_i32_e32 v0, v0
	v_fma_mix_f32 v0, v0, v1, v1 op_sel:[0,0,1] op_sel_hi:[0,1,1]
	v_add_f32_e32 v67, v67, v0
	v_mov_b32_e32 v0, 0
	v_dot4c_i32_i8_e32 v0, v139, v162
	v_dot4c_i32_i8_e32 v0, v140, v166
	v_dot4c_i32_i8_e32 v0, v141, v163
	v_dot4c_i32_i8_e32 v0, v142, v167
	v_dot4c_i32_i8_e32 v0, v143, v164
	v_dot4c_i32_i8_e32 v0, v144, v168
	v_dot4c_i32_i8_e32 v0, v146, v165
	v_dot4c_i32_i8_e32 v0, v147, v169
	v_pk_mul_f16 v1, v138, v59
	s_nop 1
	v_cvt_f32_i32_e32 v0, v0
	v_fma_mix_f32 v0, v0, v1, v1 op_sel:[0,0,1] op_sel_hi:[0,1,1]
	v_add_f32_e32 v65, v65, v0
	v_mov_b32_e32 v0, 0
	v_dot4c_i32_i8_e32 v0, v148, v162
	;; [unrolled: 14-line block ×3, first 2 shown]
	v_dot4c_i32_i8_e32 v0, v158, v166
	v_dot4c_i32_i8_e32 v0, v4, v163
	;; [unrolled: 1-line block ×7, first 2 shown]
	v_pk_mul_f16 v1, v154, v59
	s_nop 1
	v_cvt_f32_i32_e32 v0, v0
	v_fma_mix_f32 v0, v0, v1, v1 op_sel:[0,0,1] op_sel_hi:[0,1,1]
	v_add_f32_e32 v61, v61, v0
	ds_read_b128 v[162:165], v123 offset:2048
	ds_read_b128 v[166:169], v123 offset:2064
	ds_read2_b32 v[0:1], v122 offset0:64 offset1:96
	s_waitcnt lgkmcnt(2)
	v_dot4c_i32_i8_e32 v3, v130, v162
	s_waitcnt lgkmcnt(1)
	v_dot4c_i32_i8_e32 v3, v131, v166
	v_dot4c_i32_i8_e32 v3, v132, v163
	;; [unrolled: 1-line block ×7, first 2 shown]
	s_waitcnt lgkmcnt(0)
	v_pk_mul_f16 v7, v129, v0
	s_nop 0
	v_cvt_f32_i32_e32 v3, v3
	v_fma_mix_f32 v3, v3, v7, v7 op_sel:[0,0,1] op_sel_hi:[0,1,1]
	v_add_f32_e32 v57, v57, v3
	v_mov_b32_e32 v3, 0
	v_dot4c_i32_i8_e32 v3, v139, v162
	v_dot4c_i32_i8_e32 v3, v140, v166
	;; [unrolled: 1-line block ×8, first 2 shown]
	v_pk_mul_f16 v7, v138, v0
	s_nop 1
	v_cvt_f32_i32_e32 v3, v3
	v_fma_mix_f32 v3, v3, v7, v7 op_sel:[0,0,1] op_sel_hi:[0,1,1]
	v_add_f32_e32 v53, v53, v3
	v_mov_b32_e32 v3, 0
	v_dot4c_i32_i8_e32 v3, v148, v162
	v_dot4c_i32_i8_e32 v3, v149, v166
	;; [unrolled: 1-line block ×8, first 2 shown]
	v_pk_mul_f16 v7, v145, v0
	v_pk_mul_f16 v0, v154, v0
	s_nop 0
	v_cvt_f32_i32_e32 v3, v3
	v_fma_mix_f32 v3, v3, v7, v7 op_sel:[0,0,1] op_sel_hi:[0,1,1]
	v_add_f32_e32 v51, v51, v3
	v_mov_b32_e32 v3, 0
	v_dot4c_i32_i8_e32 v3, v157, v162
	v_dot4c_i32_i8_e32 v3, v158, v166
	;; [unrolled: 1-line block ×8, first 2 shown]
	ds_read_b128 v[162:165], v123 offset:3072
	ds_read_b128 v[166:169], v123 offset:3088
	s_nop 0
	v_cvt_f32_i32_e32 v3, v3
	v_fma_mix_f32 v0, v3, v0, v0 op_sel:[0,0,1] op_sel_hi:[0,1,1]
	v_add_f32_e32 v49, v49, v0
	v_mov_b32_e32 v0, 0
	s_waitcnt lgkmcnt(1)
	v_dot4c_i32_i8_e32 v0, v130, v162
	s_waitcnt lgkmcnt(0)
	v_dot4c_i32_i8_e32 v0, v131, v166
	v_dot4c_i32_i8_e32 v0, v132, v163
	;; [unrolled: 1-line block ×7, first 2 shown]
	v_pk_mul_f16 v3, v129, v1
	s_nop 1
	v_cvt_f32_i32_e32 v0, v0
	v_fma_mix_f32 v0, v0, v3, v3 op_sel:[0,0,1] op_sel_hi:[0,1,1]
	v_add_f32_e32 v47, v47, v0
	v_mov_b32_e32 v0, 0
	v_dot4c_i32_i8_e32 v0, v139, v162
	v_dot4c_i32_i8_e32 v0, v140, v166
	;; [unrolled: 1-line block ×8, first 2 shown]
	v_pk_mul_f16 v3, v138, v1
	s_nop 1
	v_cvt_f32_i32_e32 v0, v0
	v_fma_mix_f32 v0, v0, v3, v3 op_sel:[0,0,1] op_sel_hi:[0,1,1]
	v_add_f32_e32 v45, v45, v0
	v_mov_b32_e32 v0, 0
	v_dot4c_i32_i8_e32 v0, v148, v162
	v_dot4c_i32_i8_e32 v0, v149, v166
	;; [unrolled: 1-line block ×8, first 2 shown]
	v_pk_mul_f16 v3, v145, v1
	v_pk_mul_f16 v1, v154, v1
	s_nop 0
	v_cvt_f32_i32_e32 v0, v0
	v_fma_mix_f32 v0, v0, v3, v3 op_sel:[0,0,1] op_sel_hi:[0,1,1]
	v_add_f32_e32 v43, v43, v0
	v_mov_b32_e32 v0, 0
	v_dot4c_i32_i8_e32 v0, v157, v162
	v_dot4c_i32_i8_e32 v0, v158, v166
	;; [unrolled: 1-line block ×8, first 2 shown]
	v_mov_b32_e32 v3, 0
	s_nop 1
	v_cvt_f32_i32_e32 v0, v0
	v_fma_mix_f32 v0, v0, v1, v1 op_sel:[0,0,1] op_sel_hi:[0,1,1]
	v_add_f32_e32 v41, v41, v0
	ds_read_b128 v[162:165], v123 offset:4096
	ds_read_b128 v[166:169], v123 offset:4112
	ds_read2_b32 v[0:1], v122 offset0:128 offset1:160
	s_waitcnt lgkmcnt(2)
	v_dot4c_i32_i8_e32 v3, v130, v162
	s_waitcnt lgkmcnt(1)
	v_dot4c_i32_i8_e32 v3, v131, v166
	v_dot4c_i32_i8_e32 v3, v132, v163
	v_dot4c_i32_i8_e32 v3, v133, v167
	v_dot4c_i32_i8_e32 v3, v134, v164
	v_dot4c_i32_i8_e32 v3, v135, v168
	v_dot4c_i32_i8_e32 v3, v136, v165
	v_dot4c_i32_i8_e32 v3, v137, v169
	s_waitcnt lgkmcnt(0)
	v_pk_mul_f16 v7, v129, v0
	s_nop 0
	v_cvt_f32_i32_e32 v3, v3
	v_fma_mix_f32 v3, v3, v7, v7 op_sel:[0,0,1] op_sel_hi:[0,1,1]
	v_add_f32_e32 v39, v39, v3
	v_mov_b32_e32 v3, 0
	v_dot4c_i32_i8_e32 v3, v139, v162
	v_dot4c_i32_i8_e32 v3, v140, v166
	;; [unrolled: 1-line block ×8, first 2 shown]
	v_pk_mul_f16 v7, v138, v0
	s_nop 1
	v_cvt_f32_i32_e32 v3, v3
	v_fma_mix_f32 v3, v3, v7, v7 op_sel:[0,0,1] op_sel_hi:[0,1,1]
	v_add_f32_e32 v37, v37, v3
	v_mov_b32_e32 v3, 0
	v_dot4c_i32_i8_e32 v3, v148, v162
	v_dot4c_i32_i8_e32 v3, v149, v166
	;; [unrolled: 1-line block ×8, first 2 shown]
	v_pk_mul_f16 v7, v145, v0
	v_pk_mul_f16 v0, v154, v0
	s_nop 0
	v_cvt_f32_i32_e32 v3, v3
	v_fma_mix_f32 v3, v3, v7, v7 op_sel:[0,0,1] op_sel_hi:[0,1,1]
	v_add_f32_e32 v35, v35, v3
	v_mov_b32_e32 v3, 0
	v_dot4c_i32_i8_e32 v3, v157, v162
	v_dot4c_i32_i8_e32 v3, v158, v166
	;; [unrolled: 1-line block ×8, first 2 shown]
	ds_read_b128 v[162:165], v123 offset:5120
	ds_read_b128 v[166:169], v123 offset:5136
	s_nop 0
	v_cvt_f32_i32_e32 v3, v3
	v_fma_mix_f32 v0, v3, v0, v0 op_sel:[0,0,1] op_sel_hi:[0,1,1]
	v_add_f32_e32 v33, v33, v0
	v_mov_b32_e32 v0, 0
	s_waitcnt lgkmcnt(1)
	v_dot4c_i32_i8_e32 v0, v130, v162
	s_waitcnt lgkmcnt(0)
	v_dot4c_i32_i8_e32 v0, v131, v166
	v_dot4c_i32_i8_e32 v0, v132, v163
	v_dot4c_i32_i8_e32 v0, v133, v167
	v_dot4c_i32_i8_e32 v0, v134, v164
	v_dot4c_i32_i8_e32 v0, v135, v168
	v_dot4c_i32_i8_e32 v0, v136, v165
	v_dot4c_i32_i8_e32 v0, v137, v169
	v_pk_mul_f16 v3, v129, v1
	s_nop 1
	v_cvt_f32_i32_e32 v0, v0
	v_fma_mix_f32 v0, v0, v3, v3 op_sel:[0,0,1] op_sel_hi:[0,1,1]
	v_add_f32_e32 v31, v31, v0
	v_mov_b32_e32 v0, 0
	v_dot4c_i32_i8_e32 v0, v139, v162
	v_dot4c_i32_i8_e32 v0, v140, v166
	;; [unrolled: 1-line block ×8, first 2 shown]
	v_pk_mul_f16 v3, v138, v1
	s_nop 1
	v_cvt_f32_i32_e32 v0, v0
	v_fma_mix_f32 v0, v0, v3, v3 op_sel:[0,0,1] op_sel_hi:[0,1,1]
	v_add_f32_e32 v29, v29, v0
	v_mov_b32_e32 v0, 0
	v_dot4c_i32_i8_e32 v0, v148, v162
	v_dot4c_i32_i8_e32 v0, v149, v166
	;; [unrolled: 1-line block ×8, first 2 shown]
	v_pk_mul_f16 v3, v145, v1
	v_pk_mul_f16 v1, v154, v1
	s_nop 0
	v_cvt_f32_i32_e32 v0, v0
	v_fma_mix_f32 v0, v0, v3, v3 op_sel:[0,0,1] op_sel_hi:[0,1,1]
	v_add_f32_e32 v27, v27, v0
	v_mov_b32_e32 v0, 0
	v_dot4c_i32_i8_e32 v0, v157, v162
	v_dot4c_i32_i8_e32 v0, v158, v166
	;; [unrolled: 1-line block ×8, first 2 shown]
	v_mov_b32_e32 v3, 0
	s_nop 1
	v_cvt_f32_i32_e32 v0, v0
	v_fma_mix_f32 v0, v0, v1, v1 op_sel:[0,0,1] op_sel_hi:[0,1,1]
	v_add_f32_e32 v25, v25, v0
	ds_read_b128 v[162:165], v123 offset:6144
	ds_read_b128 v[166:169], v123 offset:6160
	ds_read2_b32 v[0:1], v122 offset0:192 offset1:224
	v_add_u32_e32 v122, 4, v122
	s_waitcnt lgkmcnt(2)
	v_dot4c_i32_i8_e32 v3, v130, v162
	s_waitcnt lgkmcnt(1)
	v_dot4c_i32_i8_e32 v3, v131, v166
	v_dot4c_i32_i8_e32 v3, v132, v163
	;; [unrolled: 1-line block ×7, first 2 shown]
	s_waitcnt lgkmcnt(0)
	v_pk_mul_f16 v7, v129, v0
	s_nop 0
	v_cvt_f32_i32_e32 v3, v3
	v_fma_mix_f32 v3, v3, v7, v7 op_sel:[0,0,1] op_sel_hi:[0,1,1]
	v_add_f32_e32 v23, v23, v3
	v_mov_b32_e32 v3, 0
	v_dot4c_i32_i8_e32 v3, v139, v162
	v_dot4c_i32_i8_e32 v3, v140, v166
	;; [unrolled: 1-line block ×8, first 2 shown]
	v_pk_mul_f16 v7, v138, v0
	s_nop 1
	v_cvt_f32_i32_e32 v3, v3
	v_fma_mix_f32 v3, v3, v7, v7 op_sel:[0,0,1] op_sel_hi:[0,1,1]
	v_add_f32_e32 v21, v21, v3
	v_mov_b32_e32 v3, 0
	v_dot4c_i32_i8_e32 v3, v148, v162
	v_dot4c_i32_i8_e32 v3, v149, v166
	;; [unrolled: 1-line block ×8, first 2 shown]
	v_pk_mul_f16 v7, v145, v0
	v_pk_mul_f16 v0, v154, v0
	s_nop 0
	v_cvt_f32_i32_e32 v3, v3
	v_fma_mix_f32 v3, v3, v7, v7 op_sel:[0,0,1] op_sel_hi:[0,1,1]
	v_add_f32_e32 v19, v19, v3
	v_mov_b32_e32 v3, 0
	v_dot4c_i32_i8_e32 v3, v157, v162
	v_dot4c_i32_i8_e32 v3, v158, v166
	;; [unrolled: 1-line block ×8, first 2 shown]
	ds_read_b128 v[162:165], v123 offset:7168
	ds_read_b128 v[166:169], v123 offset:7184
	v_add_u32_e32 v123, 32, v123
	v_cvt_f32_i32_e32 v3, v3
	v_fma_mix_f32 v0, v3, v0, v0 op_sel:[0,0,1] op_sel_hi:[0,1,1]
	v_add_f32_e32 v17, v17, v0
	v_mov_b32_e32 v0, 0
	s_waitcnt lgkmcnt(1)
	v_dot4c_i32_i8_e32 v0, v130, v162
	s_waitcnt lgkmcnt(0)
	v_dot4c_i32_i8_e32 v0, v131, v166
	v_dot4c_i32_i8_e32 v0, v132, v163
	;; [unrolled: 1-line block ×7, first 2 shown]
	v_pk_mul_f16 v3, v129, v1
	s_nop 1
	v_cvt_f32_i32_e32 v0, v0
	v_fma_mix_f32 v0, v0, v3, v3 op_sel:[0,0,1] op_sel_hi:[0,1,1]
	v_add_f32_e32 v15, v15, v0
	v_mov_b32_e32 v0, 0
	v_dot4c_i32_i8_e32 v0, v139, v162
	v_dot4c_i32_i8_e32 v0, v140, v166
	;; [unrolled: 1-line block ×8, first 2 shown]
	v_pk_mul_f16 v3, v138, v1
	s_nop 1
	v_cvt_f32_i32_e32 v0, v0
	v_fma_mix_f32 v0, v0, v3, v3 op_sel:[0,0,1] op_sel_hi:[0,1,1]
	v_add_f32_e32 v13, v13, v0
	v_mov_b32_e32 v0, 0
	v_dot4c_i32_i8_e32 v0, v148, v162
	v_dot4c_i32_i8_e32 v0, v149, v166
	;; [unrolled: 1-line block ×8, first 2 shown]
	v_pk_mul_f16 v3, v145, v1
	v_pk_mul_f16 v1, v154, v1
	s_nop 0
	v_cvt_f32_i32_e32 v0, v0
	v_fma_mix_f32 v0, v0, v3, v3 op_sel:[0,0,1] op_sel_hi:[0,1,1]
	v_add_f32_e32 v11, v11, v0
	v_mov_b32_e32 v0, 0
	v_dot4c_i32_i8_e32 v0, v157, v162
	v_dot4c_i32_i8_e32 v0, v158, v166
	;; [unrolled: 1-line block ×8, first 2 shown]
	s_nop 2
	v_cvt_f32_i32_e32 v0, v0
	v_fma_mix_f32 v0, v0, v1, v1 op_sel:[0,0,1] op_sel_hi:[0,1,1]
	v_add_f32_e32 v9, v9, v0
	s_cbranch_scc1 .LBB159_10
; %bb.11:                               ;   in Loop: Header=BB159_6 Depth=1
	s_barrier
	s_branch .LBB159_5
.LBB159_12:
	v_mov_b32_e32 v1, v62
.LBB159_13:
	v_cmp_gt_u32_e32 vcc, s8, v66
	s_and_saveexec_b64 s[0:1], vcc
	s_cbranch_execz .LBB159_64
; %bb.14:
	v_add_u32_e32 v0, s6, v60
	v_mul_lo_u32 v5, v66, s10
	v_cmp_gt_u32_e32 vcc, s10, v0
	s_and_saveexec_b64 s[2:3], vcc
	s_cbranch_execz .LBB159_16
; %bb.15:
	v_bfe_u32 v2, v63, 16, 1
	s_movk_i32 s0, 0x7fff
	v_add3_u32 v2, v63, v2, s0
	v_lshrrev_b32_e32 v2, 16, v2
	v_mov_b32_e32 v3, 0x7fc0
	v_cmp_o_f32_e64 s[0:1], v63, v63
	v_cndmask_b32_e64 v4, v3, v2, s[0:1]
	v_add_u32_e32 v2, v0, v5
	v_mov_b32_e32 v3, 0
	v_lshlrev_b64 v[2:3], 1, v[2:3]
	s_waitcnt lgkmcnt(0)
	v_mov_b32_e32 v6, s13
	v_add_co_u32_e64 v2, s[0:1], s12, v2
	v_addc_co_u32_e64 v3, s[0:1], v6, v3, s[0:1]
	global_store_short v[2:3], v4, off
.LBB159_16:
	s_or_b64 exec, exec, s[2:3]
	v_add_u32_e32 v2, 32, v0
	v_cmp_gt_u32_e64 s[0:1], s10, v2
	s_and_saveexec_b64 s[4:5], s[0:1]
	s_cbranch_execz .LBB159_18
; %bb.17:
	v_bfe_u32 v3, v84, 16, 1
	s_movk_i32 s2, 0x7fff
	v_add3_u32 v3, v84, v3, s2
	v_add_u32_e32 v6, v2, v5
	v_mov_b32_e32 v7, 0
	v_lshrrev_b32_e32 v3, 16, v3
	v_mov_b32_e32 v4, 0x7fc0
	v_cmp_o_f32_e64 s[2:3], v84, v84
	v_lshlrev_b64 v[6:7], 1, v[6:7]
	v_cndmask_b32_e64 v3, v4, v3, s[2:3]
	s_waitcnt lgkmcnt(0)
	v_mov_b32_e32 v4, s13
	v_add_co_u32_e64 v6, s[2:3], s12, v6
	v_addc_co_u32_e64 v7, s[2:3], v4, v7, s[2:3]
	global_store_short v[6:7], v3, off
.LBB159_18:
	s_or_b64 exec, exec, s[4:5]
	v_add_u32_e32 v3, 64, v0
	v_cmp_gt_u32_e64 s[2:3], s10, v3
	s_and_saveexec_b64 s[6:7], s[2:3]
	s_cbranch_execz .LBB159_20
; %bb.19:
	v_bfe_u32 v4, v73, 16, 1
	s_movk_i32 s4, 0x7fff
	v_add3_u32 v4, v73, v4, s4
	v_lshrrev_b32_e32 v4, 16, v4
	v_mov_b32_e32 v6, 0x7fc0
	v_cmp_o_f32_e64 s[4:5], v73, v73
	v_cndmask_b32_e64 v4, v6, v4, s[4:5]
	v_add_u32_e32 v6, v3, v5
	v_mov_b32_e32 v7, 0
	v_lshlrev_b64 v[6:7], 1, v[6:7]
	s_waitcnt lgkmcnt(0)
	v_mov_b32_e32 v8, s13
	v_add_co_u32_e64 v6, s[4:5], s12, v6
	v_addc_co_u32_e64 v7, s[4:5], v8, v7, s[4:5]
	global_store_short v[6:7], v4, off
.LBB159_20:
	s_or_b64 exec, exec, s[6:7]
	v_add_u32_e32 v4, 0x60, v0
	v_cmp_gt_u32_e64 s[4:5], s10, v4
	s_and_saveexec_b64 s[14:15], s[4:5]
	s_cbranch_execz .LBB159_22
; %bb.21:
	v_bfe_u32 v6, v68, 16, 1
	s_movk_i32 s6, 0x7fff
	v_add3_u32 v6, v68, v6, s6
	v_lshrrev_b32_e32 v6, 16, v6
	v_mov_b32_e32 v7, 0x7fc0
	v_cmp_o_f32_e64 s[6:7], v68, v68
	v_cndmask_b32_e64 v8, v7, v6, s[6:7]
	v_add_u32_e32 v6, v4, v5
	v_mov_b32_e32 v7, 0
	v_lshlrev_b64 v[6:7], 1, v[6:7]
	s_waitcnt lgkmcnt(0)
	v_mov_b32_e32 v5, s13
	v_add_co_u32_e64 v6, s[6:7], s12, v6
	v_addc_co_u32_e64 v7, s[6:7], v5, v7, s[6:7]
	global_store_short v[6:7], v8, off
.LBB159_22:
	s_or_b64 exec, exec, s[14:15]
	v_add3_u32 v5, v1, s11, 8
	v_cmp_gt_u32_e64 s[6:7], s8, v5
	s_and_b64 exec, exec, s[6:7]
	s_cbranch_execz .LBB159_64
; %bb.23:
	v_mul_lo_u32 v5, v5, s10
	s_and_saveexec_b64 s[14:15], vcc
	s_cbranch_execnz .LBB159_65
; %bb.24:
	s_or_b64 exec, exec, s[14:15]
	s_and_saveexec_b64 s[14:15], s[0:1]
	s_cbranch_execnz .LBB159_66
.LBB159_25:
	s_or_b64 exec, exec, s[14:15]
	s_and_saveexec_b64 s[14:15], s[2:3]
	s_cbranch_execnz .LBB159_67
.LBB159_26:
	s_or_b64 exec, exec, s[14:15]
	s_and_saveexec_b64 s[14:15], s[4:5]
	s_cbranch_execz .LBB159_28
.LBB159_27:
	v_bfe_u32 v6, v61, 16, 1
	s_movk_i32 s6, 0x7fff
	v_add3_u32 v6, v61, v6, s6
	v_lshrrev_b32_e32 v6, 16, v6
	v_mov_b32_e32 v7, 0x7fc0
	v_cmp_o_f32_e64 s[6:7], v61, v61
	v_cndmask_b32_e64 v8, v7, v6, s[6:7]
	v_add_u32_e32 v6, v5, v4
	v_mov_b32_e32 v7, 0
	v_lshlrev_b64 v[6:7], 1, v[6:7]
	s_waitcnt lgkmcnt(0)
	v_mov_b32_e32 v5, s13
	v_add_co_u32_e64 v6, s[6:7], s12, v6
	v_addc_co_u32_e64 v7, s[6:7], v5, v7, s[6:7]
	global_store_short v[6:7], v8, off
.LBB159_28:
	s_or_b64 exec, exec, s[14:15]
	v_add3_u32 v5, v1, s11, 16
	v_cmp_gt_u32_e64 s[6:7], s8, v5
	s_and_b64 exec, exec, s[6:7]
	s_cbranch_execz .LBB159_64
; %bb.29:
	v_mul_lo_u32 v5, v5, s10
	s_and_saveexec_b64 s[14:15], vcc
	s_cbranch_execnz .LBB159_68
; %bb.30:
	s_or_b64 exec, exec, s[14:15]
	s_and_saveexec_b64 s[14:15], s[0:1]
	s_cbranch_execnz .LBB159_69
.LBB159_31:
	s_or_b64 exec, exec, s[14:15]
	s_and_saveexec_b64 s[14:15], s[2:3]
	s_cbranch_execnz .LBB159_70
.LBB159_32:
	s_or_b64 exec, exec, s[14:15]
	s_and_saveexec_b64 s[14:15], s[4:5]
	s_cbranch_execz .LBB159_34
.LBB159_33:
	v_bfe_u32 v6, v49, 16, 1
	s_movk_i32 s6, 0x7fff
	v_add3_u32 v6, v49, v6, s6
	v_lshrrev_b32_e32 v6, 16, v6
	v_mov_b32_e32 v7, 0x7fc0
	v_cmp_o_f32_e64 s[6:7], v49, v49
	v_cndmask_b32_e64 v8, v7, v6, s[6:7]
	v_add_u32_e32 v6, v5, v4
	v_mov_b32_e32 v7, 0
	v_lshlrev_b64 v[6:7], 1, v[6:7]
	s_waitcnt lgkmcnt(0)
	v_mov_b32_e32 v5, s13
	v_add_co_u32_e64 v6, s[6:7], s12, v6
	v_addc_co_u32_e64 v7, s[6:7], v5, v7, s[6:7]
	global_store_short v[6:7], v8, off
.LBB159_34:
	s_or_b64 exec, exec, s[14:15]
	v_add3_u32 v5, v1, s11, 24
	v_cmp_gt_u32_e64 s[6:7], s8, v5
	s_and_b64 exec, exec, s[6:7]
	s_cbranch_execz .LBB159_64
; %bb.35:
	v_mul_lo_u32 v5, v5, s10
	s_and_saveexec_b64 s[14:15], vcc
	s_cbranch_execnz .LBB159_71
; %bb.36:
	s_or_b64 exec, exec, s[14:15]
	s_and_saveexec_b64 s[14:15], s[0:1]
	s_cbranch_execnz .LBB159_72
.LBB159_37:
	s_or_b64 exec, exec, s[14:15]
	s_and_saveexec_b64 s[14:15], s[2:3]
	s_cbranch_execnz .LBB159_73
.LBB159_38:
	s_or_b64 exec, exec, s[14:15]
	s_and_saveexec_b64 s[14:15], s[4:5]
	s_cbranch_execz .LBB159_40
.LBB159_39:
	v_bfe_u32 v6, v41, 16, 1
	s_movk_i32 s6, 0x7fff
	v_add3_u32 v6, v41, v6, s6
	v_lshrrev_b32_e32 v6, 16, v6
	v_mov_b32_e32 v7, 0x7fc0
	v_cmp_o_f32_e64 s[6:7], v41, v41
	v_cndmask_b32_e64 v8, v7, v6, s[6:7]
	v_add_u32_e32 v6, v5, v4
	v_mov_b32_e32 v7, 0
	v_lshlrev_b64 v[6:7], 1, v[6:7]
	s_waitcnt lgkmcnt(0)
	v_mov_b32_e32 v5, s13
	v_add_co_u32_e64 v6, s[6:7], s12, v6
	v_addc_co_u32_e64 v7, s[6:7], v5, v7, s[6:7]
	global_store_short v[6:7], v8, off
.LBB159_40:
	s_or_b64 exec, exec, s[14:15]
	v_add3_u32 v5, v1, s11, 32
	v_cmp_gt_u32_e64 s[6:7], s8, v5
	s_and_b64 exec, exec, s[6:7]
	s_cbranch_execz .LBB159_64
; %bb.41:
	v_mul_lo_u32 v5, v5, s10
	s_and_saveexec_b64 s[14:15], vcc
	s_cbranch_execnz .LBB159_74
; %bb.42:
	s_or_b64 exec, exec, s[14:15]
	s_and_saveexec_b64 s[14:15], s[0:1]
	s_cbranch_execnz .LBB159_75
.LBB159_43:
	s_or_b64 exec, exec, s[14:15]
	s_and_saveexec_b64 s[14:15], s[2:3]
	s_cbranch_execnz .LBB159_76
.LBB159_44:
	s_or_b64 exec, exec, s[14:15]
	s_and_saveexec_b64 s[14:15], s[4:5]
	s_cbranch_execz .LBB159_46
.LBB159_45:
	v_bfe_u32 v6, v33, 16, 1
	s_movk_i32 s6, 0x7fff
	v_add3_u32 v6, v33, v6, s6
	v_lshrrev_b32_e32 v6, 16, v6
	v_mov_b32_e32 v7, 0x7fc0
	v_cmp_o_f32_e64 s[6:7], v33, v33
	v_cndmask_b32_e64 v8, v7, v6, s[6:7]
	v_add_u32_e32 v6, v5, v4
	v_mov_b32_e32 v7, 0
	v_lshlrev_b64 v[6:7], 1, v[6:7]
	s_waitcnt lgkmcnt(0)
	v_mov_b32_e32 v5, s13
	v_add_co_u32_e64 v6, s[6:7], s12, v6
	v_addc_co_u32_e64 v7, s[6:7], v5, v7, s[6:7]
	global_store_short v[6:7], v8, off
.LBB159_46:
	s_or_b64 exec, exec, s[14:15]
	v_add3_u32 v5, v1, s11, 40
	v_cmp_gt_u32_e64 s[6:7], s8, v5
	s_and_b64 exec, exec, s[6:7]
	s_cbranch_execz .LBB159_64
; %bb.47:
	v_mul_lo_u32 v5, v5, s10
	s_and_saveexec_b64 s[14:15], vcc
	s_cbranch_execnz .LBB159_77
; %bb.48:
	s_or_b64 exec, exec, s[14:15]
	s_and_saveexec_b64 s[14:15], s[0:1]
	s_cbranch_execnz .LBB159_78
.LBB159_49:
	s_or_b64 exec, exec, s[14:15]
	s_and_saveexec_b64 s[14:15], s[2:3]
	s_cbranch_execnz .LBB159_79
.LBB159_50:
	s_or_b64 exec, exec, s[14:15]
	s_and_saveexec_b64 s[14:15], s[4:5]
	s_cbranch_execz .LBB159_52
.LBB159_51:
	v_bfe_u32 v6, v25, 16, 1
	s_movk_i32 s6, 0x7fff
	v_add3_u32 v6, v25, v6, s6
	v_lshrrev_b32_e32 v6, 16, v6
	v_mov_b32_e32 v7, 0x7fc0
	v_cmp_o_f32_e64 s[6:7], v25, v25
	v_cndmask_b32_e64 v8, v7, v6, s[6:7]
	v_add_u32_e32 v6, v5, v4
	v_mov_b32_e32 v7, 0
	v_lshlrev_b64 v[6:7], 1, v[6:7]
	s_waitcnt lgkmcnt(0)
	v_mov_b32_e32 v5, s13
	v_add_co_u32_e64 v6, s[6:7], s12, v6
	v_addc_co_u32_e64 v7, s[6:7], v5, v7, s[6:7]
	global_store_short v[6:7], v8, off
.LBB159_52:
	s_or_b64 exec, exec, s[14:15]
	v_add3_u32 v5, v1, s11, 48
	v_cmp_gt_u32_e64 s[6:7], s8, v5
	s_and_b64 exec, exec, s[6:7]
	s_cbranch_execz .LBB159_64
; %bb.53:
	v_mul_lo_u32 v5, v5, s10
	s_and_saveexec_b64 s[14:15], vcc
	s_cbranch_execnz .LBB159_80
; %bb.54:
	s_or_b64 exec, exec, s[14:15]
	s_and_saveexec_b64 s[14:15], s[0:1]
	s_cbranch_execnz .LBB159_81
.LBB159_55:
	s_or_b64 exec, exec, s[14:15]
	s_and_saveexec_b64 s[14:15], s[2:3]
	s_cbranch_execnz .LBB159_82
.LBB159_56:
	s_or_b64 exec, exec, s[14:15]
	s_and_saveexec_b64 s[14:15], s[4:5]
	s_cbranch_execz .LBB159_58
.LBB159_57:
	v_bfe_u32 v6, v17, 16, 1
	s_movk_i32 s6, 0x7fff
	v_add3_u32 v6, v17, v6, s6
	v_lshrrev_b32_e32 v6, 16, v6
	v_mov_b32_e32 v7, 0x7fc0
	v_cmp_o_f32_e64 s[6:7], v17, v17
	v_cndmask_b32_e64 v8, v7, v6, s[6:7]
	v_add_u32_e32 v6, v5, v4
	v_mov_b32_e32 v7, 0
	v_lshlrev_b64 v[6:7], 1, v[6:7]
	s_waitcnt lgkmcnt(0)
	v_mov_b32_e32 v5, s13
	v_add_co_u32_e64 v6, s[6:7], s12, v6
	v_addc_co_u32_e64 v7, s[6:7], v5, v7, s[6:7]
	global_store_short v[6:7], v8, off
.LBB159_58:
	s_or_b64 exec, exec, s[14:15]
	v_add3_u32 v1, v1, s11, 56
	v_cmp_gt_u32_e64 s[6:7], s8, v1
	s_and_b64 exec, exec, s[6:7]
	s_cbranch_execz .LBB159_64
; %bb.59:
	v_mul_lo_u32 v1, v1, s10
	s_and_saveexec_b64 s[6:7], vcc
	s_cbranch_execnz .LBB159_83
; %bb.60:
	s_or_b64 exec, exec, s[6:7]
	s_and_saveexec_b64 s[6:7], s[0:1]
	s_cbranch_execnz .LBB159_84
.LBB159_61:
	s_or_b64 exec, exec, s[6:7]
	s_and_saveexec_b64 s[0:1], s[2:3]
	s_cbranch_execnz .LBB159_85
.LBB159_62:
	s_or_b64 exec, exec, s[0:1]
	s_and_b64 exec, exec, s[4:5]
	s_cbranch_execz .LBB159_64
.LBB159_63:
	v_bfe_u32 v0, v9, 16, 1
	s_movk_i32 s0, 0x7fff
	v_add3_u32 v0, v9, v0, s0
	v_lshrrev_b32_e32 v0, 16, v0
	v_mov_b32_e32 v2, 0x7fc0
	v_cmp_o_f32_e32 vcc, v9, v9
	v_cndmask_b32_e32 v2, v2, v0, vcc
	v_add_u32_e32 v0, v1, v4
	v_mov_b32_e32 v1, 0
	v_lshlrev_b64 v[0:1], 1, v[0:1]
	s_waitcnt lgkmcnt(0)
	v_mov_b32_e32 v3, s13
	v_add_co_u32_e32 v0, vcc, s12, v0
	v_addc_co_u32_e32 v1, vcc, v3, v1, vcc
	global_store_short v[0:1], v2, off
.LBB159_64:
	s_endpgm
.LBB159_65:
	v_bfe_u32 v6, v67, 16, 1
	s_movk_i32 s6, 0x7fff
	v_add3_u32 v6, v67, v6, s6
	v_lshrrev_b32_e32 v6, 16, v6
	v_mov_b32_e32 v7, 0x7fc0
	v_cmp_o_f32_e64 s[6:7], v67, v67
	v_cndmask_b32_e64 v8, v7, v6, s[6:7]
	v_add_u32_e32 v6, v5, v0
	v_mov_b32_e32 v7, 0
	v_lshlrev_b64 v[6:7], 1, v[6:7]
	s_waitcnt lgkmcnt(0)
	v_mov_b32_e32 v10, s13
	v_add_co_u32_e64 v6, s[6:7], s12, v6
	v_addc_co_u32_e64 v7, s[6:7], v10, v7, s[6:7]
	global_store_short v[6:7], v8, off
	s_or_b64 exec, exec, s[14:15]
	s_and_saveexec_b64 s[14:15], s[0:1]
	s_cbranch_execz .LBB159_25
.LBB159_66:
	v_bfe_u32 v6, v65, 16, 1
	s_movk_i32 s6, 0x7fff
	v_add3_u32 v6, v65, v6, s6
	v_lshrrev_b32_e32 v6, 16, v6
	v_mov_b32_e32 v7, 0x7fc0
	v_cmp_o_f32_e64 s[6:7], v65, v65
	v_cndmask_b32_e64 v8, v7, v6, s[6:7]
	v_add_u32_e32 v6, v5, v2
	v_mov_b32_e32 v7, 0
	v_lshlrev_b64 v[6:7], 1, v[6:7]
	s_waitcnt lgkmcnt(0)
	v_mov_b32_e32 v10, s13
	v_add_co_u32_e64 v6, s[6:7], s12, v6
	v_addc_co_u32_e64 v7, s[6:7], v10, v7, s[6:7]
	global_store_short v[6:7], v8, off
	s_or_b64 exec, exec, s[14:15]
	s_and_saveexec_b64 s[14:15], s[2:3]
	s_cbranch_execz .LBB159_26
.LBB159_67:
	v_bfe_u32 v6, v64, 16, 1
	s_movk_i32 s6, 0x7fff
	v_add3_u32 v6, v64, v6, s6
	v_lshrrev_b32_e32 v6, 16, v6
	v_mov_b32_e32 v7, 0x7fc0
	v_cmp_o_f32_e64 s[6:7], v64, v64
	v_cndmask_b32_e64 v8, v7, v6, s[6:7]
	v_add_u32_e32 v6, v5, v3
	v_mov_b32_e32 v7, 0
	v_lshlrev_b64 v[6:7], 1, v[6:7]
	s_waitcnt lgkmcnt(0)
	v_mov_b32_e32 v10, s13
	v_add_co_u32_e64 v6, s[6:7], s12, v6
	v_addc_co_u32_e64 v7, s[6:7], v10, v7, s[6:7]
	global_store_short v[6:7], v8, off
	s_or_b64 exec, exec, s[14:15]
	s_and_saveexec_b64 s[14:15], s[4:5]
	s_cbranch_execnz .LBB159_27
	s_branch .LBB159_28
.LBB159_68:
	v_bfe_u32 v6, v57, 16, 1
	s_movk_i32 s6, 0x7fff
	v_add3_u32 v6, v57, v6, s6
	v_lshrrev_b32_e32 v6, 16, v6
	v_mov_b32_e32 v7, 0x7fc0
	v_cmp_o_f32_e64 s[6:7], v57, v57
	v_cndmask_b32_e64 v8, v7, v6, s[6:7]
	v_add_u32_e32 v6, v5, v0
	v_mov_b32_e32 v7, 0
	v_lshlrev_b64 v[6:7], 1, v[6:7]
	s_waitcnt lgkmcnt(0)
	v_mov_b32_e32 v10, s13
	v_add_co_u32_e64 v6, s[6:7], s12, v6
	v_addc_co_u32_e64 v7, s[6:7], v10, v7, s[6:7]
	global_store_short v[6:7], v8, off
	s_or_b64 exec, exec, s[14:15]
	s_and_saveexec_b64 s[14:15], s[0:1]
	s_cbranch_execz .LBB159_31
.LBB159_69:
	v_bfe_u32 v6, v53, 16, 1
	s_movk_i32 s6, 0x7fff
	v_add3_u32 v6, v53, v6, s6
	v_lshrrev_b32_e32 v6, 16, v6
	v_mov_b32_e32 v7, 0x7fc0
	v_cmp_o_f32_e64 s[6:7], v53, v53
	v_cndmask_b32_e64 v8, v7, v6, s[6:7]
	v_add_u32_e32 v6, v5, v2
	v_mov_b32_e32 v7, 0
	v_lshlrev_b64 v[6:7], 1, v[6:7]
	s_waitcnt lgkmcnt(0)
	v_mov_b32_e32 v10, s13
	v_add_co_u32_e64 v6, s[6:7], s12, v6
	v_addc_co_u32_e64 v7, s[6:7], v10, v7, s[6:7]
	global_store_short v[6:7], v8, off
	s_or_b64 exec, exec, s[14:15]
	s_and_saveexec_b64 s[14:15], s[2:3]
	s_cbranch_execz .LBB159_32
.LBB159_70:
	v_bfe_u32 v6, v51, 16, 1
	s_movk_i32 s6, 0x7fff
	v_add3_u32 v6, v51, v6, s6
	v_lshrrev_b32_e32 v6, 16, v6
	v_mov_b32_e32 v7, 0x7fc0
	v_cmp_o_f32_e64 s[6:7], v51, v51
	v_cndmask_b32_e64 v8, v7, v6, s[6:7]
	v_add_u32_e32 v6, v5, v3
	v_mov_b32_e32 v7, 0
	v_lshlrev_b64 v[6:7], 1, v[6:7]
	s_waitcnt lgkmcnt(0)
	v_mov_b32_e32 v10, s13
	v_add_co_u32_e64 v6, s[6:7], s12, v6
	v_addc_co_u32_e64 v7, s[6:7], v10, v7, s[6:7]
	global_store_short v[6:7], v8, off
	s_or_b64 exec, exec, s[14:15]
	s_and_saveexec_b64 s[14:15], s[4:5]
	s_cbranch_execnz .LBB159_33
	s_branch .LBB159_34
.LBB159_71:
	v_bfe_u32 v6, v47, 16, 1
	s_movk_i32 s6, 0x7fff
	v_add3_u32 v6, v47, v6, s6
	v_lshrrev_b32_e32 v6, 16, v6
	v_mov_b32_e32 v7, 0x7fc0
	v_cmp_o_f32_e64 s[6:7], v47, v47
	v_cndmask_b32_e64 v8, v7, v6, s[6:7]
	v_add_u32_e32 v6, v5, v0
	v_mov_b32_e32 v7, 0
	v_lshlrev_b64 v[6:7], 1, v[6:7]
	s_waitcnt lgkmcnt(0)
	v_mov_b32_e32 v10, s13
	v_add_co_u32_e64 v6, s[6:7], s12, v6
	v_addc_co_u32_e64 v7, s[6:7], v10, v7, s[6:7]
	global_store_short v[6:7], v8, off
	s_or_b64 exec, exec, s[14:15]
	s_and_saveexec_b64 s[14:15], s[0:1]
	s_cbranch_execz .LBB159_37
.LBB159_72:
	v_bfe_u32 v6, v45, 16, 1
	s_movk_i32 s6, 0x7fff
	v_add3_u32 v6, v45, v6, s6
	v_lshrrev_b32_e32 v6, 16, v6
	v_mov_b32_e32 v7, 0x7fc0
	v_cmp_o_f32_e64 s[6:7], v45, v45
	v_cndmask_b32_e64 v8, v7, v6, s[6:7]
	v_add_u32_e32 v6, v5, v2
	v_mov_b32_e32 v7, 0
	v_lshlrev_b64 v[6:7], 1, v[6:7]
	s_waitcnt lgkmcnt(0)
	v_mov_b32_e32 v10, s13
	v_add_co_u32_e64 v6, s[6:7], s12, v6
	v_addc_co_u32_e64 v7, s[6:7], v10, v7, s[6:7]
	global_store_short v[6:7], v8, off
	s_or_b64 exec, exec, s[14:15]
	s_and_saveexec_b64 s[14:15], s[2:3]
	s_cbranch_execz .LBB159_38
.LBB159_73:
	v_bfe_u32 v6, v43, 16, 1
	s_movk_i32 s6, 0x7fff
	v_add3_u32 v6, v43, v6, s6
	v_lshrrev_b32_e32 v6, 16, v6
	v_mov_b32_e32 v7, 0x7fc0
	v_cmp_o_f32_e64 s[6:7], v43, v43
	v_cndmask_b32_e64 v8, v7, v6, s[6:7]
	v_add_u32_e32 v6, v5, v3
	v_mov_b32_e32 v7, 0
	v_lshlrev_b64 v[6:7], 1, v[6:7]
	s_waitcnt lgkmcnt(0)
	v_mov_b32_e32 v10, s13
	v_add_co_u32_e64 v6, s[6:7], s12, v6
	v_addc_co_u32_e64 v7, s[6:7], v10, v7, s[6:7]
	global_store_short v[6:7], v8, off
	s_or_b64 exec, exec, s[14:15]
	s_and_saveexec_b64 s[14:15], s[4:5]
	s_cbranch_execnz .LBB159_39
	s_branch .LBB159_40
.LBB159_74:
	v_bfe_u32 v6, v39, 16, 1
	s_movk_i32 s6, 0x7fff
	v_add3_u32 v6, v39, v6, s6
	v_lshrrev_b32_e32 v6, 16, v6
	v_mov_b32_e32 v7, 0x7fc0
	v_cmp_o_f32_e64 s[6:7], v39, v39
	v_cndmask_b32_e64 v8, v7, v6, s[6:7]
	v_add_u32_e32 v6, v5, v0
	v_mov_b32_e32 v7, 0
	v_lshlrev_b64 v[6:7], 1, v[6:7]
	s_waitcnt lgkmcnt(0)
	v_mov_b32_e32 v10, s13
	v_add_co_u32_e64 v6, s[6:7], s12, v6
	v_addc_co_u32_e64 v7, s[6:7], v10, v7, s[6:7]
	global_store_short v[6:7], v8, off
	s_or_b64 exec, exec, s[14:15]
	s_and_saveexec_b64 s[14:15], s[0:1]
	s_cbranch_execz .LBB159_43
.LBB159_75:
	v_bfe_u32 v6, v37, 16, 1
	s_movk_i32 s6, 0x7fff
	v_add3_u32 v6, v37, v6, s6
	v_lshrrev_b32_e32 v6, 16, v6
	v_mov_b32_e32 v7, 0x7fc0
	v_cmp_o_f32_e64 s[6:7], v37, v37
	v_cndmask_b32_e64 v8, v7, v6, s[6:7]
	v_add_u32_e32 v6, v5, v2
	v_mov_b32_e32 v7, 0
	v_lshlrev_b64 v[6:7], 1, v[6:7]
	s_waitcnt lgkmcnt(0)
	v_mov_b32_e32 v10, s13
	v_add_co_u32_e64 v6, s[6:7], s12, v6
	v_addc_co_u32_e64 v7, s[6:7], v10, v7, s[6:7]
	global_store_short v[6:7], v8, off
	s_or_b64 exec, exec, s[14:15]
	s_and_saveexec_b64 s[14:15], s[2:3]
	s_cbranch_execz .LBB159_44
.LBB159_76:
	v_bfe_u32 v6, v35, 16, 1
	s_movk_i32 s6, 0x7fff
	v_add3_u32 v6, v35, v6, s6
	v_lshrrev_b32_e32 v6, 16, v6
	v_mov_b32_e32 v7, 0x7fc0
	v_cmp_o_f32_e64 s[6:7], v35, v35
	v_cndmask_b32_e64 v8, v7, v6, s[6:7]
	v_add_u32_e32 v6, v5, v3
	v_mov_b32_e32 v7, 0
	v_lshlrev_b64 v[6:7], 1, v[6:7]
	s_waitcnt lgkmcnt(0)
	v_mov_b32_e32 v10, s13
	v_add_co_u32_e64 v6, s[6:7], s12, v6
	v_addc_co_u32_e64 v7, s[6:7], v10, v7, s[6:7]
	global_store_short v[6:7], v8, off
	s_or_b64 exec, exec, s[14:15]
	s_and_saveexec_b64 s[14:15], s[4:5]
	s_cbranch_execnz .LBB159_45
	s_branch .LBB159_46
.LBB159_77:
	v_bfe_u32 v6, v31, 16, 1
	s_movk_i32 s6, 0x7fff
	v_add3_u32 v6, v31, v6, s6
	v_lshrrev_b32_e32 v6, 16, v6
	v_mov_b32_e32 v7, 0x7fc0
	v_cmp_o_f32_e64 s[6:7], v31, v31
	v_cndmask_b32_e64 v8, v7, v6, s[6:7]
	v_add_u32_e32 v6, v5, v0
	v_mov_b32_e32 v7, 0
	v_lshlrev_b64 v[6:7], 1, v[6:7]
	s_waitcnt lgkmcnt(0)
	v_mov_b32_e32 v10, s13
	v_add_co_u32_e64 v6, s[6:7], s12, v6
	v_addc_co_u32_e64 v7, s[6:7], v10, v7, s[6:7]
	global_store_short v[6:7], v8, off
	s_or_b64 exec, exec, s[14:15]
	s_and_saveexec_b64 s[14:15], s[0:1]
	s_cbranch_execz .LBB159_49
.LBB159_78:
	v_bfe_u32 v6, v29, 16, 1
	s_movk_i32 s6, 0x7fff
	v_add3_u32 v6, v29, v6, s6
	v_lshrrev_b32_e32 v6, 16, v6
	v_mov_b32_e32 v7, 0x7fc0
	v_cmp_o_f32_e64 s[6:7], v29, v29
	v_cndmask_b32_e64 v8, v7, v6, s[6:7]
	v_add_u32_e32 v6, v5, v2
	v_mov_b32_e32 v7, 0
	v_lshlrev_b64 v[6:7], 1, v[6:7]
	s_waitcnt lgkmcnt(0)
	v_mov_b32_e32 v10, s13
	v_add_co_u32_e64 v6, s[6:7], s12, v6
	v_addc_co_u32_e64 v7, s[6:7], v10, v7, s[6:7]
	global_store_short v[6:7], v8, off
	s_or_b64 exec, exec, s[14:15]
	s_and_saveexec_b64 s[14:15], s[2:3]
	s_cbranch_execz .LBB159_50
.LBB159_79:
	v_bfe_u32 v6, v27, 16, 1
	s_movk_i32 s6, 0x7fff
	v_add3_u32 v6, v27, v6, s6
	v_lshrrev_b32_e32 v6, 16, v6
	v_mov_b32_e32 v7, 0x7fc0
	v_cmp_o_f32_e64 s[6:7], v27, v27
	v_cndmask_b32_e64 v8, v7, v6, s[6:7]
	v_add_u32_e32 v6, v5, v3
	v_mov_b32_e32 v7, 0
	v_lshlrev_b64 v[6:7], 1, v[6:7]
	s_waitcnt lgkmcnt(0)
	v_mov_b32_e32 v10, s13
	v_add_co_u32_e64 v6, s[6:7], s12, v6
	v_addc_co_u32_e64 v7, s[6:7], v10, v7, s[6:7]
	global_store_short v[6:7], v8, off
	s_or_b64 exec, exec, s[14:15]
	s_and_saveexec_b64 s[14:15], s[4:5]
	s_cbranch_execnz .LBB159_51
	s_branch .LBB159_52
.LBB159_80:
	v_bfe_u32 v6, v23, 16, 1
	s_movk_i32 s6, 0x7fff
	v_add3_u32 v6, v23, v6, s6
	v_lshrrev_b32_e32 v6, 16, v6
	v_mov_b32_e32 v7, 0x7fc0
	v_cmp_o_f32_e64 s[6:7], v23, v23
	v_cndmask_b32_e64 v8, v7, v6, s[6:7]
	v_add_u32_e32 v6, v5, v0
	v_mov_b32_e32 v7, 0
	v_lshlrev_b64 v[6:7], 1, v[6:7]
	s_waitcnt lgkmcnt(0)
	v_mov_b32_e32 v10, s13
	v_add_co_u32_e64 v6, s[6:7], s12, v6
	v_addc_co_u32_e64 v7, s[6:7], v10, v7, s[6:7]
	global_store_short v[6:7], v8, off
	s_or_b64 exec, exec, s[14:15]
	s_and_saveexec_b64 s[14:15], s[0:1]
	s_cbranch_execz .LBB159_55
.LBB159_81:
	v_bfe_u32 v6, v21, 16, 1
	s_movk_i32 s6, 0x7fff
	v_add3_u32 v6, v21, v6, s6
	v_lshrrev_b32_e32 v6, 16, v6
	v_mov_b32_e32 v7, 0x7fc0
	v_cmp_o_f32_e64 s[6:7], v21, v21
	v_cndmask_b32_e64 v8, v7, v6, s[6:7]
	v_add_u32_e32 v6, v5, v2
	v_mov_b32_e32 v7, 0
	v_lshlrev_b64 v[6:7], 1, v[6:7]
	s_waitcnt lgkmcnt(0)
	v_mov_b32_e32 v10, s13
	v_add_co_u32_e64 v6, s[6:7], s12, v6
	v_addc_co_u32_e64 v7, s[6:7], v10, v7, s[6:7]
	global_store_short v[6:7], v8, off
	s_or_b64 exec, exec, s[14:15]
	s_and_saveexec_b64 s[14:15], s[2:3]
	s_cbranch_execz .LBB159_56
.LBB159_82:
	v_bfe_u32 v6, v19, 16, 1
	s_movk_i32 s6, 0x7fff
	v_add3_u32 v6, v19, v6, s6
	v_lshrrev_b32_e32 v6, 16, v6
	v_mov_b32_e32 v7, 0x7fc0
	v_cmp_o_f32_e64 s[6:7], v19, v19
	v_cndmask_b32_e64 v8, v7, v6, s[6:7]
	v_add_u32_e32 v6, v5, v3
	v_mov_b32_e32 v7, 0
	v_lshlrev_b64 v[6:7], 1, v[6:7]
	s_waitcnt lgkmcnt(0)
	v_mov_b32_e32 v10, s13
	v_add_co_u32_e64 v6, s[6:7], s12, v6
	v_addc_co_u32_e64 v7, s[6:7], v10, v7, s[6:7]
	global_store_short v[6:7], v8, off
	s_or_b64 exec, exec, s[14:15]
	s_and_saveexec_b64 s[14:15], s[4:5]
	s_cbranch_execnz .LBB159_57
	s_branch .LBB159_58
.LBB159_83:
	v_bfe_u32 v5, v15, 16, 1
	s_movk_i32 s8, 0x7fff
	v_add3_u32 v5, v15, v5, s8
	v_lshrrev_b32_e32 v5, 16, v5
	v_mov_b32_e32 v6, 0x7fc0
	v_cmp_o_f32_e32 vcc, v15, v15
	v_cndmask_b32_e32 v5, v6, v5, vcc
	v_add_u32_e32 v6, v1, v0
	v_mov_b32_e32 v7, 0
	v_lshlrev_b64 v[6:7], 1, v[6:7]
	s_waitcnt lgkmcnt(0)
	v_mov_b32_e32 v0, s13
	v_add_co_u32_e32 v6, vcc, s12, v6
	v_addc_co_u32_e32 v7, vcc, v0, v7, vcc
	global_store_short v[6:7], v5, off
	s_or_b64 exec, exec, s[6:7]
	s_and_saveexec_b64 s[6:7], s[0:1]
	s_cbranch_execz .LBB159_61
.LBB159_84:
	v_bfe_u32 v0, v13, 16, 1
	s_movk_i32 s0, 0x7fff
	v_add3_u32 v0, v13, v0, s0
	v_add_u32_e32 v6, v1, v2
	v_mov_b32_e32 v7, 0
	v_lshrrev_b32_e32 v0, 16, v0
	v_mov_b32_e32 v5, 0x7fc0
	v_cmp_o_f32_e32 vcc, v13, v13
	v_lshlrev_b64 v[6:7], 1, v[6:7]
	v_cndmask_b32_e32 v0, v5, v0, vcc
	s_waitcnt lgkmcnt(0)
	v_mov_b32_e32 v2, s13
	v_add_co_u32_e32 v6, vcc, s12, v6
	v_addc_co_u32_e32 v7, vcc, v2, v7, vcc
	global_store_short v[6:7], v0, off
	s_or_b64 exec, exec, s[6:7]
	s_and_saveexec_b64 s[0:1], s[2:3]
	s_cbranch_execz .LBB159_62
.LBB159_85:
	v_bfe_u32 v0, v11, 16, 1
	s_movk_i32 s2, 0x7fff
	v_add3_u32 v0, v11, v0, s2
	v_lshrrev_b32_e32 v0, 16, v0
	v_mov_b32_e32 v2, 0x7fc0
	v_cmp_o_f32_e32 vcc, v11, v11
	v_cndmask_b32_e32 v0, v2, v0, vcc
	v_add_u32_e32 v2, v1, v3
	v_mov_b32_e32 v3, 0
	v_lshlrev_b64 v[2:3], 1, v[2:3]
	s_waitcnt lgkmcnt(0)
	v_mov_b32_e32 v5, s13
	v_add_co_u32_e32 v2, vcc, s12, v2
	v_addc_co_u32_e32 v3, vcc, v5, v3, vcc
	global_store_short v[2:3], v0, off
	s_or_b64 exec, exec, s[0:1]
	s_and_b64 exec, exec, s[4:5]
	s_cbranch_execnz .LBB159_63
	s_branch .LBB159_64
	.section	.rodata,"a",@progbits
	.p2align	6, 0x0
	.amdhsa_kernel _ZL12mul_mat_q4_1IN3c108BFloat16ELb0EEvPKvS3_PT_iiiii
		.amdhsa_group_segment_fixed_size 30336
		.amdhsa_private_segment_fixed_size 0
		.amdhsa_kernarg_size 44
		.amdhsa_user_sgpr_count 6
		.amdhsa_user_sgpr_private_segment_buffer 1
		.amdhsa_user_sgpr_dispatch_ptr 0
		.amdhsa_user_sgpr_queue_ptr 0
		.amdhsa_user_sgpr_kernarg_segment_ptr 1
		.amdhsa_user_sgpr_dispatch_id 0
		.amdhsa_user_sgpr_flat_scratch_init 0
		.amdhsa_user_sgpr_kernarg_preload_length 0
		.amdhsa_user_sgpr_kernarg_preload_offset 0
		.amdhsa_user_sgpr_private_segment_size 0
		.amdhsa_uses_dynamic_stack 0
		.amdhsa_system_sgpr_private_segment_wavefront_offset 0
		.amdhsa_system_sgpr_workgroup_id_x 1
		.amdhsa_system_sgpr_workgroup_id_y 1
		.amdhsa_system_sgpr_workgroup_id_z 0
		.amdhsa_system_sgpr_workgroup_info 0
		.amdhsa_system_vgpr_workitem_id 1
		.amdhsa_next_free_vgpr 170
		.amdhsa_next_free_sgpr 18
		.amdhsa_accum_offset 172
		.amdhsa_reserve_vcc 1
		.amdhsa_reserve_flat_scratch 0
		.amdhsa_float_round_mode_32 0
		.amdhsa_float_round_mode_16_64 0
		.amdhsa_float_denorm_mode_32 3
		.amdhsa_float_denorm_mode_16_64 3
		.amdhsa_dx10_clamp 1
		.amdhsa_ieee_mode 1
		.amdhsa_fp16_overflow 0
		.amdhsa_tg_split 0
		.amdhsa_exception_fp_ieee_invalid_op 0
		.amdhsa_exception_fp_denorm_src 0
		.amdhsa_exception_fp_ieee_div_zero 0
		.amdhsa_exception_fp_ieee_overflow 0
		.amdhsa_exception_fp_ieee_underflow 0
		.amdhsa_exception_fp_ieee_inexact 0
		.amdhsa_exception_int_div_zero 0
	.end_amdhsa_kernel
	.section	.text._ZL12mul_mat_q4_1IN3c108BFloat16ELb0EEvPKvS3_PT_iiiii,"axG",@progbits,_ZL12mul_mat_q4_1IN3c108BFloat16ELb0EEvPKvS3_PT_iiiii,comdat
.Lfunc_end159:
	.size	_ZL12mul_mat_q4_1IN3c108BFloat16ELb0EEvPKvS3_PT_iiiii, .Lfunc_end159-_ZL12mul_mat_q4_1IN3c108BFloat16ELb0EEvPKvS3_PT_iiiii
                                        ; -- End function
	.section	.AMDGPU.csdata,"",@progbits
; Kernel info:
; codeLenInByte = 12292
; NumSgprs: 22
; NumVgprs: 170
; NumAgprs: 0
; TotalNumVgprs: 170
; ScratchSize: 0
; MemoryBound: 0
; FloatMode: 240
; IeeeMode: 1
; LDSByteSize: 30336 bytes/workgroup (compile time only)
; SGPRBlocks: 2
; VGPRBlocks: 21
; NumSGPRsForWavesPerEU: 22
; NumVGPRsForWavesPerEU: 170
; AccumOffset: 172
; Occupancy: 2
; WaveLimiterHint : 0
; COMPUTE_PGM_RSRC2:SCRATCH_EN: 0
; COMPUTE_PGM_RSRC2:USER_SGPR: 6
; COMPUTE_PGM_RSRC2:TRAP_HANDLER: 0
; COMPUTE_PGM_RSRC2:TGID_X_EN: 1
; COMPUTE_PGM_RSRC2:TGID_Y_EN: 1
; COMPUTE_PGM_RSRC2:TGID_Z_EN: 0
; COMPUTE_PGM_RSRC2:TIDIG_COMP_CNT: 1
; COMPUTE_PGM_RSRC3_GFX90A:ACCUM_OFFSET: 42
; COMPUTE_PGM_RSRC3_GFX90A:TG_SPLIT: 0
	.section	.text._ZL12mul_mat_q4_1IN3c108BFloat16ELb1EEvPKvS3_PT_iiiii,"axG",@progbits,_ZL12mul_mat_q4_1IN3c108BFloat16ELb1EEvPKvS3_PT_iiiii,comdat
	.globl	_ZL12mul_mat_q4_1IN3c108BFloat16ELb1EEvPKvS3_PT_iiiii ; -- Begin function _ZL12mul_mat_q4_1IN3c108BFloat16ELb1EEvPKvS3_PT_iiiii
	.p2align	8
	.type	_ZL12mul_mat_q4_1IN3c108BFloat16ELb1EEvPKvS3_PT_iiiii,@function
_ZL12mul_mat_q4_1IN3c108BFloat16ELb1EEvPKvS3_PT_iiiii: ; @_ZL12mul_mat_q4_1IN3c108BFloat16ELb1EEvPKvS3_PT_iiiii
; %bb.0:
	s_load_dwordx4 s[8:11], s[4:5], 0x18
	s_load_dword s14, s[4:5], 0x28
	s_lshl_b32 s15, s7, 6
	v_bfe_u32 v57, v0, 10, 10
	s_waitcnt lgkmcnt(0)
	s_cmp_gt_i32 s8, 31
	s_cbranch_scc1 .LBB160_2
; %bb.1:
	v_bfe_u32 v1, v0, 10, 10
	v_and_b32_e32 v53, 0x3ff, v0
	v_add_u32_e32 v69, s15, v1
	s_mov_b64 s[0:1], 0
	s_mov_b32 s2, 0
	s_branch .LBB160_3
.LBB160_2:
	s_mov_b64 s[0:1], -1
                                        ; implicit-def: $sgpr2
                                        ; implicit-def: $vgpr1
                                        ; implicit-def: $vgpr53
                                        ; implicit-def: $vgpr69
.LBB160_3:
	s_load_dwordx2 s[12:13], s[4:5], 0x10
	s_lshl_b32 s6, s6, 7
	s_andn2_b64 vcc, exec, s[0:1]
	v_mov_b32_e32 v9, s2
	v_mov_b32_e32 v17, s2
	v_mov_b32_e32 v25, s2
	v_mov_b32_e32 v33, s2
	v_mov_b32_e32 v41, s2
	v_mov_b32_e32 v49, s2
	v_mov_b32_e32 v63, s2
	v_mov_b32_e32 v73, s2
	v_mov_b32_e32 v11, s2
	v_mov_b32_e32 v19, s2
	v_mov_b32_e32 v27, s2
	v_mov_b32_e32 v35, s2
	v_mov_b32_e32 v43, s2
	v_mov_b32_e32 v51, s2
	v_mov_b32_e32 v65, s2
	v_mov_b32_e32 v75, s2
	v_mov_b32_e32 v13, s2
	v_mov_b32_e32 v21, s2
	v_mov_b32_e32 v29, s2
	v_mov_b32_e32 v37, s2
	v_mov_b32_e32 v45, s2
	v_mov_b32_e32 v55, s2
	v_mov_b32_e32 v67, s2
	v_mov_b32_e32 v79, s2
	v_mov_b32_e32 v15, s2
	v_mov_b32_e32 v23, s2
	v_mov_b32_e32 v31, s2
	v_mov_b32_e32 v39, s2
	v_mov_b32_e32 v47, s2
	v_mov_b32_e32 v59, s2
	v_mov_b32_e32 v71, s2
	v_mov_b32_e32 v61, s2
	s_cbranch_vccnz .LBB160_13
; %bb.4:
	s_load_dwordx4 s[0:3], s[4:5], 0x0
	s_ashr_i32 s4, s8, 31
	s_lshr_b32 s4, s4, 27
	s_ashr_i32 s5, s11, 31
	s_add_i32 s4, s8, s4
	s_lshr_b32 s5, s5, 27
	s_ashr_i32 s4, s4, 5
	s_add_i32 s5, s11, s5
	s_ashr_i32 s8, s5, 5
	s_mul_i32 s5, s4, s6
	s_mul_hi_i32 s7, s5, 20
	s_mul_i32 s5, s5, 20
	s_waitcnt lgkmcnt(0)
	s_add_u32 s0, s0, s5
	s_addc_u32 s1, s1, s7
	s_not_b32 s5, s6
	s_add_i32 s9, s5, s9
	v_and_b32_e32 v53, 0x3ff, v0
	v_lshlrev_b32_e32 v0, 2, v53
	v_min_i32_e32 v1, s9, v57
	s_movk_i32 s7, 0x84
	v_add_u32_e32 v4, 8, v57
	v_mul_lo_u32 v12, v1, s4
	v_mad_u64_u32 v[14:15], s[16:17], v1, s7, v[0:1]
	v_min_i32_e32 v1, s9, v4
	v_add_u32_e32 v5, 16, v57
	v_mul_lo_u32 v16, v1, s4
	v_mad_u64_u32 v[18:19], s[16:17], v1, s7, v[0:1]
	v_min_i32_e32 v1, s9, v5
	;; [unrolled: 4-line block ×7, first 2 shown]
	v_mul_lo_u32 v40, v1, s4
	v_mad_u64_u32 v[42:43], s[16:17], v1, s7, v[0:1]
	v_add_u32_e32 v1, 64, v57
	v_min_i32_e32 v1, s9, v1
	v_mul_lo_u32 v44, v1, s4
	v_mad_u64_u32 v[46:47], s[16:17], v1, s7, v[0:1]
	v_add_u32_e32 v1, 0x48, v57
	v_min_i32_e32 v1, s9, v1
	;; [unrolled: 4-line block ×8, first 2 shown]
	v_lshrrev_b32_e32 v77, 3, v53
	v_mul_lo_u32 v72, v1, s4
	v_mad_u64_u32 v[74:75], s[16:17], v1, s7, v[0:1]
	v_lshl_add_u32 v1, v57, 2, v77
	v_min_i32_e32 v2, s9, v1
	v_ashrrev_i32_e32 v3, 31, v2
	v_lshrrev_b32_e32 v3, 30, v3
	v_and_b32_e32 v76, 7, v53
	v_mul_lo_u32 v78, v2, s4
	v_add_u32_e32 v3, v2, v3
	v_lshlrev_b32_e32 v19, 5, v2
	v_add_u32_e32 v2, 32, v1
	v_and_b32_e32 v3, -4, v3
	v_lshlrev_b32_e32 v15, 2, v76
	s_movk_i32 s11, 0x6200
	v_min_i32_e32 v2, s9, v2
	v_add3_u32 v17, v3, v15, s11
	v_ashrrev_i32_e32 v3, 31, v2
	v_lshrrev_b32_e32 v3, 30, v3
	v_mul_lo_u32 v80, v2, s4
	v_add_u32_e32 v3, v2, v3
	v_lshlrev_b32_e32 v23, 5, v2
	v_add_u32_e32 v2, 64, v1
	v_and_b32_e32 v3, -4, v3
	v_min_i32_e32 v2, s9, v2
	v_add3_u32 v21, v3, v15, s11
	v_ashrrev_i32_e32 v3, 31, v2
	v_add_u32_e32 v1, 0x60, v1
	v_lshrrev_b32_e32 v3, 30, v3
	v_min_i32_e32 v1, s9, v1
	v_mul_lo_u32 v82, v2, s4
	v_add_u32_e32 v3, v2, v3
	v_lshlrev_b32_e32 v27, 5, v2
	v_ashrrev_i32_e32 v2, 31, v1
	v_lshrrev_b32_e32 v8, 2, v53
	v_and_b32_e32 v10, 12, v0
	v_lshrrev_b32_e32 v2, 30, v2
	v_and_b32_e32 v0, 28, v0
	v_mul_lo_u32 v84, v1, s4
	v_add_u32_e32 v2, v1, v2
	v_lshlrev_b32_e32 v29, 5, v1
	v_mov_b32_e32 v1, s3
	v_add_co_u32_e32 v86, vcc, s2, v0
	v_lshl_add_u32 v0, v57, 3, v8
	v_addc_co_u32_e32 v87, vcc, 0, v1, vcc
	v_and_b32_e32 v1, 63, v0
	s_add_i32 s9, s10, -1
	v_or_b32_e32 v33, s15, v1
	v_and_b32_e32 v0, 3, v53
	v_min_i32_e32 v33, s9, v33
	v_mad_u64_u32 v[88:89], s[16:17], v33, s8, v[0:1]
	v_lshlrev_b32_e32 v0, 2, v0
	v_and_b32_e32 v3, -4, v3
	v_and_b32_e32 v2, -4, v2
	v_add_u32_e32 v69, s15, v57
	v_lshl_or_b32 v0, v1, 4, v0
	v_add3_u32 v25, v3, v15, s11
	v_add3_u32 v15, v2, v15, s11
	v_cvt_f64_i32_e32 v[2:3], s9
	v_add_u32_e32 v81, 0x7280, v0
	v_cvt_f64_u32_e32 v[0:1], v69
	v_and_b32_e32 v31, 31, v53
	v_min_f64 v[0:1], v[0:1], v[2:3]
	v_cvt_i32_f64_e32 v0, v[0:1]
	v_lshlrev_b32_e32 v31, 2, v31
	v_lshlrev_b32_e32 v33, 7, v57
	v_mul_lo_u32 v83, s8, v0
	v_or_b32_e32 v0, v33, v31
	v_add_u32_e32 v85, 0x4200, v0
	v_add_u32_e32 v0, 8, v69
	v_cvt_f64_u32_e32 v[0:1], v0
	v_min_f64 v[0:1], v[0:1], v[2:3]
	v_cvt_i32_f64_e32 v0, v[0:1]
	v_mul_lo_u32 v89, s8, v0
	v_lshl_or_b32 v0, v4, 7, v31
	v_add_u32_e32 v92, 0x4200, v0
	v_add_u32_e32 v0, 16, v69
	v_cvt_f64_u32_e32 v[0:1], v0
	v_min_f64 v[0:1], v[0:1], v[2:3]
	v_cvt_i32_f64_e32 v0, v[0:1]
	v_mul_lo_u32 v93, s8, v0
	v_lshl_or_b32 v0, v5, 7, v31
	;; [unrolled: 7-line block ×7, first 2 shown]
	v_add_u32_e32 v104, 0x4200, v0
	v_add_u32_e32 v0, 32, v53
	;; [unrolled: 1-line block ×4, first 2 shown]
	v_lshlrev_b32_e32 v3, 5, v53
	v_lshrrev_b32_e32 v106, 3, v0
	v_and_b32_e32 v2, 0x1fc, v2
	v_and_b32_e32 v1, 0x1fc, v1
	;; [unrolled: 1-line block ×4, first 2 shown]
	v_add_u32_e32 v2, v3, v2
	v_add_u32_e32 v1, v3, v1
	;; [unrolled: 1-line block ×4, first 2 shown]
	v_mov_b32_e32 v4, 0x7280
	s_mov_b32 s5, 0
	v_mov_b32_e32 v61, 0
	v_mul_u32_u24_e32 v105, 0x84, v53
	v_add_u32_e32 v107, 0x6e00, v2
	v_add_u32_e32 v108, 0x6a00, v1
	;; [unrolled: 1-line block ×5, first 2 shown]
	v_lshl_add_u32 v112, v57, 4, v4
	v_add_u32_e32 v113, 0x6e10, v2
	v_add_u32_e32 v114, 0x6a10, v1
	;; [unrolled: 1-line block ×4, first 2 shown]
	v_mad_u32_u24 v117, v53, s7, 64
	v_add_u32_e32 v118, v17, v19
	v_add_u32_e32 v119, v21, v23
	;; [unrolled: 1-line block ×4, first 2 shown]
	v_mov_b32_e32 v71, 0
	v_mov_b32_e32 v59, 0
	;; [unrolled: 1-line block ×31, first 2 shown]
	s_branch .LBB160_6
.LBB160_5:                              ;   in Loop: Header=BB160_6 Depth=1
	s_add_i32 s5, s5, 8
	s_cmp_ge_i32 s5, s4
	s_cbranch_scc1 .LBB160_12
.LBB160_6:                              ; =>This Loop Header: Depth=1
                                        ;     Child Loop BB160_7 Depth 2
                                        ;     Child Loop BB160_10 Depth 2
	s_mul_i32 s8, s5, 20
	s_mul_hi_u32 s7, s5, 20
	s_add_u32 s8, s0, s8
	s_addc_u32 s9, s1, s7
	v_mad_u64_u32 v[0:1], s[16:17], v8, 20, s[8:9]
	v_add_co_u32_e32 v0, vcc, v0, v10
	v_addc_co_u32_e32 v1, vcc, 0, v1, vcc
	v_add_co_u32_e32 v0, vcc, 4, v0
	v_addc_co_u32_e32 v1, vcc, 0, v1, vcc
	v_mad_i64_i32 v[2:3], s[16:17], v12, 20, v[0:1]
	v_mad_i64_i32 v[4:5], s[16:17], v16, 20, v[0:1]
	;; [unrolled: 1-line block ×8, first 2 shown]
	global_load_dword v130, v[2:3], off
	global_load_dword v131, v[4:5], off
	;; [unrolled: 1-line block ×6, first 2 shown]
                                        ; kill: killed $vgpr124_vgpr125
                                        ; kill: killed $vgpr122_vgpr123
	global_load_dword v136, v[126:127], off
	global_load_dword v137, v[128:129], off
	v_mad_i64_i32 v[2:3], s[16:17], v44, 20, v[0:1]
	v_mad_i64_i32 v[4:5], s[16:17], v48, 20, v[0:1]
	;; [unrolled: 1-line block ×8, first 2 shown]
	global_load_dword v138, v[2:3], off
	global_load_dword v139, v[4:5], off
	global_load_dword v140, v[6:7], off
	global_load_dword v141, v[90:91], off
	s_nop 0
	global_load_dword v123, v[122:123], off
	s_nop 0
	global_load_dword v142, v[124:125], off
	global_load_dword v143, v[126:127], off
	;; [unrolled: 1-line block ×3, first 2 shown]
	v_mad_u64_u32 v[0:1], s[8:9], v76, 20, s[8:9]
	v_mad_i64_i32 v[2:3], s[8:9], v78, 20, v[0:1]
	v_mad_i64_i32 v[4:5], s[8:9], v80, 20, v[0:1]
	;; [unrolled: 1-line block ×4, first 2 shown]
	v_add_u32_e32 v128, s5, v77
	global_load_dword v145, v[2:3], off
	global_load_dword v146, v[4:5], off
	;; [unrolled: 1-line block ×4, first 2 shown]
	v_add_u32_e32 v0, v128, v83
	v_add_u32_e32 v2, v128, v89
	;; [unrolled: 1-line block ×5, first 2 shown]
	v_mad_i64_i32 v[0:1], s[8:9], v0, 36, v[86:87]
	v_mad_i64_i32 v[2:3], s[8:9], v2, 36, v[86:87]
	;; [unrolled: 1-line block ×5, first 2 shown]
	v_add_u32_e32 v124, v128, v99
	v_add_u32_e32 v126, v128, v101
	;; [unrolled: 1-line block ×3, first 2 shown]
	v_mad_i64_i32 v[124:125], s[8:9], v124, 36, v[86:87]
	v_mad_i64_i32 v[126:127], s[8:9], v126, 36, v[86:87]
	;; [unrolled: 1-line block ×3, first 2 shown]
	global_load_dword v149, v[0:1], off offset:4
	s_nop 0
	global_load_dword v2, v[2:3], off offset:4
	s_nop 0
	;; [unrolled: 2-line block ×3, first 2 shown]
	global_load_dword v4, v[6:7], off offset:4
	global_load_dword v5, v[90:91], off offset:4
	s_nop 0
	global_load_dword v6, v[124:125], off offset:4
	global_load_dword v7, v[126:127], off offset:4
	;; [unrolled: 1-line block ×3, first 2 shown]
	v_add_u32_e32 v122, s5, v88
	v_mad_u64_u32 v[0:1], s[8:9], v122, 36, s[2:3]
	global_load_dword v0, v[0:1], off
	v_mov_b32_e32 v124, v111
	s_mov_b32 s7, -4
	v_mov_b32_e32 v125, v105
	v_mov_b32_e32 v126, v110
	v_mov_b32_e32 v127, v109
	s_waitcnt vmcnt(28)
	ds_write_b32 v14, v130
	s_waitcnt vmcnt(27)
	ds_write_b32 v18, v131
	;; [unrolled: 2-line block ×29, first 2 shown]
	v_mov_b32_e32 v123, v112
	v_mov_b32_e32 v128, v108
	;; [unrolled: 1-line block ×3, first 2 shown]
	s_waitcnt lgkmcnt(0)
	s_barrier
.LBB160_7:                              ;   Parent Loop BB160_6 Depth=1
                                        ; =>  This Inner Loop Header: Depth=2
	ds_read_b128 v[0:3], v124
	ds_read_b128 v[4:7], v124 offset:16
	ds_read2_b32 v[90:91], v123 offset1:32
	ds_read_b32 v130, v126
	ds_read2_b32 v[134:135], v125 offset1:1
	ds_read2_b32 v[138:139], v125 offset0:2 offset1:3
	v_mov_b32_e32 v140, 0
	v_add_u32_e32 v144, 0x1088, v125
	v_mov_b32_e32 v146, 0
	s_waitcnt lgkmcnt(1)
	v_and_b32_e32 v131, 0xf0f0f0f, v134
	v_lshrrev_b32_e32 v132, 4, v134
	v_and_b32_e32 v132, 0xf0f0f0f, v132
	v_dot4c_i32_i8_e32 v140, v131, v0
	v_dot4c_i32_i8_e32 v140, v132, v4
	v_and_b32_e32 v133, 0xf0f0f0f, v135
	v_lshrrev_b32_e32 v134, 4, v135
	v_and_b32_e32 v134, 0xf0f0f0f, v134
	v_dot4c_i32_i8_e32 v140, v133, v1
	v_dot4c_i32_i8_e32 v140, v134, v5
	s_waitcnt lgkmcnt(0)
	v_and_b32_e32 v135, 0xf0f0f0f, v138
	v_lshrrev_b32_e32 v136, 4, v138
	v_and_b32_e32 v136, 0xf0f0f0f, v136
	v_dot4c_i32_i8_e32 v140, v135, v2
	v_dot4c_i32_i8_e32 v140, v136, v6
	v_and_b32_e32 v137, 0xf0f0f0f, v139
	v_lshrrev_b32_e32 v138, 4, v139
	v_and_b32_e32 v138, 0xf0f0f0f, v138
	v_dot4c_i32_i8_e32 v140, v137, v3
	v_dot4c_i32_i8_e32 v140, v138, v7
	v_pk_mul_f16 v139, v90, v130
	v_mov_b32_e32 v158, 0
	v_mov_b32_e32 v162, 0
	v_cvt_f32_i32_e32 v140, v140
	s_add_i32 s7, s7, 4
	v_add_u32_e32 v126, 4, v126
	s_cmp_lt_u32 s7, 12
	v_fma_mix_f32 v139, v139, v140, v139 op_sel:[0,0,1] op_sel_hi:[1,0,1]
	v_add_f32_e32 v61, v61, v139
	v_add_u32_e32 v140, 0x1080, v125
	ds_read_b32 v139, v127
	ds_read2_b32 v[142:143], v140 offset1:1
	ds_read2_b32 v[148:149], v144 offset1:1
	v_add_u32_e32 v127, 4, v127
	s_waitcnt lgkmcnt(1)
	v_and_b32_e32 v140, 0xf0f0f0f, v142
	v_lshrrev_b32_e32 v141, 4, v142
	v_and_b32_e32 v141, 0xf0f0f0f, v141
	v_dot4c_i32_i8_e32 v146, v140, v0
	v_dot4c_i32_i8_e32 v146, v141, v4
	v_and_b32_e32 v142, 0xf0f0f0f, v143
	v_lshrrev_b32_e32 v143, 4, v143
	v_and_b32_e32 v143, 0xf0f0f0f, v143
	v_dot4c_i32_i8_e32 v146, v142, v1
	v_dot4c_i32_i8_e32 v146, v143, v5
	s_waitcnt lgkmcnt(0)
	v_and_b32_e32 v144, 0xf0f0f0f, v148
	v_lshrrev_b32_e32 v145, 4, v148
	v_and_b32_e32 v145, 0xf0f0f0f, v145
	v_dot4c_i32_i8_e32 v146, v144, v2
	v_dot4c_i32_i8_e32 v146, v145, v6
	v_and_b32_e32 v147, 0xf0f0f0f, v149
	v_lshrrev_b32_e32 v148, 4, v149
	v_and_b32_e32 v148, 0xf0f0f0f, v148
	v_dot4c_i32_i8_e32 v146, v147, v3
	v_dot4c_i32_i8_e32 v146, v148, v7
	v_pk_mul_f16 v149, v90, v139
	s_nop 1
	v_cvt_f32_i32_e32 v146, v146
	v_fma_mix_f32 v146, v149, v146, v149 op_sel:[0,0,1] op_sel_hi:[1,0,1]
	v_add_f32_e32 v79, v79, v146
	v_add_u32_e32 v149, 0x2100, v125
	ds_read_b32 v146, v128
	ds_read2_b32 v[152:153], v149 offset1:1
	v_add_u32_e32 v128, 4, v128
	s_waitcnt lgkmcnt(0)
	v_and_b32_e32 v149, 0xf0f0f0f, v152
	v_lshrrev_b32_e32 v150, 4, v152
	v_and_b32_e32 v151, 0xf0f0f0f, v153
	v_lshrrev_b32_e32 v152, 4, v153
	v_add_u32_e32 v153, 0x2108, v125
	ds_read2_b32 v[154:155], v153 offset1:1
	v_and_b32_e32 v150, 0xf0f0f0f, v150
	v_dot4c_i32_i8_e32 v158, v149, v0
	v_dot4c_i32_i8_e32 v158, v150, v4
	v_and_b32_e32 v152, 0xf0f0f0f, v152
	v_dot4c_i32_i8_e32 v158, v151, v1
	v_dot4c_i32_i8_e32 v158, v152, v5
	s_waitcnt lgkmcnt(0)
	v_and_b32_e32 v153, 0xf0f0f0f, v154
	v_lshrrev_b32_e32 v154, 4, v154
	v_and_b32_e32 v154, 0xf0f0f0f, v154
	v_dot4c_i32_i8_e32 v158, v153, v2
	v_dot4c_i32_i8_e32 v158, v154, v6
	v_and_b32_e32 v156, 0xf0f0f0f, v155
	v_lshrrev_b32_e32 v155, 4, v155
	v_and_b32_e32 v157, 0xf0f0f0f, v155
	v_dot4c_i32_i8_e32 v158, v156, v3
	v_dot4c_i32_i8_e32 v158, v157, v7
	v_pk_mul_f16 v155, v90, v146
	s_nop 1
	v_cvt_f32_i32_e32 v158, v158
	v_fma_mix_f32 v155, v155, v158, v155 op_sel:[0,0,1] op_sel_hi:[1,0,1]
	v_add_f32_e32 v75, v75, v155
	v_add_u32_e32 v158, 0x3180, v125
	ds_read_b32 v155, v129
	ds_read2_b32 v[160:161], v158 offset1:1
	v_add_u32_e32 v129, 4, v129
	s_waitcnt lgkmcnt(0)
	v_and_b32_e32 v158, 0xf0f0f0f, v160
	v_lshrrev_b32_e32 v159, 4, v160
	v_and_b32_e32 v159, 0xf0f0f0f, v159
	v_dot4c_i32_i8_e32 v162, v158, v0
	v_lshrrev_b32_e32 v0, 4, v161
	v_dot4c_i32_i8_e32 v162, v159, v4
	v_and_b32_e32 v4, 0xf0f0f0f, v161
	v_and_b32_e32 v160, 0xf0f0f0f, v0
	v_add_u32_e32 v0, 0x3188, v125
	v_dot4c_i32_i8_e32 v162, v4, v1
	ds_read2_b32 v[0:1], v0 offset1:1
	v_dot4c_i32_i8_e32 v162, v160, v5
	v_add_u32_e32 v125, 16, v125
	s_waitcnt lgkmcnt(0)
	v_and_b32_e32 v5, 0xf0f0f0f, v0
	v_lshrrev_b32_e32 v0, 4, v0
	v_and_b32_e32 v161, 0xf0f0f0f, v0
	v_dot4c_i32_i8_e32 v162, v5, v2
	v_dot4c_i32_i8_e32 v162, v161, v6
	v_and_b32_e32 v2, 0xf0f0f0f, v1
	v_lshrrev_b32_e32 v0, 4, v1
	v_and_b32_e32 v6, 0xf0f0f0f, v0
	v_dot4c_i32_i8_e32 v162, v2, v3
	v_dot4c_i32_i8_e32 v162, v6, v7
	v_pk_mul_f16 v0, v90, v155
	v_mov_b32_e32 v3, 0
	s_nop 0
	v_cvt_f32_i32_e32 v1, v162
	ds_read_b128 v[162:165], v124 offset:1024
	ds_read_b128 v[166:169], v124 offset:1040
	v_fma_mix_f32 v0, v0, v1, v0 op_sel:[0,0,1] op_sel_hi:[1,0,1]
	v_add_f32_e32 v73, v73, v0
	v_mov_b32_e32 v0, 0
	s_waitcnt lgkmcnt(1)
	v_dot4c_i32_i8_e32 v0, v131, v162
	s_waitcnt lgkmcnt(0)
	v_dot4c_i32_i8_e32 v0, v132, v166
	v_dot4c_i32_i8_e32 v0, v133, v163
	v_dot4c_i32_i8_e32 v0, v134, v167
	v_dot4c_i32_i8_e32 v0, v135, v164
	v_dot4c_i32_i8_e32 v0, v136, v168
	v_dot4c_i32_i8_e32 v0, v137, v165
	v_dot4c_i32_i8_e32 v0, v138, v169
	v_pk_mul_f16 v1, v130, v91
	s_nop 1
	v_cvt_f32_i32_e32 v0, v0
	v_fma_mix_f32 v0, v0, v1, v1 op_sel:[0,0,1] op_sel_hi:[0,1,1]
	v_add_f32_e32 v71, v71, v0
	v_mov_b32_e32 v0, 0
	v_dot4c_i32_i8_e32 v0, v140, v162
	v_dot4c_i32_i8_e32 v0, v141, v166
	v_dot4c_i32_i8_e32 v0, v142, v163
	v_dot4c_i32_i8_e32 v0, v143, v167
	v_dot4c_i32_i8_e32 v0, v144, v164
	v_dot4c_i32_i8_e32 v0, v145, v168
	v_dot4c_i32_i8_e32 v0, v147, v165
	v_dot4c_i32_i8_e32 v0, v148, v169
	v_pk_mul_f16 v1, v139, v91
	s_nop 1
	v_cvt_f32_i32_e32 v0, v0
	v_fma_mix_f32 v0, v0, v1, v1 op_sel:[0,0,1] op_sel_hi:[0,1,1]
	v_add_f32_e32 v67, v67, v0
	v_mov_b32_e32 v0, 0
	v_dot4c_i32_i8_e32 v0, v149, v162
	;; [unrolled: 14-line block ×3, first 2 shown]
	v_dot4c_i32_i8_e32 v0, v159, v166
	v_dot4c_i32_i8_e32 v0, v4, v163
	;; [unrolled: 1-line block ×7, first 2 shown]
	v_pk_mul_f16 v1, v155, v91
	s_nop 1
	v_cvt_f32_i32_e32 v0, v0
	v_fma_mix_f32 v0, v0, v1, v1 op_sel:[0,0,1] op_sel_hi:[0,1,1]
	v_add_f32_e32 v63, v63, v0
	ds_read_b128 v[162:165], v124 offset:2048
	ds_read_b128 v[166:169], v124 offset:2064
	ds_read2_b32 v[0:1], v123 offset0:64 offset1:96
	s_waitcnt lgkmcnt(2)
	v_dot4c_i32_i8_e32 v3, v131, v162
	s_waitcnt lgkmcnt(1)
	v_dot4c_i32_i8_e32 v3, v132, v166
	v_dot4c_i32_i8_e32 v3, v133, v163
	;; [unrolled: 1-line block ×7, first 2 shown]
	s_waitcnt lgkmcnt(0)
	v_pk_mul_f16 v7, v130, v0
	s_nop 0
	v_cvt_f32_i32_e32 v3, v3
	v_fma_mix_f32 v3, v3, v7, v7 op_sel:[0,0,1] op_sel_hi:[0,1,1]
	v_add_f32_e32 v59, v59, v3
	v_mov_b32_e32 v3, 0
	v_dot4c_i32_i8_e32 v3, v140, v162
	v_dot4c_i32_i8_e32 v3, v141, v166
	;; [unrolled: 1-line block ×8, first 2 shown]
	v_pk_mul_f16 v7, v139, v0
	s_nop 1
	v_cvt_f32_i32_e32 v3, v3
	v_fma_mix_f32 v3, v3, v7, v7 op_sel:[0,0,1] op_sel_hi:[0,1,1]
	v_add_f32_e32 v55, v55, v3
	v_mov_b32_e32 v3, 0
	v_dot4c_i32_i8_e32 v3, v149, v162
	v_dot4c_i32_i8_e32 v3, v150, v166
	;; [unrolled: 1-line block ×8, first 2 shown]
	v_pk_mul_f16 v7, v146, v0
	v_pk_mul_f16 v0, v155, v0
	s_nop 0
	v_cvt_f32_i32_e32 v3, v3
	v_fma_mix_f32 v3, v3, v7, v7 op_sel:[0,0,1] op_sel_hi:[0,1,1]
	v_add_f32_e32 v51, v51, v3
	v_mov_b32_e32 v3, 0
	v_dot4c_i32_i8_e32 v3, v158, v162
	v_dot4c_i32_i8_e32 v3, v159, v166
	;; [unrolled: 1-line block ×8, first 2 shown]
	ds_read_b128 v[162:165], v124 offset:3072
	ds_read_b128 v[166:169], v124 offset:3088
	s_nop 0
	v_cvt_f32_i32_e32 v3, v3
	v_fma_mix_f32 v0, v3, v0, v0 op_sel:[0,0,1] op_sel_hi:[0,1,1]
	v_add_f32_e32 v49, v49, v0
	v_mov_b32_e32 v0, 0
	s_waitcnt lgkmcnt(1)
	v_dot4c_i32_i8_e32 v0, v131, v162
	s_waitcnt lgkmcnt(0)
	v_dot4c_i32_i8_e32 v0, v132, v166
	v_dot4c_i32_i8_e32 v0, v133, v163
	;; [unrolled: 1-line block ×7, first 2 shown]
	v_pk_mul_f16 v3, v130, v1
	s_nop 1
	v_cvt_f32_i32_e32 v0, v0
	v_fma_mix_f32 v0, v0, v3, v3 op_sel:[0,0,1] op_sel_hi:[0,1,1]
	v_add_f32_e32 v47, v47, v0
	v_mov_b32_e32 v0, 0
	v_dot4c_i32_i8_e32 v0, v140, v162
	v_dot4c_i32_i8_e32 v0, v141, v166
	;; [unrolled: 1-line block ×8, first 2 shown]
	v_pk_mul_f16 v3, v139, v1
	s_nop 1
	v_cvt_f32_i32_e32 v0, v0
	v_fma_mix_f32 v0, v0, v3, v3 op_sel:[0,0,1] op_sel_hi:[0,1,1]
	v_add_f32_e32 v45, v45, v0
	v_mov_b32_e32 v0, 0
	v_dot4c_i32_i8_e32 v0, v149, v162
	v_dot4c_i32_i8_e32 v0, v150, v166
	;; [unrolled: 1-line block ×8, first 2 shown]
	v_pk_mul_f16 v3, v146, v1
	v_pk_mul_f16 v1, v155, v1
	s_nop 0
	v_cvt_f32_i32_e32 v0, v0
	v_fma_mix_f32 v0, v0, v3, v3 op_sel:[0,0,1] op_sel_hi:[0,1,1]
	v_add_f32_e32 v43, v43, v0
	v_mov_b32_e32 v0, 0
	v_dot4c_i32_i8_e32 v0, v158, v162
	v_dot4c_i32_i8_e32 v0, v159, v166
	;; [unrolled: 1-line block ×8, first 2 shown]
	v_mov_b32_e32 v3, 0
	s_nop 1
	v_cvt_f32_i32_e32 v0, v0
	v_fma_mix_f32 v0, v0, v1, v1 op_sel:[0,0,1] op_sel_hi:[0,1,1]
	v_add_f32_e32 v41, v41, v0
	ds_read_b128 v[162:165], v124 offset:4096
	ds_read_b128 v[166:169], v124 offset:4112
	ds_read2_b32 v[0:1], v123 offset0:128 offset1:160
	s_waitcnt lgkmcnt(2)
	v_dot4c_i32_i8_e32 v3, v131, v162
	s_waitcnt lgkmcnt(1)
	v_dot4c_i32_i8_e32 v3, v132, v166
	v_dot4c_i32_i8_e32 v3, v133, v163
	;; [unrolled: 1-line block ×7, first 2 shown]
	s_waitcnt lgkmcnt(0)
	v_pk_mul_f16 v7, v130, v0
	s_nop 0
	v_cvt_f32_i32_e32 v3, v3
	v_fma_mix_f32 v3, v3, v7, v7 op_sel:[0,0,1] op_sel_hi:[0,1,1]
	v_add_f32_e32 v39, v39, v3
	v_mov_b32_e32 v3, 0
	v_dot4c_i32_i8_e32 v3, v140, v162
	v_dot4c_i32_i8_e32 v3, v141, v166
	;; [unrolled: 1-line block ×8, first 2 shown]
	v_pk_mul_f16 v7, v139, v0
	s_nop 1
	v_cvt_f32_i32_e32 v3, v3
	v_fma_mix_f32 v3, v3, v7, v7 op_sel:[0,0,1] op_sel_hi:[0,1,1]
	v_add_f32_e32 v37, v37, v3
	v_mov_b32_e32 v3, 0
	v_dot4c_i32_i8_e32 v3, v149, v162
	v_dot4c_i32_i8_e32 v3, v150, v166
	;; [unrolled: 1-line block ×8, first 2 shown]
	v_pk_mul_f16 v7, v146, v0
	v_pk_mul_f16 v0, v155, v0
	s_nop 0
	v_cvt_f32_i32_e32 v3, v3
	v_fma_mix_f32 v3, v3, v7, v7 op_sel:[0,0,1] op_sel_hi:[0,1,1]
	v_add_f32_e32 v35, v35, v3
	v_mov_b32_e32 v3, 0
	v_dot4c_i32_i8_e32 v3, v158, v162
	v_dot4c_i32_i8_e32 v3, v159, v166
	;; [unrolled: 1-line block ×8, first 2 shown]
	ds_read_b128 v[162:165], v124 offset:5120
	ds_read_b128 v[166:169], v124 offset:5136
	s_nop 0
	v_cvt_f32_i32_e32 v3, v3
	v_fma_mix_f32 v0, v3, v0, v0 op_sel:[0,0,1] op_sel_hi:[0,1,1]
	v_add_f32_e32 v33, v33, v0
	v_mov_b32_e32 v0, 0
	s_waitcnt lgkmcnt(1)
	v_dot4c_i32_i8_e32 v0, v131, v162
	s_waitcnt lgkmcnt(0)
	v_dot4c_i32_i8_e32 v0, v132, v166
	v_dot4c_i32_i8_e32 v0, v133, v163
	;; [unrolled: 1-line block ×7, first 2 shown]
	v_pk_mul_f16 v3, v130, v1
	s_nop 1
	v_cvt_f32_i32_e32 v0, v0
	v_fma_mix_f32 v0, v0, v3, v3 op_sel:[0,0,1] op_sel_hi:[0,1,1]
	v_add_f32_e32 v31, v31, v0
	v_mov_b32_e32 v0, 0
	v_dot4c_i32_i8_e32 v0, v140, v162
	v_dot4c_i32_i8_e32 v0, v141, v166
	;; [unrolled: 1-line block ×8, first 2 shown]
	v_pk_mul_f16 v3, v139, v1
	s_nop 1
	v_cvt_f32_i32_e32 v0, v0
	v_fma_mix_f32 v0, v0, v3, v3 op_sel:[0,0,1] op_sel_hi:[0,1,1]
	v_add_f32_e32 v29, v29, v0
	v_mov_b32_e32 v0, 0
	v_dot4c_i32_i8_e32 v0, v149, v162
	v_dot4c_i32_i8_e32 v0, v150, v166
	;; [unrolled: 1-line block ×8, first 2 shown]
	v_pk_mul_f16 v3, v146, v1
	v_pk_mul_f16 v1, v155, v1
	s_nop 0
	v_cvt_f32_i32_e32 v0, v0
	v_fma_mix_f32 v0, v0, v3, v3 op_sel:[0,0,1] op_sel_hi:[0,1,1]
	v_add_f32_e32 v27, v27, v0
	v_mov_b32_e32 v0, 0
	v_dot4c_i32_i8_e32 v0, v158, v162
	v_dot4c_i32_i8_e32 v0, v159, v166
	;; [unrolled: 1-line block ×8, first 2 shown]
	v_mov_b32_e32 v3, 0
	s_nop 1
	v_cvt_f32_i32_e32 v0, v0
	v_fma_mix_f32 v0, v0, v1, v1 op_sel:[0,0,1] op_sel_hi:[0,1,1]
	v_add_f32_e32 v25, v25, v0
	ds_read_b128 v[162:165], v124 offset:6144
	ds_read_b128 v[166:169], v124 offset:6160
	ds_read2_b32 v[0:1], v123 offset0:192 offset1:224
	v_add_u32_e32 v123, 4, v123
	s_waitcnt lgkmcnt(2)
	v_dot4c_i32_i8_e32 v3, v131, v162
	s_waitcnt lgkmcnt(1)
	v_dot4c_i32_i8_e32 v3, v132, v166
	v_dot4c_i32_i8_e32 v3, v133, v163
	v_dot4c_i32_i8_e32 v3, v134, v167
	v_dot4c_i32_i8_e32 v3, v135, v164
	v_dot4c_i32_i8_e32 v3, v136, v168
	v_dot4c_i32_i8_e32 v3, v137, v165
	v_dot4c_i32_i8_e32 v3, v138, v169
	s_waitcnt lgkmcnt(0)
	v_pk_mul_f16 v7, v130, v0
	s_nop 0
	v_cvt_f32_i32_e32 v3, v3
	v_fma_mix_f32 v3, v3, v7, v7 op_sel:[0,0,1] op_sel_hi:[0,1,1]
	v_add_f32_e32 v23, v23, v3
	v_mov_b32_e32 v3, 0
	v_dot4c_i32_i8_e32 v3, v140, v162
	v_dot4c_i32_i8_e32 v3, v141, v166
	;; [unrolled: 1-line block ×8, first 2 shown]
	v_pk_mul_f16 v7, v139, v0
	s_nop 1
	v_cvt_f32_i32_e32 v3, v3
	v_fma_mix_f32 v3, v3, v7, v7 op_sel:[0,0,1] op_sel_hi:[0,1,1]
	v_add_f32_e32 v21, v21, v3
	v_mov_b32_e32 v3, 0
	v_dot4c_i32_i8_e32 v3, v149, v162
	v_dot4c_i32_i8_e32 v3, v150, v166
	;; [unrolled: 1-line block ×8, first 2 shown]
	v_pk_mul_f16 v7, v146, v0
	v_pk_mul_f16 v0, v155, v0
	s_nop 0
	v_cvt_f32_i32_e32 v3, v3
	v_fma_mix_f32 v3, v3, v7, v7 op_sel:[0,0,1] op_sel_hi:[0,1,1]
	v_add_f32_e32 v19, v19, v3
	v_mov_b32_e32 v3, 0
	v_dot4c_i32_i8_e32 v3, v158, v162
	v_dot4c_i32_i8_e32 v3, v159, v166
	;; [unrolled: 1-line block ×8, first 2 shown]
	ds_read_b128 v[162:165], v124 offset:7168
	ds_read_b128 v[166:169], v124 offset:7184
	v_add_u32_e32 v124, 32, v124
	v_cvt_f32_i32_e32 v3, v3
	v_fma_mix_f32 v0, v3, v0, v0 op_sel:[0,0,1] op_sel_hi:[0,1,1]
	v_add_f32_e32 v17, v17, v0
	v_mov_b32_e32 v0, 0
	s_waitcnt lgkmcnt(1)
	v_dot4c_i32_i8_e32 v0, v131, v162
	s_waitcnt lgkmcnt(0)
	v_dot4c_i32_i8_e32 v0, v132, v166
	v_dot4c_i32_i8_e32 v0, v133, v163
	;; [unrolled: 1-line block ×7, first 2 shown]
	v_pk_mul_f16 v3, v130, v1
	s_nop 1
	v_cvt_f32_i32_e32 v0, v0
	v_fma_mix_f32 v0, v0, v3, v3 op_sel:[0,0,1] op_sel_hi:[0,1,1]
	v_add_f32_e32 v15, v15, v0
	v_mov_b32_e32 v0, 0
	v_dot4c_i32_i8_e32 v0, v140, v162
	v_dot4c_i32_i8_e32 v0, v141, v166
	;; [unrolled: 1-line block ×8, first 2 shown]
	v_pk_mul_f16 v3, v139, v1
	s_nop 1
	v_cvt_f32_i32_e32 v0, v0
	v_fma_mix_f32 v0, v0, v3, v3 op_sel:[0,0,1] op_sel_hi:[0,1,1]
	v_add_f32_e32 v13, v13, v0
	v_mov_b32_e32 v0, 0
	v_dot4c_i32_i8_e32 v0, v149, v162
	v_dot4c_i32_i8_e32 v0, v150, v166
	;; [unrolled: 1-line block ×8, first 2 shown]
	v_pk_mul_f16 v3, v146, v1
	v_pk_mul_f16 v1, v155, v1
	s_nop 0
	v_cvt_f32_i32_e32 v0, v0
	v_fma_mix_f32 v0, v0, v3, v3 op_sel:[0,0,1] op_sel_hi:[0,1,1]
	v_add_f32_e32 v11, v11, v0
	v_mov_b32_e32 v0, 0
	v_dot4c_i32_i8_e32 v0, v158, v162
	v_dot4c_i32_i8_e32 v0, v159, v166
	;; [unrolled: 1-line block ×8, first 2 shown]
	s_nop 2
	v_cvt_f32_i32_e32 v0, v0
	v_fma_mix_f32 v0, v0, v1, v1 op_sel:[0,0,1] op_sel_hi:[0,1,1]
	v_add_f32_e32 v9, v9, v0
	s_cbranch_scc1 .LBB160_7
; %bb.8:                                ;   in Loop: Header=BB160_6 Depth=1
	s_or_b32 s7, s5, 4
	s_cmp_ge_i32 s7, s4
	s_barrier
	s_cbranch_scc1 .LBB160_5
; %bb.9:                                ;   in Loop: Header=BB160_6 Depth=1
	v_add_u32_e32 v123, s5, v106
	v_add_u32_e32 v0, v123, v83
	;; [unrolled: 1-line block ×6, first 2 shown]
	v_mad_i64_i32 v[0:1], s[8:9], v0, 36, v[86:87]
	v_mad_i64_i32 v[2:3], s[8:9], v2, 36, v[86:87]
	;; [unrolled: 1-line block ×5, first 2 shown]
	v_add_u32_e32 v124, v123, v99
	v_add_u32_e32 v126, v123, v101
	;; [unrolled: 1-line block ×3, first 2 shown]
	v_mad_i64_i32 v[124:125], s[8:9], v124, 36, v[86:87]
	v_mad_i64_i32 v[126:127], s[8:9], v126, 36, v[86:87]
	;; [unrolled: 1-line block ×3, first 2 shown]
	global_load_dword v130, v[0:1], off offset:4
	s_nop 0
	global_load_dword v2, v[2:3], off offset:4
	s_nop 0
	;; [unrolled: 2-line block ×3, first 2 shown]
	global_load_dword v4, v[6:7], off offset:4
	global_load_dword v5, v[90:91], off offset:4
                                        ; kill: killed $vgpr90_vgpr91
                                        ; kill: killed $vgpr6_vgpr7
	s_nop 0
	global_load_dword v6, v[124:125], off offset:4
	global_load_dword v7, v[126:127], off offset:4
	;; [unrolled: 1-line block ×3, first 2 shown]
	v_add_u32_e32 v0, 4, v122
	v_mad_u64_u32 v[0:1], s[8:9], v0, 36, s[2:3]
	global_load_dword v0, v[0:1], off
	s_mov_b32 s7, 12
	v_mov_b32_e32 v122, v112
	v_mov_b32_e32 v123, v111
	;; [unrolled: 1-line block ×7, first 2 shown]
	s_waitcnt vmcnt(8)
	ds_write_b32 v85, v130
	s_waitcnt vmcnt(7)
	ds_write_b32 v92, v2
	;; [unrolled: 2-line block ×9, first 2 shown]
	s_waitcnt lgkmcnt(0)
	s_barrier
.LBB160_10:                             ;   Parent Loop BB160_6 Depth=1
                                        ; =>  This Inner Loop Header: Depth=2
	ds_read_b128 v[0:3], v123
	ds_read_b128 v[4:7], v123 offset:16
	ds_read2_b32 v[90:91], v122 offset1:32
	ds_read_b32 v129, v125
	ds_read2_b32 v[132:133], v124 offset1:1
	ds_read2_b32 v[136:137], v124 offset0:2 offset1:3
	v_mov_b32_e32 v138, 0
	v_mov_b32_e32 v148, 0
	s_waitcnt lgkmcnt(2)
	v_pk_mul_f16 v139, v90, v129
	s_waitcnt lgkmcnt(1)
	v_and_b32_e32 v130, 0xf0f0f0f, v132
	v_lshrrev_b32_e32 v131, 4, v132
	v_and_b32_e32 v131, 0xf0f0f0f, v131
	v_dot4c_i32_i8_e32 v138, v130, v0
	v_dot4c_i32_i8_e32 v138, v131, v4
	v_and_b32_e32 v132, 0xf0f0f0f, v133
	v_lshrrev_b32_e32 v133, 4, v133
	v_and_b32_e32 v133, 0xf0f0f0f, v133
	v_dot4c_i32_i8_e32 v138, v132, v1
	v_dot4c_i32_i8_e32 v138, v133, v5
	s_waitcnt lgkmcnt(0)
	v_and_b32_e32 v134, 0xf0f0f0f, v136
	v_lshrrev_b32_e32 v135, 4, v136
	v_and_b32_e32 v135, 0xf0f0f0f, v135
	v_dot4c_i32_i8_e32 v138, v134, v2
	v_dot4c_i32_i8_e32 v138, v135, v6
	v_and_b32_e32 v136, 0xf0f0f0f, v137
	v_lshrrev_b32_e32 v137, 4, v137
	v_and_b32_e32 v137, 0xf0f0f0f, v137
	v_dot4c_i32_i8_e32 v138, v136, v3
	v_dot4c_i32_i8_e32 v138, v137, v7
	v_add_u32_e32 v152, 0x2108, v124
	v_mov_b32_e32 v154, 0
	v_mov_b32_e32 v161, 0
	v_cvt_f32_i32_e32 v138, v138
	s_add_i32 s7, s7, 4
	v_add_u32_e32 v125, 4, v125
	s_cmp_lt_u32 s7, 28
	v_fma_mix_f32 v138, v139, v138, v139 op_sel:[0,0,1] op_sel_hi:[1,0,1]
	v_add_f32_e32 v61, v61, v138
	v_add_u32_e32 v139, 0x1080, v124
	ds_read_b32 v138, v126
	ds_read2_b32 v[142:143], v139 offset1:1
	v_add_u32_e32 v126, 4, v126
	s_waitcnt lgkmcnt(0)
	v_and_b32_e32 v139, 0xf0f0f0f, v142
	v_lshrrev_b32_e32 v140, 4, v142
	v_and_b32_e32 v141, 0xf0f0f0f, v143
	v_lshrrev_b32_e32 v142, 4, v143
	v_add_u32_e32 v143, 0x1088, v124
	ds_read2_b32 v[144:145], v143 offset1:1
	v_and_b32_e32 v140, 0xf0f0f0f, v140
	v_dot4c_i32_i8_e32 v148, v139, v0
	v_dot4c_i32_i8_e32 v148, v140, v4
	v_and_b32_e32 v142, 0xf0f0f0f, v142
	v_dot4c_i32_i8_e32 v148, v141, v1
	v_dot4c_i32_i8_e32 v148, v142, v5
	s_waitcnt lgkmcnt(0)
	v_and_b32_e32 v143, 0xf0f0f0f, v144
	v_lshrrev_b32_e32 v144, 4, v144
	v_and_b32_e32 v144, 0xf0f0f0f, v144
	v_dot4c_i32_i8_e32 v148, v143, v2
	v_dot4c_i32_i8_e32 v148, v144, v6
	v_and_b32_e32 v146, 0xf0f0f0f, v145
	v_lshrrev_b32_e32 v145, 4, v145
	v_and_b32_e32 v147, 0xf0f0f0f, v145
	v_dot4c_i32_i8_e32 v148, v146, v3
	v_dot4c_i32_i8_e32 v148, v147, v7
	v_pk_mul_f16 v145, v90, v138
	s_nop 1
	v_cvt_f32_i32_e32 v148, v148
	v_fma_mix_f32 v145, v145, v148, v145 op_sel:[0,0,1] op_sel_hi:[1,0,1]
	v_add_f32_e32 v79, v79, v145
	v_add_u32_e32 v148, 0x2100, v124
	ds_read_b32 v145, v127
	ds_read2_b32 v[150:151], v148 offset1:1
	ds_read2_b32 v[156:157], v152 offset1:1
	v_add_u32_e32 v127, 4, v127
	s_waitcnt lgkmcnt(1)
	v_and_b32_e32 v148, 0xf0f0f0f, v150
	v_lshrrev_b32_e32 v149, 4, v150
	v_and_b32_e32 v149, 0xf0f0f0f, v149
	v_dot4c_i32_i8_e32 v154, v148, v0
	v_dot4c_i32_i8_e32 v154, v149, v4
	v_and_b32_e32 v150, 0xf0f0f0f, v151
	v_lshrrev_b32_e32 v151, 4, v151
	v_and_b32_e32 v151, 0xf0f0f0f, v151
	v_dot4c_i32_i8_e32 v154, v150, v1
	v_dot4c_i32_i8_e32 v154, v151, v5
	s_waitcnt lgkmcnt(0)
	v_and_b32_e32 v152, 0xf0f0f0f, v156
	v_lshrrev_b32_e32 v153, 4, v156
	v_and_b32_e32 v153, 0xf0f0f0f, v153
	v_dot4c_i32_i8_e32 v154, v152, v2
	v_dot4c_i32_i8_e32 v154, v153, v6
	v_and_b32_e32 v155, 0xf0f0f0f, v157
	v_lshrrev_b32_e32 v156, 4, v157
	v_and_b32_e32 v156, 0xf0f0f0f, v156
	v_dot4c_i32_i8_e32 v154, v155, v3
	v_dot4c_i32_i8_e32 v154, v156, v7
	v_pk_mul_f16 v157, v90, v145
	s_nop 1
	v_cvt_f32_i32_e32 v154, v154
	v_fma_mix_f32 v154, v157, v154, v157 op_sel:[0,0,1] op_sel_hi:[1,0,1]
	v_add_f32_e32 v75, v75, v154
	v_add_u32_e32 v157, 0x3180, v124
	ds_read_b32 v154, v128
	ds_read2_b32 v[158:159], v157 offset1:1
	v_add_u32_e32 v128, 4, v128
	s_waitcnt lgkmcnt(0)
	v_and_b32_e32 v157, 0xf0f0f0f, v158
	v_lshrrev_b32_e32 v158, 4, v158
	v_and_b32_e32 v158, 0xf0f0f0f, v158
	v_dot4c_i32_i8_e32 v161, v157, v0
	v_lshrrev_b32_e32 v0, 4, v159
	v_dot4c_i32_i8_e32 v161, v158, v4
	v_and_b32_e32 v4, 0xf0f0f0f, v159
	v_and_b32_e32 v159, 0xf0f0f0f, v0
	v_add_u32_e32 v0, 0x3188, v124
	v_dot4c_i32_i8_e32 v161, v4, v1
	ds_read2_b32 v[0:1], v0 offset1:1
	v_dot4c_i32_i8_e32 v161, v159, v5
	ds_read_b128 v[162:165], v123 offset:1024
	ds_read_b128 v[166:169], v123 offset:1040
	v_add_u32_e32 v124, 16, v124
	s_waitcnt lgkmcnt(2)
	v_and_b32_e32 v5, 0xf0f0f0f, v0
	v_lshrrev_b32_e32 v0, 4, v0
	v_and_b32_e32 v160, 0xf0f0f0f, v0
	v_dot4c_i32_i8_e32 v161, v5, v2
	v_dot4c_i32_i8_e32 v161, v160, v6
	v_and_b32_e32 v2, 0xf0f0f0f, v1
	v_lshrrev_b32_e32 v0, 4, v1
	v_and_b32_e32 v6, 0xf0f0f0f, v0
	v_dot4c_i32_i8_e32 v161, v2, v3
	v_dot4c_i32_i8_e32 v161, v6, v7
	v_pk_mul_f16 v0, v90, v154
	v_mov_b32_e32 v3, 0
	s_nop 0
	v_cvt_f32_i32_e32 v1, v161
	v_fma_mix_f32 v0, v0, v1, v0 op_sel:[0,0,1] op_sel_hi:[1,0,1]
	v_add_f32_e32 v73, v73, v0
	v_mov_b32_e32 v0, 0
	s_waitcnt lgkmcnt(1)
	v_dot4c_i32_i8_e32 v0, v130, v162
	s_waitcnt lgkmcnt(0)
	v_dot4c_i32_i8_e32 v0, v131, v166
	v_dot4c_i32_i8_e32 v0, v132, v163
	v_dot4c_i32_i8_e32 v0, v133, v167
	v_dot4c_i32_i8_e32 v0, v134, v164
	v_dot4c_i32_i8_e32 v0, v135, v168
	v_dot4c_i32_i8_e32 v0, v136, v165
	v_dot4c_i32_i8_e32 v0, v137, v169
	v_pk_mul_f16 v1, v129, v91
	s_nop 1
	v_cvt_f32_i32_e32 v0, v0
	v_fma_mix_f32 v0, v0, v1, v1 op_sel:[0,0,1] op_sel_hi:[0,1,1]
	v_add_f32_e32 v71, v71, v0
	v_mov_b32_e32 v0, 0
	v_dot4c_i32_i8_e32 v0, v139, v162
	v_dot4c_i32_i8_e32 v0, v140, v166
	v_dot4c_i32_i8_e32 v0, v141, v163
	v_dot4c_i32_i8_e32 v0, v142, v167
	v_dot4c_i32_i8_e32 v0, v143, v164
	v_dot4c_i32_i8_e32 v0, v144, v168
	v_dot4c_i32_i8_e32 v0, v146, v165
	v_dot4c_i32_i8_e32 v0, v147, v169
	v_pk_mul_f16 v1, v138, v91
	s_nop 1
	v_cvt_f32_i32_e32 v0, v0
	v_fma_mix_f32 v0, v0, v1, v1 op_sel:[0,0,1] op_sel_hi:[0,1,1]
	v_add_f32_e32 v67, v67, v0
	v_mov_b32_e32 v0, 0
	v_dot4c_i32_i8_e32 v0, v148, v162
	;; [unrolled: 14-line block ×3, first 2 shown]
	v_dot4c_i32_i8_e32 v0, v158, v166
	v_dot4c_i32_i8_e32 v0, v4, v163
	;; [unrolled: 1-line block ×7, first 2 shown]
	v_pk_mul_f16 v1, v154, v91
	s_nop 1
	v_cvt_f32_i32_e32 v0, v0
	v_fma_mix_f32 v0, v0, v1, v1 op_sel:[0,0,1] op_sel_hi:[0,1,1]
	v_add_f32_e32 v63, v63, v0
	ds_read_b128 v[162:165], v123 offset:2048
	ds_read_b128 v[166:169], v123 offset:2064
	ds_read2_b32 v[0:1], v122 offset0:64 offset1:96
	s_waitcnt lgkmcnt(2)
	v_dot4c_i32_i8_e32 v3, v130, v162
	s_waitcnt lgkmcnt(1)
	v_dot4c_i32_i8_e32 v3, v131, v166
	v_dot4c_i32_i8_e32 v3, v132, v163
	;; [unrolled: 1-line block ×7, first 2 shown]
	s_waitcnt lgkmcnt(0)
	v_pk_mul_f16 v7, v129, v0
	s_nop 0
	v_cvt_f32_i32_e32 v3, v3
	v_fma_mix_f32 v3, v3, v7, v7 op_sel:[0,0,1] op_sel_hi:[0,1,1]
	v_add_f32_e32 v59, v59, v3
	v_mov_b32_e32 v3, 0
	v_dot4c_i32_i8_e32 v3, v139, v162
	v_dot4c_i32_i8_e32 v3, v140, v166
	;; [unrolled: 1-line block ×8, first 2 shown]
	v_pk_mul_f16 v7, v138, v0
	s_nop 1
	v_cvt_f32_i32_e32 v3, v3
	v_fma_mix_f32 v3, v3, v7, v7 op_sel:[0,0,1] op_sel_hi:[0,1,1]
	v_add_f32_e32 v55, v55, v3
	v_mov_b32_e32 v3, 0
	v_dot4c_i32_i8_e32 v3, v148, v162
	v_dot4c_i32_i8_e32 v3, v149, v166
	;; [unrolled: 1-line block ×8, first 2 shown]
	v_pk_mul_f16 v7, v145, v0
	v_pk_mul_f16 v0, v154, v0
	s_nop 0
	v_cvt_f32_i32_e32 v3, v3
	v_fma_mix_f32 v3, v3, v7, v7 op_sel:[0,0,1] op_sel_hi:[0,1,1]
	v_add_f32_e32 v51, v51, v3
	v_mov_b32_e32 v3, 0
	v_dot4c_i32_i8_e32 v3, v157, v162
	v_dot4c_i32_i8_e32 v3, v158, v166
	;; [unrolled: 1-line block ×8, first 2 shown]
	ds_read_b128 v[162:165], v123 offset:3072
	ds_read_b128 v[166:169], v123 offset:3088
	s_nop 0
	v_cvt_f32_i32_e32 v3, v3
	v_fma_mix_f32 v0, v3, v0, v0 op_sel:[0,0,1] op_sel_hi:[0,1,1]
	v_add_f32_e32 v49, v49, v0
	v_mov_b32_e32 v0, 0
	s_waitcnt lgkmcnt(1)
	v_dot4c_i32_i8_e32 v0, v130, v162
	s_waitcnt lgkmcnt(0)
	v_dot4c_i32_i8_e32 v0, v131, v166
	v_dot4c_i32_i8_e32 v0, v132, v163
	;; [unrolled: 1-line block ×7, first 2 shown]
	v_pk_mul_f16 v3, v129, v1
	s_nop 1
	v_cvt_f32_i32_e32 v0, v0
	v_fma_mix_f32 v0, v0, v3, v3 op_sel:[0,0,1] op_sel_hi:[0,1,1]
	v_add_f32_e32 v47, v47, v0
	v_mov_b32_e32 v0, 0
	v_dot4c_i32_i8_e32 v0, v139, v162
	v_dot4c_i32_i8_e32 v0, v140, v166
	;; [unrolled: 1-line block ×8, first 2 shown]
	v_pk_mul_f16 v3, v138, v1
	s_nop 1
	v_cvt_f32_i32_e32 v0, v0
	v_fma_mix_f32 v0, v0, v3, v3 op_sel:[0,0,1] op_sel_hi:[0,1,1]
	v_add_f32_e32 v45, v45, v0
	v_mov_b32_e32 v0, 0
	v_dot4c_i32_i8_e32 v0, v148, v162
	v_dot4c_i32_i8_e32 v0, v149, v166
	;; [unrolled: 1-line block ×8, first 2 shown]
	v_pk_mul_f16 v3, v145, v1
	v_pk_mul_f16 v1, v154, v1
	s_nop 0
	v_cvt_f32_i32_e32 v0, v0
	v_fma_mix_f32 v0, v0, v3, v3 op_sel:[0,0,1] op_sel_hi:[0,1,1]
	v_add_f32_e32 v43, v43, v0
	v_mov_b32_e32 v0, 0
	v_dot4c_i32_i8_e32 v0, v157, v162
	v_dot4c_i32_i8_e32 v0, v158, v166
	;; [unrolled: 1-line block ×8, first 2 shown]
	v_mov_b32_e32 v3, 0
	s_nop 1
	v_cvt_f32_i32_e32 v0, v0
	v_fma_mix_f32 v0, v0, v1, v1 op_sel:[0,0,1] op_sel_hi:[0,1,1]
	v_add_f32_e32 v41, v41, v0
	ds_read_b128 v[162:165], v123 offset:4096
	ds_read_b128 v[166:169], v123 offset:4112
	ds_read2_b32 v[0:1], v122 offset0:128 offset1:160
	s_waitcnt lgkmcnt(2)
	v_dot4c_i32_i8_e32 v3, v130, v162
	s_waitcnt lgkmcnt(1)
	v_dot4c_i32_i8_e32 v3, v131, v166
	v_dot4c_i32_i8_e32 v3, v132, v163
	;; [unrolled: 1-line block ×7, first 2 shown]
	s_waitcnt lgkmcnt(0)
	v_pk_mul_f16 v7, v129, v0
	s_nop 0
	v_cvt_f32_i32_e32 v3, v3
	v_fma_mix_f32 v3, v3, v7, v7 op_sel:[0,0,1] op_sel_hi:[0,1,1]
	v_add_f32_e32 v39, v39, v3
	v_mov_b32_e32 v3, 0
	v_dot4c_i32_i8_e32 v3, v139, v162
	v_dot4c_i32_i8_e32 v3, v140, v166
	;; [unrolled: 1-line block ×8, first 2 shown]
	v_pk_mul_f16 v7, v138, v0
	s_nop 1
	v_cvt_f32_i32_e32 v3, v3
	v_fma_mix_f32 v3, v3, v7, v7 op_sel:[0,0,1] op_sel_hi:[0,1,1]
	v_add_f32_e32 v37, v37, v3
	v_mov_b32_e32 v3, 0
	v_dot4c_i32_i8_e32 v3, v148, v162
	v_dot4c_i32_i8_e32 v3, v149, v166
	;; [unrolled: 1-line block ×8, first 2 shown]
	v_pk_mul_f16 v7, v145, v0
	v_pk_mul_f16 v0, v154, v0
	s_nop 0
	v_cvt_f32_i32_e32 v3, v3
	v_fma_mix_f32 v3, v3, v7, v7 op_sel:[0,0,1] op_sel_hi:[0,1,1]
	v_add_f32_e32 v35, v35, v3
	v_mov_b32_e32 v3, 0
	v_dot4c_i32_i8_e32 v3, v157, v162
	v_dot4c_i32_i8_e32 v3, v158, v166
	;; [unrolled: 1-line block ×8, first 2 shown]
	ds_read_b128 v[162:165], v123 offset:5120
	ds_read_b128 v[166:169], v123 offset:5136
	s_nop 0
	v_cvt_f32_i32_e32 v3, v3
	v_fma_mix_f32 v0, v3, v0, v0 op_sel:[0,0,1] op_sel_hi:[0,1,1]
	v_add_f32_e32 v33, v33, v0
	v_mov_b32_e32 v0, 0
	s_waitcnt lgkmcnt(1)
	v_dot4c_i32_i8_e32 v0, v130, v162
	s_waitcnt lgkmcnt(0)
	v_dot4c_i32_i8_e32 v0, v131, v166
	v_dot4c_i32_i8_e32 v0, v132, v163
	;; [unrolled: 1-line block ×7, first 2 shown]
	v_pk_mul_f16 v3, v129, v1
	s_nop 1
	v_cvt_f32_i32_e32 v0, v0
	v_fma_mix_f32 v0, v0, v3, v3 op_sel:[0,0,1] op_sel_hi:[0,1,1]
	v_add_f32_e32 v31, v31, v0
	v_mov_b32_e32 v0, 0
	v_dot4c_i32_i8_e32 v0, v139, v162
	v_dot4c_i32_i8_e32 v0, v140, v166
	;; [unrolled: 1-line block ×8, first 2 shown]
	v_pk_mul_f16 v3, v138, v1
	s_nop 1
	v_cvt_f32_i32_e32 v0, v0
	v_fma_mix_f32 v0, v0, v3, v3 op_sel:[0,0,1] op_sel_hi:[0,1,1]
	v_add_f32_e32 v29, v29, v0
	v_mov_b32_e32 v0, 0
	v_dot4c_i32_i8_e32 v0, v148, v162
	v_dot4c_i32_i8_e32 v0, v149, v166
	;; [unrolled: 1-line block ×8, first 2 shown]
	v_pk_mul_f16 v3, v145, v1
	v_pk_mul_f16 v1, v154, v1
	s_nop 0
	v_cvt_f32_i32_e32 v0, v0
	v_fma_mix_f32 v0, v0, v3, v3 op_sel:[0,0,1] op_sel_hi:[0,1,1]
	v_add_f32_e32 v27, v27, v0
	v_mov_b32_e32 v0, 0
	v_dot4c_i32_i8_e32 v0, v157, v162
	v_dot4c_i32_i8_e32 v0, v158, v166
	;; [unrolled: 1-line block ×8, first 2 shown]
	v_mov_b32_e32 v3, 0
	s_nop 1
	v_cvt_f32_i32_e32 v0, v0
	v_fma_mix_f32 v0, v0, v1, v1 op_sel:[0,0,1] op_sel_hi:[0,1,1]
	v_add_f32_e32 v25, v25, v0
	ds_read_b128 v[162:165], v123 offset:6144
	ds_read_b128 v[166:169], v123 offset:6160
	ds_read2_b32 v[0:1], v122 offset0:192 offset1:224
	v_add_u32_e32 v122, 4, v122
	s_waitcnt lgkmcnt(2)
	v_dot4c_i32_i8_e32 v3, v130, v162
	s_waitcnt lgkmcnt(1)
	v_dot4c_i32_i8_e32 v3, v131, v166
	v_dot4c_i32_i8_e32 v3, v132, v163
	;; [unrolled: 1-line block ×7, first 2 shown]
	s_waitcnt lgkmcnt(0)
	v_pk_mul_f16 v7, v129, v0
	s_nop 0
	v_cvt_f32_i32_e32 v3, v3
	v_fma_mix_f32 v3, v3, v7, v7 op_sel:[0,0,1] op_sel_hi:[0,1,1]
	v_add_f32_e32 v23, v23, v3
	v_mov_b32_e32 v3, 0
	v_dot4c_i32_i8_e32 v3, v139, v162
	v_dot4c_i32_i8_e32 v3, v140, v166
	;; [unrolled: 1-line block ×8, first 2 shown]
	v_pk_mul_f16 v7, v138, v0
	s_nop 1
	v_cvt_f32_i32_e32 v3, v3
	v_fma_mix_f32 v3, v3, v7, v7 op_sel:[0,0,1] op_sel_hi:[0,1,1]
	v_add_f32_e32 v21, v21, v3
	v_mov_b32_e32 v3, 0
	v_dot4c_i32_i8_e32 v3, v148, v162
	v_dot4c_i32_i8_e32 v3, v149, v166
	;; [unrolled: 1-line block ×8, first 2 shown]
	v_pk_mul_f16 v7, v145, v0
	v_pk_mul_f16 v0, v154, v0
	s_nop 0
	v_cvt_f32_i32_e32 v3, v3
	v_fma_mix_f32 v3, v3, v7, v7 op_sel:[0,0,1] op_sel_hi:[0,1,1]
	v_add_f32_e32 v19, v19, v3
	v_mov_b32_e32 v3, 0
	v_dot4c_i32_i8_e32 v3, v157, v162
	v_dot4c_i32_i8_e32 v3, v158, v166
	;; [unrolled: 1-line block ×8, first 2 shown]
	ds_read_b128 v[162:165], v123 offset:7168
	ds_read_b128 v[166:169], v123 offset:7184
	v_add_u32_e32 v123, 32, v123
	v_cvt_f32_i32_e32 v3, v3
	v_fma_mix_f32 v0, v3, v0, v0 op_sel:[0,0,1] op_sel_hi:[0,1,1]
	v_add_f32_e32 v17, v17, v0
	v_mov_b32_e32 v0, 0
	s_waitcnt lgkmcnt(1)
	v_dot4c_i32_i8_e32 v0, v130, v162
	s_waitcnt lgkmcnt(0)
	v_dot4c_i32_i8_e32 v0, v131, v166
	v_dot4c_i32_i8_e32 v0, v132, v163
	;; [unrolled: 1-line block ×7, first 2 shown]
	v_pk_mul_f16 v3, v129, v1
	s_nop 1
	v_cvt_f32_i32_e32 v0, v0
	v_fma_mix_f32 v0, v0, v3, v3 op_sel:[0,0,1] op_sel_hi:[0,1,1]
	v_add_f32_e32 v15, v15, v0
	v_mov_b32_e32 v0, 0
	v_dot4c_i32_i8_e32 v0, v139, v162
	v_dot4c_i32_i8_e32 v0, v140, v166
	;; [unrolled: 1-line block ×8, first 2 shown]
	v_pk_mul_f16 v3, v138, v1
	s_nop 1
	v_cvt_f32_i32_e32 v0, v0
	v_fma_mix_f32 v0, v0, v3, v3 op_sel:[0,0,1] op_sel_hi:[0,1,1]
	v_add_f32_e32 v13, v13, v0
	v_mov_b32_e32 v0, 0
	v_dot4c_i32_i8_e32 v0, v148, v162
	v_dot4c_i32_i8_e32 v0, v149, v166
	;; [unrolled: 1-line block ×8, first 2 shown]
	v_pk_mul_f16 v3, v145, v1
	v_pk_mul_f16 v1, v154, v1
	s_nop 0
	v_cvt_f32_i32_e32 v0, v0
	v_fma_mix_f32 v0, v0, v3, v3 op_sel:[0,0,1] op_sel_hi:[0,1,1]
	v_add_f32_e32 v11, v11, v0
	v_mov_b32_e32 v0, 0
	v_dot4c_i32_i8_e32 v0, v157, v162
	v_dot4c_i32_i8_e32 v0, v158, v166
	;; [unrolled: 1-line block ×8, first 2 shown]
	s_nop 2
	v_cvt_f32_i32_e32 v0, v0
	v_fma_mix_f32 v0, v0, v1, v1 op_sel:[0,0,1] op_sel_hi:[0,1,1]
	v_add_f32_e32 v9, v9, v0
	s_cbranch_scc1 .LBB160_10
; %bb.11:                               ;   in Loop: Header=BB160_6 Depth=1
	s_barrier
	s_branch .LBB160_5
.LBB160_12:
	v_mov_b32_e32 v1, v57
.LBB160_13:
	v_cmp_gt_u32_e32 vcc, s10, v69
	s_and_saveexec_b64 s[0:1], vcc
	s_cbranch_execz .LBB160_64
; %bb.14:
	v_add_u32_e32 v0, s6, v53
	v_mul_lo_u32 v5, v69, s14
	v_cmp_gt_u32_e32 vcc, s14, v0
	s_and_saveexec_b64 s[2:3], vcc
	s_cbranch_execz .LBB160_16
; %bb.15:
	v_bfe_u32 v2, v61, 16, 1
	s_movk_i32 s0, 0x7fff
	v_add3_u32 v2, v61, v2, s0
	v_lshrrev_b32_e32 v2, 16, v2
	v_mov_b32_e32 v3, 0x7fc0
	v_cmp_o_f32_e64 s[0:1], v61, v61
	v_cndmask_b32_e64 v4, v3, v2, s[0:1]
	v_add_u32_e32 v2, v0, v5
	v_mov_b32_e32 v3, 0
	v_lshlrev_b64 v[2:3], 1, v[2:3]
	s_waitcnt lgkmcnt(0)
	v_mov_b32_e32 v6, s13
	v_add_co_u32_e64 v2, s[0:1], s12, v2
	v_addc_co_u32_e64 v3, s[0:1], v6, v3, s[0:1]
	global_store_short v[2:3], v4, off
.LBB160_16:
	s_or_b64 exec, exec, s[2:3]
	v_add_u32_e32 v2, 32, v0
	v_cmp_gt_u32_e64 s[0:1], s14, v2
	s_and_saveexec_b64 s[4:5], s[0:1]
	s_cbranch_execz .LBB160_18
; %bb.17:
	v_bfe_u32 v3, v79, 16, 1
	s_movk_i32 s2, 0x7fff
	v_add3_u32 v3, v79, v3, s2
	v_add_u32_e32 v6, v2, v5
	v_mov_b32_e32 v7, 0
	v_lshrrev_b32_e32 v3, 16, v3
	v_mov_b32_e32 v4, 0x7fc0
	v_cmp_o_f32_e64 s[2:3], v79, v79
	v_lshlrev_b64 v[6:7], 1, v[6:7]
	v_cndmask_b32_e64 v3, v4, v3, s[2:3]
	s_waitcnt lgkmcnt(0)
	v_mov_b32_e32 v4, s13
	v_add_co_u32_e64 v6, s[2:3], s12, v6
	v_addc_co_u32_e64 v7, s[2:3], v4, v7, s[2:3]
	global_store_short v[6:7], v3, off
.LBB160_18:
	s_or_b64 exec, exec, s[4:5]
	v_add_u32_e32 v3, 64, v0
	v_cmp_gt_u32_e64 s[2:3], s14, v3
	s_and_saveexec_b64 s[6:7], s[2:3]
	s_cbranch_execz .LBB160_20
; %bb.19:
	v_bfe_u32 v4, v75, 16, 1
	s_movk_i32 s4, 0x7fff
	v_add3_u32 v4, v75, v4, s4
	v_lshrrev_b32_e32 v4, 16, v4
	v_mov_b32_e32 v6, 0x7fc0
	v_cmp_o_f32_e64 s[4:5], v75, v75
	v_cndmask_b32_e64 v4, v6, v4, s[4:5]
	v_add_u32_e32 v6, v3, v5
	v_mov_b32_e32 v7, 0
	v_lshlrev_b64 v[6:7], 1, v[6:7]
	s_waitcnt lgkmcnt(0)
	v_mov_b32_e32 v8, s13
	v_add_co_u32_e64 v6, s[4:5], s12, v6
	v_addc_co_u32_e64 v7, s[4:5], v8, v7, s[4:5]
	global_store_short v[6:7], v4, off
.LBB160_20:
	s_or_b64 exec, exec, s[6:7]
	v_add_u32_e32 v4, 0x60, v0
	v_cmp_gt_u32_e64 s[4:5], s14, v4
	s_and_saveexec_b64 s[8:9], s[4:5]
	s_cbranch_execz .LBB160_22
; %bb.21:
	v_bfe_u32 v6, v73, 16, 1
	s_movk_i32 s6, 0x7fff
	v_add3_u32 v6, v73, v6, s6
	v_lshrrev_b32_e32 v6, 16, v6
	v_mov_b32_e32 v7, 0x7fc0
	v_cmp_o_f32_e64 s[6:7], v73, v73
	v_cndmask_b32_e64 v8, v7, v6, s[6:7]
	v_add_u32_e32 v6, v4, v5
	v_mov_b32_e32 v7, 0
	v_lshlrev_b64 v[6:7], 1, v[6:7]
	s_waitcnt lgkmcnt(0)
	v_mov_b32_e32 v5, s13
	v_add_co_u32_e64 v6, s[6:7], s12, v6
	v_addc_co_u32_e64 v7, s[6:7], v5, v7, s[6:7]
	global_store_short v[6:7], v8, off
.LBB160_22:
	s_or_b64 exec, exec, s[8:9]
	v_add3_u32 v5, v1, s15, 8
	v_cmp_gt_u32_e64 s[6:7], s10, v5
	s_and_b64 exec, exec, s[6:7]
	s_cbranch_execz .LBB160_64
; %bb.23:
	v_mul_lo_u32 v5, v5, s14
	s_and_saveexec_b64 s[8:9], vcc
	s_cbranch_execnz .LBB160_65
; %bb.24:
	s_or_b64 exec, exec, s[8:9]
	s_and_saveexec_b64 s[8:9], s[0:1]
	s_cbranch_execnz .LBB160_66
.LBB160_25:
	s_or_b64 exec, exec, s[8:9]
	s_and_saveexec_b64 s[8:9], s[2:3]
	s_cbranch_execnz .LBB160_67
.LBB160_26:
	s_or_b64 exec, exec, s[8:9]
	s_and_saveexec_b64 s[8:9], s[4:5]
	s_cbranch_execz .LBB160_28
.LBB160_27:
	v_bfe_u32 v6, v63, 16, 1
	s_movk_i32 s6, 0x7fff
	v_add3_u32 v6, v63, v6, s6
	v_lshrrev_b32_e32 v6, 16, v6
	v_mov_b32_e32 v7, 0x7fc0
	v_cmp_o_f32_e64 s[6:7], v63, v63
	v_cndmask_b32_e64 v8, v7, v6, s[6:7]
	v_add_u32_e32 v6, v5, v4
	v_mov_b32_e32 v7, 0
	v_lshlrev_b64 v[6:7], 1, v[6:7]
	s_waitcnt lgkmcnt(0)
	v_mov_b32_e32 v5, s13
	v_add_co_u32_e64 v6, s[6:7], s12, v6
	v_addc_co_u32_e64 v7, s[6:7], v5, v7, s[6:7]
	global_store_short v[6:7], v8, off
.LBB160_28:
	s_or_b64 exec, exec, s[8:9]
	v_add3_u32 v5, v1, s15, 16
	v_cmp_gt_u32_e64 s[6:7], s10, v5
	s_and_b64 exec, exec, s[6:7]
	s_cbranch_execz .LBB160_64
; %bb.29:
	v_mul_lo_u32 v5, v5, s14
	s_and_saveexec_b64 s[8:9], vcc
	s_cbranch_execnz .LBB160_68
; %bb.30:
	s_or_b64 exec, exec, s[8:9]
	s_and_saveexec_b64 s[8:9], s[0:1]
	s_cbranch_execnz .LBB160_69
.LBB160_31:
	s_or_b64 exec, exec, s[8:9]
	s_and_saveexec_b64 s[8:9], s[2:3]
	s_cbranch_execnz .LBB160_70
.LBB160_32:
	s_or_b64 exec, exec, s[8:9]
	s_and_saveexec_b64 s[8:9], s[4:5]
	s_cbranch_execz .LBB160_34
.LBB160_33:
	v_bfe_u32 v6, v49, 16, 1
	s_movk_i32 s6, 0x7fff
	v_add3_u32 v6, v49, v6, s6
	v_lshrrev_b32_e32 v6, 16, v6
	v_mov_b32_e32 v7, 0x7fc0
	v_cmp_o_f32_e64 s[6:7], v49, v49
	v_cndmask_b32_e64 v8, v7, v6, s[6:7]
	v_add_u32_e32 v6, v5, v4
	v_mov_b32_e32 v7, 0
	v_lshlrev_b64 v[6:7], 1, v[6:7]
	s_waitcnt lgkmcnt(0)
	v_mov_b32_e32 v5, s13
	v_add_co_u32_e64 v6, s[6:7], s12, v6
	v_addc_co_u32_e64 v7, s[6:7], v5, v7, s[6:7]
	global_store_short v[6:7], v8, off
.LBB160_34:
	s_or_b64 exec, exec, s[8:9]
	v_add3_u32 v5, v1, s15, 24
	v_cmp_gt_u32_e64 s[6:7], s10, v5
	s_and_b64 exec, exec, s[6:7]
	s_cbranch_execz .LBB160_64
; %bb.35:
	v_mul_lo_u32 v5, v5, s14
	s_and_saveexec_b64 s[8:9], vcc
	s_cbranch_execnz .LBB160_71
; %bb.36:
	s_or_b64 exec, exec, s[8:9]
	s_and_saveexec_b64 s[8:9], s[0:1]
	s_cbranch_execnz .LBB160_72
.LBB160_37:
	s_or_b64 exec, exec, s[8:9]
	s_and_saveexec_b64 s[8:9], s[2:3]
	s_cbranch_execnz .LBB160_73
.LBB160_38:
	s_or_b64 exec, exec, s[8:9]
	s_and_saveexec_b64 s[8:9], s[4:5]
	s_cbranch_execz .LBB160_40
.LBB160_39:
	v_bfe_u32 v6, v41, 16, 1
	s_movk_i32 s6, 0x7fff
	v_add3_u32 v6, v41, v6, s6
	v_lshrrev_b32_e32 v6, 16, v6
	v_mov_b32_e32 v7, 0x7fc0
	v_cmp_o_f32_e64 s[6:7], v41, v41
	v_cndmask_b32_e64 v8, v7, v6, s[6:7]
	v_add_u32_e32 v6, v5, v4
	v_mov_b32_e32 v7, 0
	v_lshlrev_b64 v[6:7], 1, v[6:7]
	s_waitcnt lgkmcnt(0)
	v_mov_b32_e32 v5, s13
	v_add_co_u32_e64 v6, s[6:7], s12, v6
	v_addc_co_u32_e64 v7, s[6:7], v5, v7, s[6:7]
	global_store_short v[6:7], v8, off
.LBB160_40:
	s_or_b64 exec, exec, s[8:9]
	v_add3_u32 v5, v1, s15, 32
	v_cmp_gt_u32_e64 s[6:7], s10, v5
	s_and_b64 exec, exec, s[6:7]
	s_cbranch_execz .LBB160_64
; %bb.41:
	v_mul_lo_u32 v5, v5, s14
	s_and_saveexec_b64 s[8:9], vcc
	s_cbranch_execnz .LBB160_74
; %bb.42:
	s_or_b64 exec, exec, s[8:9]
	s_and_saveexec_b64 s[8:9], s[0:1]
	s_cbranch_execnz .LBB160_75
.LBB160_43:
	s_or_b64 exec, exec, s[8:9]
	s_and_saveexec_b64 s[8:9], s[2:3]
	s_cbranch_execnz .LBB160_76
.LBB160_44:
	s_or_b64 exec, exec, s[8:9]
	s_and_saveexec_b64 s[8:9], s[4:5]
	s_cbranch_execz .LBB160_46
.LBB160_45:
	v_bfe_u32 v6, v33, 16, 1
	s_movk_i32 s6, 0x7fff
	v_add3_u32 v6, v33, v6, s6
	v_lshrrev_b32_e32 v6, 16, v6
	v_mov_b32_e32 v7, 0x7fc0
	v_cmp_o_f32_e64 s[6:7], v33, v33
	v_cndmask_b32_e64 v8, v7, v6, s[6:7]
	v_add_u32_e32 v6, v5, v4
	v_mov_b32_e32 v7, 0
	v_lshlrev_b64 v[6:7], 1, v[6:7]
	s_waitcnt lgkmcnt(0)
	v_mov_b32_e32 v5, s13
	v_add_co_u32_e64 v6, s[6:7], s12, v6
	v_addc_co_u32_e64 v7, s[6:7], v5, v7, s[6:7]
	global_store_short v[6:7], v8, off
.LBB160_46:
	s_or_b64 exec, exec, s[8:9]
	v_add3_u32 v5, v1, s15, 40
	v_cmp_gt_u32_e64 s[6:7], s10, v5
	s_and_b64 exec, exec, s[6:7]
	s_cbranch_execz .LBB160_64
; %bb.47:
	v_mul_lo_u32 v5, v5, s14
	s_and_saveexec_b64 s[8:9], vcc
	s_cbranch_execnz .LBB160_77
; %bb.48:
	s_or_b64 exec, exec, s[8:9]
	s_and_saveexec_b64 s[8:9], s[0:1]
	s_cbranch_execnz .LBB160_78
.LBB160_49:
	s_or_b64 exec, exec, s[8:9]
	s_and_saveexec_b64 s[8:9], s[2:3]
	s_cbranch_execnz .LBB160_79
.LBB160_50:
	s_or_b64 exec, exec, s[8:9]
	s_and_saveexec_b64 s[8:9], s[4:5]
	s_cbranch_execz .LBB160_52
.LBB160_51:
	v_bfe_u32 v6, v25, 16, 1
	s_movk_i32 s6, 0x7fff
	v_add3_u32 v6, v25, v6, s6
	v_lshrrev_b32_e32 v6, 16, v6
	v_mov_b32_e32 v7, 0x7fc0
	v_cmp_o_f32_e64 s[6:7], v25, v25
	v_cndmask_b32_e64 v8, v7, v6, s[6:7]
	v_add_u32_e32 v6, v5, v4
	v_mov_b32_e32 v7, 0
	v_lshlrev_b64 v[6:7], 1, v[6:7]
	s_waitcnt lgkmcnt(0)
	v_mov_b32_e32 v5, s13
	v_add_co_u32_e64 v6, s[6:7], s12, v6
	v_addc_co_u32_e64 v7, s[6:7], v5, v7, s[6:7]
	global_store_short v[6:7], v8, off
.LBB160_52:
	s_or_b64 exec, exec, s[8:9]
	v_add3_u32 v5, v1, s15, 48
	v_cmp_gt_u32_e64 s[6:7], s10, v5
	s_and_b64 exec, exec, s[6:7]
	s_cbranch_execz .LBB160_64
; %bb.53:
	v_mul_lo_u32 v5, v5, s14
	s_and_saveexec_b64 s[8:9], vcc
	s_cbranch_execnz .LBB160_80
; %bb.54:
	s_or_b64 exec, exec, s[8:9]
	s_and_saveexec_b64 s[8:9], s[0:1]
	s_cbranch_execnz .LBB160_81
.LBB160_55:
	s_or_b64 exec, exec, s[8:9]
	s_and_saveexec_b64 s[8:9], s[2:3]
	s_cbranch_execnz .LBB160_82
.LBB160_56:
	s_or_b64 exec, exec, s[8:9]
	s_and_saveexec_b64 s[8:9], s[4:5]
	s_cbranch_execz .LBB160_58
.LBB160_57:
	v_bfe_u32 v6, v17, 16, 1
	s_movk_i32 s6, 0x7fff
	v_add3_u32 v6, v17, v6, s6
	v_lshrrev_b32_e32 v6, 16, v6
	v_mov_b32_e32 v7, 0x7fc0
	v_cmp_o_f32_e64 s[6:7], v17, v17
	v_cndmask_b32_e64 v8, v7, v6, s[6:7]
	v_add_u32_e32 v6, v5, v4
	v_mov_b32_e32 v7, 0
	v_lshlrev_b64 v[6:7], 1, v[6:7]
	s_waitcnt lgkmcnt(0)
	v_mov_b32_e32 v5, s13
	v_add_co_u32_e64 v6, s[6:7], s12, v6
	v_addc_co_u32_e64 v7, s[6:7], v5, v7, s[6:7]
	global_store_short v[6:7], v8, off
.LBB160_58:
	s_or_b64 exec, exec, s[8:9]
	v_add3_u32 v1, v1, s15, 56
	v_cmp_gt_u32_e64 s[6:7], s10, v1
	s_and_b64 exec, exec, s[6:7]
	s_cbranch_execz .LBB160_64
; %bb.59:
	v_mul_lo_u32 v1, v1, s14
	s_and_saveexec_b64 s[6:7], vcc
	s_cbranch_execnz .LBB160_83
; %bb.60:
	s_or_b64 exec, exec, s[6:7]
	s_and_saveexec_b64 s[6:7], s[0:1]
	s_cbranch_execnz .LBB160_84
.LBB160_61:
	s_or_b64 exec, exec, s[6:7]
	s_and_saveexec_b64 s[0:1], s[2:3]
	s_cbranch_execnz .LBB160_85
.LBB160_62:
	s_or_b64 exec, exec, s[0:1]
	s_and_b64 exec, exec, s[4:5]
	s_cbranch_execz .LBB160_64
.LBB160_63:
	v_bfe_u32 v0, v9, 16, 1
	s_movk_i32 s0, 0x7fff
	v_add3_u32 v0, v9, v0, s0
	v_lshrrev_b32_e32 v0, 16, v0
	v_mov_b32_e32 v2, 0x7fc0
	v_cmp_o_f32_e32 vcc, v9, v9
	v_cndmask_b32_e32 v2, v2, v0, vcc
	v_add_u32_e32 v0, v1, v4
	v_mov_b32_e32 v1, 0
	v_lshlrev_b64 v[0:1], 1, v[0:1]
	s_waitcnt lgkmcnt(0)
	v_mov_b32_e32 v3, s13
	v_add_co_u32_e32 v0, vcc, s12, v0
	v_addc_co_u32_e32 v1, vcc, v3, v1, vcc
	global_store_short v[0:1], v2, off
.LBB160_64:
	s_endpgm
.LBB160_65:
	v_bfe_u32 v6, v71, 16, 1
	s_movk_i32 s6, 0x7fff
	v_add3_u32 v6, v71, v6, s6
	v_lshrrev_b32_e32 v6, 16, v6
	v_mov_b32_e32 v7, 0x7fc0
	v_cmp_o_f32_e64 s[6:7], v71, v71
	v_cndmask_b32_e64 v8, v7, v6, s[6:7]
	v_add_u32_e32 v6, v5, v0
	v_mov_b32_e32 v7, 0
	v_lshlrev_b64 v[6:7], 1, v[6:7]
	s_waitcnt lgkmcnt(0)
	v_mov_b32_e32 v10, s13
	v_add_co_u32_e64 v6, s[6:7], s12, v6
	v_addc_co_u32_e64 v7, s[6:7], v10, v7, s[6:7]
	global_store_short v[6:7], v8, off
	s_or_b64 exec, exec, s[8:9]
	s_and_saveexec_b64 s[8:9], s[0:1]
	s_cbranch_execz .LBB160_25
.LBB160_66:
	v_bfe_u32 v6, v67, 16, 1
	s_movk_i32 s6, 0x7fff
	v_add3_u32 v6, v67, v6, s6
	v_lshrrev_b32_e32 v6, 16, v6
	v_mov_b32_e32 v7, 0x7fc0
	v_cmp_o_f32_e64 s[6:7], v67, v67
	v_cndmask_b32_e64 v8, v7, v6, s[6:7]
	v_add_u32_e32 v6, v5, v2
	v_mov_b32_e32 v7, 0
	v_lshlrev_b64 v[6:7], 1, v[6:7]
	s_waitcnt lgkmcnt(0)
	v_mov_b32_e32 v10, s13
	v_add_co_u32_e64 v6, s[6:7], s12, v6
	v_addc_co_u32_e64 v7, s[6:7], v10, v7, s[6:7]
	global_store_short v[6:7], v8, off
	s_or_b64 exec, exec, s[8:9]
	s_and_saveexec_b64 s[8:9], s[2:3]
	s_cbranch_execz .LBB160_26
.LBB160_67:
	v_bfe_u32 v6, v65, 16, 1
	s_movk_i32 s6, 0x7fff
	v_add3_u32 v6, v65, v6, s6
	v_lshrrev_b32_e32 v6, 16, v6
	v_mov_b32_e32 v7, 0x7fc0
	v_cmp_o_f32_e64 s[6:7], v65, v65
	v_cndmask_b32_e64 v8, v7, v6, s[6:7]
	v_add_u32_e32 v6, v5, v3
	v_mov_b32_e32 v7, 0
	v_lshlrev_b64 v[6:7], 1, v[6:7]
	s_waitcnt lgkmcnt(0)
	v_mov_b32_e32 v10, s13
	v_add_co_u32_e64 v6, s[6:7], s12, v6
	v_addc_co_u32_e64 v7, s[6:7], v10, v7, s[6:7]
	global_store_short v[6:7], v8, off
	s_or_b64 exec, exec, s[8:9]
	s_and_saveexec_b64 s[8:9], s[4:5]
	s_cbranch_execnz .LBB160_27
	s_branch .LBB160_28
.LBB160_68:
	v_bfe_u32 v6, v59, 16, 1
	s_movk_i32 s6, 0x7fff
	v_add3_u32 v6, v59, v6, s6
	v_lshrrev_b32_e32 v6, 16, v6
	v_mov_b32_e32 v7, 0x7fc0
	v_cmp_o_f32_e64 s[6:7], v59, v59
	v_cndmask_b32_e64 v8, v7, v6, s[6:7]
	v_add_u32_e32 v6, v5, v0
	v_mov_b32_e32 v7, 0
	v_lshlrev_b64 v[6:7], 1, v[6:7]
	s_waitcnt lgkmcnt(0)
	v_mov_b32_e32 v10, s13
	v_add_co_u32_e64 v6, s[6:7], s12, v6
	v_addc_co_u32_e64 v7, s[6:7], v10, v7, s[6:7]
	global_store_short v[6:7], v8, off
	s_or_b64 exec, exec, s[8:9]
	s_and_saveexec_b64 s[8:9], s[0:1]
	s_cbranch_execz .LBB160_31
.LBB160_69:
	v_bfe_u32 v6, v55, 16, 1
	s_movk_i32 s6, 0x7fff
	v_add3_u32 v6, v55, v6, s6
	v_lshrrev_b32_e32 v6, 16, v6
	v_mov_b32_e32 v7, 0x7fc0
	v_cmp_o_f32_e64 s[6:7], v55, v55
	v_cndmask_b32_e64 v8, v7, v6, s[6:7]
	v_add_u32_e32 v6, v5, v2
	v_mov_b32_e32 v7, 0
	v_lshlrev_b64 v[6:7], 1, v[6:7]
	s_waitcnt lgkmcnt(0)
	v_mov_b32_e32 v10, s13
	v_add_co_u32_e64 v6, s[6:7], s12, v6
	v_addc_co_u32_e64 v7, s[6:7], v10, v7, s[6:7]
	global_store_short v[6:7], v8, off
	s_or_b64 exec, exec, s[8:9]
	s_and_saveexec_b64 s[8:9], s[2:3]
	s_cbranch_execz .LBB160_32
.LBB160_70:
	v_bfe_u32 v6, v51, 16, 1
	s_movk_i32 s6, 0x7fff
	v_add3_u32 v6, v51, v6, s6
	v_lshrrev_b32_e32 v6, 16, v6
	v_mov_b32_e32 v7, 0x7fc0
	v_cmp_o_f32_e64 s[6:7], v51, v51
	v_cndmask_b32_e64 v8, v7, v6, s[6:7]
	v_add_u32_e32 v6, v5, v3
	v_mov_b32_e32 v7, 0
	v_lshlrev_b64 v[6:7], 1, v[6:7]
	s_waitcnt lgkmcnt(0)
	v_mov_b32_e32 v10, s13
	v_add_co_u32_e64 v6, s[6:7], s12, v6
	v_addc_co_u32_e64 v7, s[6:7], v10, v7, s[6:7]
	global_store_short v[6:7], v8, off
	s_or_b64 exec, exec, s[8:9]
	s_and_saveexec_b64 s[8:9], s[4:5]
	s_cbranch_execnz .LBB160_33
	s_branch .LBB160_34
.LBB160_71:
	v_bfe_u32 v6, v47, 16, 1
	s_movk_i32 s6, 0x7fff
	v_add3_u32 v6, v47, v6, s6
	v_lshrrev_b32_e32 v6, 16, v6
	v_mov_b32_e32 v7, 0x7fc0
	v_cmp_o_f32_e64 s[6:7], v47, v47
	v_cndmask_b32_e64 v8, v7, v6, s[6:7]
	v_add_u32_e32 v6, v5, v0
	v_mov_b32_e32 v7, 0
	v_lshlrev_b64 v[6:7], 1, v[6:7]
	s_waitcnt lgkmcnt(0)
	v_mov_b32_e32 v10, s13
	v_add_co_u32_e64 v6, s[6:7], s12, v6
	v_addc_co_u32_e64 v7, s[6:7], v10, v7, s[6:7]
	global_store_short v[6:7], v8, off
	s_or_b64 exec, exec, s[8:9]
	s_and_saveexec_b64 s[8:9], s[0:1]
	s_cbranch_execz .LBB160_37
.LBB160_72:
	v_bfe_u32 v6, v45, 16, 1
	s_movk_i32 s6, 0x7fff
	v_add3_u32 v6, v45, v6, s6
	v_lshrrev_b32_e32 v6, 16, v6
	v_mov_b32_e32 v7, 0x7fc0
	v_cmp_o_f32_e64 s[6:7], v45, v45
	v_cndmask_b32_e64 v8, v7, v6, s[6:7]
	v_add_u32_e32 v6, v5, v2
	v_mov_b32_e32 v7, 0
	v_lshlrev_b64 v[6:7], 1, v[6:7]
	s_waitcnt lgkmcnt(0)
	v_mov_b32_e32 v10, s13
	v_add_co_u32_e64 v6, s[6:7], s12, v6
	v_addc_co_u32_e64 v7, s[6:7], v10, v7, s[6:7]
	global_store_short v[6:7], v8, off
	s_or_b64 exec, exec, s[8:9]
	s_and_saveexec_b64 s[8:9], s[2:3]
	s_cbranch_execz .LBB160_38
.LBB160_73:
	v_bfe_u32 v6, v43, 16, 1
	s_movk_i32 s6, 0x7fff
	v_add3_u32 v6, v43, v6, s6
	v_lshrrev_b32_e32 v6, 16, v6
	v_mov_b32_e32 v7, 0x7fc0
	v_cmp_o_f32_e64 s[6:7], v43, v43
	v_cndmask_b32_e64 v8, v7, v6, s[6:7]
	v_add_u32_e32 v6, v5, v3
	v_mov_b32_e32 v7, 0
	v_lshlrev_b64 v[6:7], 1, v[6:7]
	s_waitcnt lgkmcnt(0)
	v_mov_b32_e32 v10, s13
	v_add_co_u32_e64 v6, s[6:7], s12, v6
	v_addc_co_u32_e64 v7, s[6:7], v10, v7, s[6:7]
	global_store_short v[6:7], v8, off
	s_or_b64 exec, exec, s[8:9]
	s_and_saveexec_b64 s[8:9], s[4:5]
	s_cbranch_execnz .LBB160_39
	s_branch .LBB160_40
.LBB160_74:
	v_bfe_u32 v6, v39, 16, 1
	s_movk_i32 s6, 0x7fff
	v_add3_u32 v6, v39, v6, s6
	v_lshrrev_b32_e32 v6, 16, v6
	v_mov_b32_e32 v7, 0x7fc0
	v_cmp_o_f32_e64 s[6:7], v39, v39
	v_cndmask_b32_e64 v8, v7, v6, s[6:7]
	v_add_u32_e32 v6, v5, v0
	v_mov_b32_e32 v7, 0
	v_lshlrev_b64 v[6:7], 1, v[6:7]
	s_waitcnt lgkmcnt(0)
	v_mov_b32_e32 v10, s13
	v_add_co_u32_e64 v6, s[6:7], s12, v6
	v_addc_co_u32_e64 v7, s[6:7], v10, v7, s[6:7]
	global_store_short v[6:7], v8, off
	s_or_b64 exec, exec, s[8:9]
	s_and_saveexec_b64 s[8:9], s[0:1]
	s_cbranch_execz .LBB160_43
.LBB160_75:
	v_bfe_u32 v6, v37, 16, 1
	s_movk_i32 s6, 0x7fff
	v_add3_u32 v6, v37, v6, s6
	v_lshrrev_b32_e32 v6, 16, v6
	v_mov_b32_e32 v7, 0x7fc0
	v_cmp_o_f32_e64 s[6:7], v37, v37
	v_cndmask_b32_e64 v8, v7, v6, s[6:7]
	v_add_u32_e32 v6, v5, v2
	v_mov_b32_e32 v7, 0
	v_lshlrev_b64 v[6:7], 1, v[6:7]
	s_waitcnt lgkmcnt(0)
	v_mov_b32_e32 v10, s13
	v_add_co_u32_e64 v6, s[6:7], s12, v6
	v_addc_co_u32_e64 v7, s[6:7], v10, v7, s[6:7]
	global_store_short v[6:7], v8, off
	s_or_b64 exec, exec, s[8:9]
	s_and_saveexec_b64 s[8:9], s[2:3]
	s_cbranch_execz .LBB160_44
.LBB160_76:
	v_bfe_u32 v6, v35, 16, 1
	s_movk_i32 s6, 0x7fff
	v_add3_u32 v6, v35, v6, s6
	v_lshrrev_b32_e32 v6, 16, v6
	v_mov_b32_e32 v7, 0x7fc0
	v_cmp_o_f32_e64 s[6:7], v35, v35
	v_cndmask_b32_e64 v8, v7, v6, s[6:7]
	v_add_u32_e32 v6, v5, v3
	v_mov_b32_e32 v7, 0
	v_lshlrev_b64 v[6:7], 1, v[6:7]
	s_waitcnt lgkmcnt(0)
	v_mov_b32_e32 v10, s13
	v_add_co_u32_e64 v6, s[6:7], s12, v6
	v_addc_co_u32_e64 v7, s[6:7], v10, v7, s[6:7]
	global_store_short v[6:7], v8, off
	s_or_b64 exec, exec, s[8:9]
	s_and_saveexec_b64 s[8:9], s[4:5]
	s_cbranch_execnz .LBB160_45
	s_branch .LBB160_46
.LBB160_77:
	v_bfe_u32 v6, v31, 16, 1
	s_movk_i32 s6, 0x7fff
	v_add3_u32 v6, v31, v6, s6
	v_lshrrev_b32_e32 v6, 16, v6
	v_mov_b32_e32 v7, 0x7fc0
	v_cmp_o_f32_e64 s[6:7], v31, v31
	v_cndmask_b32_e64 v8, v7, v6, s[6:7]
	v_add_u32_e32 v6, v5, v0
	v_mov_b32_e32 v7, 0
	v_lshlrev_b64 v[6:7], 1, v[6:7]
	s_waitcnt lgkmcnt(0)
	v_mov_b32_e32 v10, s13
	v_add_co_u32_e64 v6, s[6:7], s12, v6
	v_addc_co_u32_e64 v7, s[6:7], v10, v7, s[6:7]
	global_store_short v[6:7], v8, off
	s_or_b64 exec, exec, s[8:9]
	s_and_saveexec_b64 s[8:9], s[0:1]
	s_cbranch_execz .LBB160_49
.LBB160_78:
	v_bfe_u32 v6, v29, 16, 1
	s_movk_i32 s6, 0x7fff
	v_add3_u32 v6, v29, v6, s6
	v_lshrrev_b32_e32 v6, 16, v6
	v_mov_b32_e32 v7, 0x7fc0
	v_cmp_o_f32_e64 s[6:7], v29, v29
	v_cndmask_b32_e64 v8, v7, v6, s[6:7]
	v_add_u32_e32 v6, v5, v2
	v_mov_b32_e32 v7, 0
	v_lshlrev_b64 v[6:7], 1, v[6:7]
	s_waitcnt lgkmcnt(0)
	v_mov_b32_e32 v10, s13
	v_add_co_u32_e64 v6, s[6:7], s12, v6
	v_addc_co_u32_e64 v7, s[6:7], v10, v7, s[6:7]
	global_store_short v[6:7], v8, off
	s_or_b64 exec, exec, s[8:9]
	s_and_saveexec_b64 s[8:9], s[2:3]
	s_cbranch_execz .LBB160_50
.LBB160_79:
	v_bfe_u32 v6, v27, 16, 1
	s_movk_i32 s6, 0x7fff
	v_add3_u32 v6, v27, v6, s6
	v_lshrrev_b32_e32 v6, 16, v6
	v_mov_b32_e32 v7, 0x7fc0
	v_cmp_o_f32_e64 s[6:7], v27, v27
	v_cndmask_b32_e64 v8, v7, v6, s[6:7]
	v_add_u32_e32 v6, v5, v3
	v_mov_b32_e32 v7, 0
	v_lshlrev_b64 v[6:7], 1, v[6:7]
	s_waitcnt lgkmcnt(0)
	v_mov_b32_e32 v10, s13
	v_add_co_u32_e64 v6, s[6:7], s12, v6
	v_addc_co_u32_e64 v7, s[6:7], v10, v7, s[6:7]
	global_store_short v[6:7], v8, off
	s_or_b64 exec, exec, s[8:9]
	s_and_saveexec_b64 s[8:9], s[4:5]
	s_cbranch_execnz .LBB160_51
	s_branch .LBB160_52
.LBB160_80:
	v_bfe_u32 v6, v23, 16, 1
	s_movk_i32 s6, 0x7fff
	v_add3_u32 v6, v23, v6, s6
	v_lshrrev_b32_e32 v6, 16, v6
	v_mov_b32_e32 v7, 0x7fc0
	v_cmp_o_f32_e64 s[6:7], v23, v23
	v_cndmask_b32_e64 v8, v7, v6, s[6:7]
	v_add_u32_e32 v6, v5, v0
	v_mov_b32_e32 v7, 0
	v_lshlrev_b64 v[6:7], 1, v[6:7]
	s_waitcnt lgkmcnt(0)
	v_mov_b32_e32 v10, s13
	v_add_co_u32_e64 v6, s[6:7], s12, v6
	v_addc_co_u32_e64 v7, s[6:7], v10, v7, s[6:7]
	global_store_short v[6:7], v8, off
	s_or_b64 exec, exec, s[8:9]
	s_and_saveexec_b64 s[8:9], s[0:1]
	s_cbranch_execz .LBB160_55
.LBB160_81:
	v_bfe_u32 v6, v21, 16, 1
	s_movk_i32 s6, 0x7fff
	v_add3_u32 v6, v21, v6, s6
	v_lshrrev_b32_e32 v6, 16, v6
	v_mov_b32_e32 v7, 0x7fc0
	v_cmp_o_f32_e64 s[6:7], v21, v21
	v_cndmask_b32_e64 v8, v7, v6, s[6:7]
	v_add_u32_e32 v6, v5, v2
	v_mov_b32_e32 v7, 0
	v_lshlrev_b64 v[6:7], 1, v[6:7]
	s_waitcnt lgkmcnt(0)
	v_mov_b32_e32 v10, s13
	v_add_co_u32_e64 v6, s[6:7], s12, v6
	v_addc_co_u32_e64 v7, s[6:7], v10, v7, s[6:7]
	global_store_short v[6:7], v8, off
	s_or_b64 exec, exec, s[8:9]
	s_and_saveexec_b64 s[8:9], s[2:3]
	s_cbranch_execz .LBB160_56
.LBB160_82:
	v_bfe_u32 v6, v19, 16, 1
	s_movk_i32 s6, 0x7fff
	v_add3_u32 v6, v19, v6, s6
	v_lshrrev_b32_e32 v6, 16, v6
	v_mov_b32_e32 v7, 0x7fc0
	v_cmp_o_f32_e64 s[6:7], v19, v19
	v_cndmask_b32_e64 v8, v7, v6, s[6:7]
	v_add_u32_e32 v6, v5, v3
	v_mov_b32_e32 v7, 0
	v_lshlrev_b64 v[6:7], 1, v[6:7]
	s_waitcnt lgkmcnt(0)
	v_mov_b32_e32 v10, s13
	v_add_co_u32_e64 v6, s[6:7], s12, v6
	v_addc_co_u32_e64 v7, s[6:7], v10, v7, s[6:7]
	global_store_short v[6:7], v8, off
	s_or_b64 exec, exec, s[8:9]
	s_and_saveexec_b64 s[8:9], s[4:5]
	s_cbranch_execnz .LBB160_57
	s_branch .LBB160_58
.LBB160_83:
	v_bfe_u32 v5, v15, 16, 1
	s_movk_i32 s8, 0x7fff
	v_add3_u32 v5, v15, v5, s8
	v_lshrrev_b32_e32 v5, 16, v5
	v_mov_b32_e32 v6, 0x7fc0
	v_cmp_o_f32_e32 vcc, v15, v15
	v_cndmask_b32_e32 v5, v6, v5, vcc
	v_add_u32_e32 v6, v1, v0
	v_mov_b32_e32 v7, 0
	v_lshlrev_b64 v[6:7], 1, v[6:7]
	s_waitcnt lgkmcnt(0)
	v_mov_b32_e32 v0, s13
	v_add_co_u32_e32 v6, vcc, s12, v6
	v_addc_co_u32_e32 v7, vcc, v0, v7, vcc
	global_store_short v[6:7], v5, off
	s_or_b64 exec, exec, s[6:7]
	s_and_saveexec_b64 s[6:7], s[0:1]
	s_cbranch_execz .LBB160_61
.LBB160_84:
	v_bfe_u32 v0, v13, 16, 1
	s_movk_i32 s0, 0x7fff
	v_add3_u32 v0, v13, v0, s0
	v_add_u32_e32 v6, v1, v2
	v_mov_b32_e32 v7, 0
	v_lshrrev_b32_e32 v0, 16, v0
	v_mov_b32_e32 v5, 0x7fc0
	v_cmp_o_f32_e32 vcc, v13, v13
	v_lshlrev_b64 v[6:7], 1, v[6:7]
	v_cndmask_b32_e32 v0, v5, v0, vcc
	s_waitcnt lgkmcnt(0)
	v_mov_b32_e32 v2, s13
	v_add_co_u32_e32 v6, vcc, s12, v6
	v_addc_co_u32_e32 v7, vcc, v2, v7, vcc
	global_store_short v[6:7], v0, off
	s_or_b64 exec, exec, s[6:7]
	s_and_saveexec_b64 s[0:1], s[2:3]
	s_cbranch_execz .LBB160_62
.LBB160_85:
	v_bfe_u32 v0, v11, 16, 1
	s_movk_i32 s2, 0x7fff
	v_add3_u32 v0, v11, v0, s2
	v_lshrrev_b32_e32 v0, 16, v0
	v_mov_b32_e32 v2, 0x7fc0
	v_cmp_o_f32_e32 vcc, v11, v11
	v_cndmask_b32_e32 v0, v2, v0, vcc
	v_add_u32_e32 v2, v1, v3
	v_mov_b32_e32 v3, 0
	v_lshlrev_b64 v[2:3], 1, v[2:3]
	s_waitcnt lgkmcnt(0)
	v_mov_b32_e32 v5, s13
	v_add_co_u32_e32 v2, vcc, s12, v2
	v_addc_co_u32_e32 v3, vcc, v5, v3, vcc
	global_store_short v[2:3], v0, off
	s_or_b64 exec, exec, s[0:1]
	s_and_b64 exec, exec, s[4:5]
	s_cbranch_execnz .LBB160_63
	s_branch .LBB160_64
	.section	.rodata,"a",@progbits
	.p2align	6, 0x0
	.amdhsa_kernel _ZL12mul_mat_q4_1IN3c108BFloat16ELb1EEvPKvS3_PT_iiiii
		.amdhsa_group_segment_fixed_size 30336
		.amdhsa_private_segment_fixed_size 0
		.amdhsa_kernarg_size 44
		.amdhsa_user_sgpr_count 6
		.amdhsa_user_sgpr_private_segment_buffer 1
		.amdhsa_user_sgpr_dispatch_ptr 0
		.amdhsa_user_sgpr_queue_ptr 0
		.amdhsa_user_sgpr_kernarg_segment_ptr 1
		.amdhsa_user_sgpr_dispatch_id 0
		.amdhsa_user_sgpr_flat_scratch_init 0
		.amdhsa_user_sgpr_kernarg_preload_length 0
		.amdhsa_user_sgpr_kernarg_preload_offset 0
		.amdhsa_user_sgpr_private_segment_size 0
		.amdhsa_uses_dynamic_stack 0
		.amdhsa_system_sgpr_private_segment_wavefront_offset 0
		.amdhsa_system_sgpr_workgroup_id_x 1
		.amdhsa_system_sgpr_workgroup_id_y 1
		.amdhsa_system_sgpr_workgroup_id_z 0
		.amdhsa_system_sgpr_workgroup_info 0
		.amdhsa_system_vgpr_workitem_id 1
		.amdhsa_next_free_vgpr 170
		.amdhsa_next_free_sgpr 18
		.amdhsa_accum_offset 172
		.amdhsa_reserve_vcc 1
		.amdhsa_reserve_flat_scratch 0
		.amdhsa_float_round_mode_32 0
		.amdhsa_float_round_mode_16_64 0
		.amdhsa_float_denorm_mode_32 3
		.amdhsa_float_denorm_mode_16_64 3
		.amdhsa_dx10_clamp 1
		.amdhsa_ieee_mode 1
		.amdhsa_fp16_overflow 0
		.amdhsa_tg_split 0
		.amdhsa_exception_fp_ieee_invalid_op 0
		.amdhsa_exception_fp_denorm_src 0
		.amdhsa_exception_fp_ieee_div_zero 0
		.amdhsa_exception_fp_ieee_overflow 0
		.amdhsa_exception_fp_ieee_underflow 0
		.amdhsa_exception_fp_ieee_inexact 0
		.amdhsa_exception_int_div_zero 0
	.end_amdhsa_kernel
	.section	.text._ZL12mul_mat_q4_1IN3c108BFloat16ELb1EEvPKvS3_PT_iiiii,"axG",@progbits,_ZL12mul_mat_q4_1IN3c108BFloat16ELb1EEvPKvS3_PT_iiiii,comdat
.Lfunc_end160:
	.size	_ZL12mul_mat_q4_1IN3c108BFloat16ELb1EEvPKvS3_PT_iiiii, .Lfunc_end160-_ZL12mul_mat_q4_1IN3c108BFloat16ELb1EEvPKvS3_PT_iiiii
                                        ; -- End function
	.section	.AMDGPU.csdata,"",@progbits
; Kernel info:
; codeLenInByte = 12620
; NumSgprs: 22
; NumVgprs: 170
; NumAgprs: 0
; TotalNumVgprs: 170
; ScratchSize: 0
; MemoryBound: 0
; FloatMode: 240
; IeeeMode: 1
; LDSByteSize: 30336 bytes/workgroup (compile time only)
; SGPRBlocks: 2
; VGPRBlocks: 21
; NumSGPRsForWavesPerEU: 22
; NumVGPRsForWavesPerEU: 170
; AccumOffset: 172
; Occupancy: 2
; WaveLimiterHint : 0
; COMPUTE_PGM_RSRC2:SCRATCH_EN: 0
; COMPUTE_PGM_RSRC2:USER_SGPR: 6
; COMPUTE_PGM_RSRC2:TRAP_HANDLER: 0
; COMPUTE_PGM_RSRC2:TGID_X_EN: 1
; COMPUTE_PGM_RSRC2:TGID_Y_EN: 1
; COMPUTE_PGM_RSRC2:TGID_Z_EN: 0
; COMPUTE_PGM_RSRC2:TIDIG_COMP_CNT: 1
; COMPUTE_PGM_RSRC3_GFX90A:ACCUM_OFFSET: 42
; COMPUTE_PGM_RSRC3_GFX90A:TG_SPLIT: 0
	.section	.text._ZL12mul_mat_q5_0IN3c108BFloat16ELb0EEvPKvS3_PT_iiiii,"axG",@progbits,_ZL12mul_mat_q5_0IN3c108BFloat16ELb0EEvPKvS3_PT_iiiii,comdat
	.globl	_ZL12mul_mat_q5_0IN3c108BFloat16ELb0EEvPKvS3_PT_iiiii ; -- Begin function _ZL12mul_mat_q5_0IN3c108BFloat16ELb0EEvPKvS3_PT_iiiii
	.p2align	8
	.type	_ZL12mul_mat_q5_0IN3c108BFloat16ELb0EEvPKvS3_PT_iiiii,@function
_ZL12mul_mat_q5_0IN3c108BFloat16ELb0EEvPKvS3_PT_iiiii: ; @_ZL12mul_mat_q5_0IN3c108BFloat16ELb0EEvPKvS3_PT_iiiii
; %bb.0:
	s_load_dword s14, s[4:5], 0x18
	s_load_dwordx4 s[8:11], s[4:5], 0x20
	s_waitcnt lgkmcnt(0)
	s_lshl_b32 s11, s7, 6
	v_bfe_u32 v35, v0, 10, 10
	s_cmp_gt_i32 s14, 31
	s_cbranch_scc1 .LBB161_2
; %bb.1:
	v_bfe_u32 v34, v0, 10, 10
	s_mov_b32 s0, 0
	v_and_b32_e32 v1, 0x3ff, v0
	v_add_u32_e32 v37, s11, v34
	s_mov_b32 s1, s0
	s_mov_b64 s[2:3], 0
	s_branch .LBB161_3
.LBB161_2:
	s_mov_b64 s[2:3], -1
                                        ; implicit-def: $sgpr0_sgpr1
                                        ; implicit-def: $vgpr34
                                        ; implicit-def: $vgpr1
                                        ; implicit-def: $vgpr37
.LBB161_3:
	s_load_dwordx2 s[12:13], s[4:5], 0x10
	s_lshl_b32 s6, s6, 7
	s_andn2_b64 vcc, exec, s[2:3]
	v_pk_mov_b32 v[2:3], s[0:1], s[0:1] op_sel:[0,1]
	v_pk_mov_b32 v[10:11], s[0:1], s[0:1] op_sel:[0,1]
	;; [unrolled: 1-line block ×16, first 2 shown]
	s_cbranch_vccnz .LBB161_13
; %bb.4:
	s_load_dwordx4 s[0:3], s[4:5], 0x0
	s_ashr_i32 s4, s14, 31
	s_lshr_b32 s4, s4, 27
	s_ashr_i32 s5, s9, 31
	s_add_i32 s4, s14, s4
	s_lshr_b32 s5, s5, 27
	s_ashr_i32 s7, s4, 5
	s_add_i32 s5, s9, s5
	s_ashr_i32 s15, s5, 5
	s_mul_i32 s5, s7, s6
	s_mul_hi_i32 s14, s5, 22
	s_mul_i32 s5, s5, 22
	s_waitcnt lgkmcnt(0)
	s_add_u32 s9, s0, s5
	s_addc_u32 s14, s1, s14
	v_mul_lo_u32 v36, s7, v35
	s_lshl_b32 s5, s7, 3
	v_add_u32_e32 v38, s5, v36
	v_add_u32_e32 v40, s5, v38
	;; [unrolled: 1-line block ×11, first 2 shown]
	v_and_b32_e32 v1, 0x3ff, v0
	v_add_u32_e32 v60, s5, v58
	v_lshlrev_b32_e32 v3, 3, v1
	s_movk_i32 s1, 0x104
	v_add_u32_e32 v62, s5, v60
	v_lshrrev_b32_e32 v71, 3, v1
	v_mad_u32_u24 v39, v35, s1, v3
	v_add_u32_e32 v64, s5, v62
	v_and_b32_e32 v68, 7, v1
	v_lshl_add_u32 v3, v35, 2, v71
	v_add_u32_e32 v66, s5, v64
	v_and_b32_e32 v4, 0x7fc, v3
	v_lshlrev_b32_e32 v5, 2, v68
	s_mov_b32 s5, 0xa200
	v_add3_u32 v6, v4, v5, s5
	v_add_u32_e32 v4, 32, v3
	v_mul_lo_u32 v70, s7, v3
	v_lshlrev_b32_e32 v7, 5, v3
	v_and_b32_e32 v8, 0xffc, v4
	v_lshlrev_b32_e32 v9, 5, v4
	v_add_u32_e32 v4, 64, v3
	v_add_u32_e32 v3, 0x60, v3
	v_and_b32_e32 v10, 0xffc, v4
	v_lshlrev_b32_e32 v11, 5, v4
	v_and_b32_e32 v4, 0xffc, v3
	v_lshlrev_b32_e32 v13, 5, v3
	v_lshlrev_b32_e32 v3, 2, v1
	v_lshrrev_b32_e32 v0, 2, v1
	s_andn2_b32 s4, s4, 31
	v_and_b32_e32 v3, 28, v3
	v_add_u32_e32 v72, s4, v70
	v_add_co_u32_e32 v78, vcc, s2, v3
	v_lshl_add_u32 v3, v35, 3, v0
	v_add_u32_e32 v74, s4, v72
	v_mov_b32_e32 v15, s3
	v_and_b32_e32 v3, 63, v3
	v_and_b32_e32 v2, 3, v1
	v_add_u32_e32 v76, s4, v74
	s_add_i32 s4, s8, -1
	v_addc_co_u32_e32 v79, vcc, 0, v15, vcc
	v_or_b32_e32 v15, s11, v3
	v_lshlrev_b32_e32 v34, 2, v2
	v_min_i32_e32 v15, s4, v15
	v_add3_u32 v8, v8, v5, s5
	v_add3_u32 v10, v10, v5, s5
	;; [unrolled: 1-line block ×3, first 2 shown]
	v_add_u32_e32 v37, s11, v35
	v_cvt_f64_i32_e32 v[4:5], s4
	v_mad_u64_u32 v[80:81], s[4:5], v15, s15, v[2:3]
	v_lshl_or_b32 v2, v3, 4, v34
	v_add_u32_e32 v73, 0xb280, v2
	v_cvt_f64_u32_e32 v[2:3], v37
	v_min_f64 v[2:3], v[2:3], v[4:5]
	v_cvt_i32_f64_e32 v2, v[2:3]
	v_mul_lo_u32 v75, s15, v2
	v_add_u32_e32 v2, 8, v37
	v_cvt_f64_u32_e32 v[2:3], v2
	v_min_f64 v[2:3], v[2:3], v[4:5]
	v_cvt_i32_f64_e32 v2, v[2:3]
	v_mul_lo_u32 v81, s15, v2
	;; [unrolled: 5-line block ×8, first 2 shown]
	v_add_u32_e32 v2, 32, v1
	v_lshlrev_b32_e32 v5, 5, v1
	v_lshrrev_b32_e32 v135, 3, v2
	v_and_b32_e32 v2, 0x1fc, v2
	v_and_b32_e32 v14, 31, v1
	v_lshlrev_b32_e32 v15, 7, v35
	v_add_u32_e32 v2, v5, v2
	s_mov_b32 s0, 0
	v_lshl_or_b32 v14, v14, 2, v15
	v_add_u32_e32 v3, 64, v1
	v_add_u32_e32 v4, 0x60, v1
	;; [unrolled: 1-line block ×4, first 2 shown]
	v_mov_b32_e32 v2, 0x80
	v_add_u32_e32 v77, 0x8200, v14
	v_add_u32_e32 v85, 0x8600, v14
	v_add_u32_e32 v91, 0x8a00, v14
	v_add_u32_e32 v125, 0x8e00, v14
	v_add_u32_e32 v127, 0x9200, v14
	v_add_u32_e32 v129, 0x9600, v14
	v_add_u32_e32 v131, 0x9a00, v14
	v_add_u32_e32 v133, 0x9e00, v14
	v_and_b32_e32 v4, 0x1fc, v4
	v_and_b32_e32 v3, 0x1fc, v3
	;; [unrolled: 1-line block ×3, first 2 shown]
	v_mad_u32_u24 v146, v1, s1, v2
	s_mov_b32 s1, s0
	v_add_u32_e32 v4, v5, v4
	v_add_u32_e32 v3, v5, v3
	;; [unrolled: 1-line block ×3, first 2 shown]
	v_mov_b32_e32 v14, 0xb280
	v_pk_mov_b32 v[32:33], s[0:1], s[0:1] op_sel:[0,1]
	v_add_u32_e32 v41, 0x820, v39
	v_add_u32_e32 v43, 0x1040, v39
	;; [unrolled: 1-line block ×15, first 2 shown]
	v_mul_u32_u24_e32 v134, 0x104, v1
	v_add_u32_e32 v136, 0xae00, v4
	v_add_u32_e32 v137, 0xaa00, v3
	;; [unrolled: 1-line block ×4, first 2 shown]
	v_lshl_add_u32 v141, v35, 4, v14
	v_add_u32_e32 v142, 0xae10, v4
	v_add_u32_e32 v143, 0xaa10, v3
	;; [unrolled: 1-line block ×3, first 2 shown]
	s_movk_i32 s1, 0x1f00
	s_movk_i32 s15, 0xf000
	;; [unrolled: 1-line block ×3, first 2 shown]
	v_add_u32_e32 v147, v6, v7
	v_add_u32_e32 v148, v8, v9
	;; [unrolled: 1-line block ×4, first 2 shown]
	v_mov_b32_e32 v151, 8
	v_pk_mov_b32 v[24:25], v[32:33], v[32:33] op_sel:[0,1]
	v_pk_mov_b32 v[16:17], v[32:33], v[32:33] op_sel:[0,1]
	;; [unrolled: 1-line block ×15, first 2 shown]
	s_branch .LBB161_6
.LBB161_5:                              ;   in Loop: Header=BB161_6 Depth=1
	s_add_i32 s0, s0, 8
	s_cmp_ge_i32 s0, s7
	s_cbranch_scc1 .LBB161_12
.LBB161_6:                              ; =>This Loop Header: Depth=1
                                        ;     Child Loop BB161_7 Depth 2
                                        ;     Child Loop BB161_10 Depth 2
	s_mul_i32 s4, s0, 22
	s_mul_hi_u32 s5, s0, 22
	s_add_u32 s4, s9, s4
	s_addc_u32 s5, s14, s5
	v_mad_u64_u32 v[82:83], s[18:19], v0, 22, s[4:5]
	v_mad_u64_u32 v[88:89], s[18:19], v36, 22, v[82:83]
	v_add_co_u32_e32 v92, vcc, v88, v34
	v_addc_co_u32_e32 v93, vcc, 0, v89, vcc
	v_mad_u64_u32 v[98:99], s[18:19], v42, 22, v[82:83]
	v_mad_u64_u32 v[94:95], s[18:19], v38, 22, v[82:83]
	;; [unrolled: 1-line block ×3, first 2 shown]
	global_load_dword v84, v[98:99], off offset:2
	global_load_dword v86, v[96:97], off offset:2
	;; [unrolled: 1-line block ×3, first 2 shown]
	s_nop 0
	global_load_dword v92, v[92:93], off offset:6
	s_nop 0
	global_load_dword v93, v[88:89], off offset:2
	v_add_co_u32_e32 v88, vcc, v94, v34
	v_addc_co_u32_e32 v89, vcc, 0, v95, vcc
	global_load_dword v94, v[88:89], off offset:6
	v_add_co_u32_e32 v88, vcc, v96, v34
	v_addc_co_u32_e32 v89, vcc, 0, v97, vcc
	;; [unrolled: 3-line block ×3, first 2 shown]
	global_load_dword v107, v[88:89], off offset:6
	v_mov_b32_e32 v152, v141
	v_mov_b32_e32 v153, v140
	;; [unrolled: 1-line block ×7, first 2 shown]
	s_waitcnt vmcnt(7)
	v_ashrrev_i32_e32 v84, v34, v84
	s_waitcnt vmcnt(6)
	v_ashrrev_i32_e32 v86, v34, v86
	;; [unrolled: 2-line block ×3, first 2 shown]
	s_waitcnt vmcnt(4)
	v_and_b32_e32 v89, 0xf0f0f0f, v92
	s_waitcnt vmcnt(3)
	v_ashrrev_i32_e32 v88, v34, v93
	v_lshlrev_b32_e32 v95, 4, v88
	v_lshlrev_b32_e32 v96, 11, v88
	;; [unrolled: 1-line block ×4, first 2 shown]
	v_lshrrev_b32_e32 v99, 12, v88
	v_lshrrev_b32_e32 v100, 5, v88
	v_lshlrev_b32_e32 v101, 2, v88
	v_lshrrev_b32_e32 v92, 4, v92
	v_lshlrev_b32_e32 v88, 9, v88
	v_and_b32_e32 v95, 16, v95
	v_and_b32_e32 v96, 0x1000, v96
	;; [unrolled: 1-line block ×9, first 2 shown]
	v_or3_b32 v95, v95, v89, v96
	v_or3_b32 v89, v89, v97, v98
	;; [unrolled: 1-line block ×3, first 2 shown]
	v_and_b32_e32 v98, 0x1f00, v95
	v_lshlrev_b16_e32 v95, 8, v95
	v_and_b32_sdwa v99, v89, s1 dst_sel:DWORD dst_unused:UNUSED_PAD src0_sel:WORD_1 src1_sel:DWORD
	v_lshlrev_b16_sdwa v89, v151, v89 dst_sel:DWORD dst_unused:UNUSED_PAD src0_sel:DWORD src1_sel:WORD_1
	v_or3_b32 v88, v96, v88, v92
	v_add_u16_e32 v92, 0xf000, v95
	v_add_u16_e32 v89, 0xf000, v89
	v_lshlrev_b16_e32 v96, 8, v88
	v_and_b32_sdwa v100, v88, s16 dst_sel:DWORD dst_unused:UNUSED_PAD src0_sel:WORD_1 src1_sel:DWORD
	v_lshlrev_b32_e32 v102, 4, v90
	v_lshlrev_b32_e32 v103, 11, v90
	v_and_b32_e32 v95, 0x1f00, v88
	v_lshlrev_b16_sdwa v88, v151, v88 dst_sel:DWORD dst_unused:UNUSED_PAD src0_sel:DWORD src1_sel:WORD_1
	v_or_b32_sdwa v92, v98, v92 dst_sel:DWORD dst_unused:UNUSED_PAD src0_sel:DWORD src1_sel:BYTE_1
	v_or_b32_sdwa v89, v99, v89 dst_sel:DWORD dst_unused:UNUSED_PAD src0_sel:DWORD src1_sel:BYTE_1
	v_add_i16 v96, v96, s15 clamp
	v_add_i16 v98, v100, s15 clamp
	s_waitcnt vmcnt(2)
	v_and_b32_e32 v93, 0xf0f0f0f, v94
	v_and_b32_e32 v102, 16, v102
	;; [unrolled: 1-line block ×3, first 2 shown]
	v_add_i16 v88, v88, s15 clamp
	v_add_u16_e32 v92, 0xf000, v92
	v_add_u16_sdwa v89, v89, s15 dst_sel:WORD_1 dst_unused:UNUSED_PAD src0_sel:DWORD src1_sel:DWORD
	v_or_b32_sdwa v95, v95, v96 dst_sel:DWORD dst_unused:UNUSED_PAD src0_sel:DWORD src1_sel:BYTE_1
	v_and_b32_e32 v96, 0xffffff00, v98
	v_lshlrev_b32_e32 v104, 18, v90
	v_lshlrev_b32_e32 v105, 25, v90
	v_or3_b32 v97, v102, v93, v103
	v_or_b32_e32 v89, v92, v89
	v_add_u16_e32 v92, 0xf000, v95
	v_or_b32_sdwa v88, v88, v96 dst_sel:WORD_1 dst_unused:UNUSED_PAD src0_sel:BYTE_1 src1_sel:DWORD
	v_and_b32_e32 v104, 0x100000, v104
	v_and_b32_e32 v105, 0x10000000, v105
	v_or_b32_e32 v88, v92, v88
	v_lshlrev_b16_e32 v92, 8, v97
	ds_write2_b32 v39, v89, v88 offset1:1
	v_or3_b32 v88, v93, v104, v105
	v_and_b32_e32 v89, 0x1f00, v97
	v_add_u16_e32 v92, 0xf000, v92
	v_or_b32_sdwa v89, v89, v92 dst_sel:DWORD dst_unused:UNUSED_PAD src0_sel:DWORD src1_sel:BYTE_1
	v_and_b32_sdwa v92, v88, s1 dst_sel:DWORD dst_unused:UNUSED_PAD src0_sel:WORD_1 src1_sel:DWORD
	v_lshlrev_b16_sdwa v88, v151, v88 dst_sel:DWORD dst_unused:UNUSED_PAD src0_sel:DWORD src1_sel:WORD_1
	v_add_u16_e32 v88, 0xf000, v88
	v_or_b32_sdwa v88, v92, v88 dst_sel:DWORD dst_unused:UNUSED_PAD src0_sel:DWORD src1_sel:BYTE_1
	v_add_u16_e32 v89, 0xf000, v89
	v_add_u16_sdwa v88, v88, s15 dst_sel:WORD_1 dst_unused:UNUSED_PAD src0_sel:DWORD src1_sel:DWORD
	v_or_b32_e32 v88, v89, v88
	v_lshrrev_b32_e32 v89, 4, v94
	v_lshrrev_b32_e32 v92, 12, v90
	;; [unrolled: 1-line block ×3, first 2 shown]
	v_lshlrev_b32_e32 v94, 2, v90
	v_and_b32_e32 v92, 16, v92
	v_and_b32_e32 v93, 0x1000, v93
	;; [unrolled: 1-line block ×3, first 2 shown]
	v_lshlrev_b32_e32 v90, 9, v90
	v_and_b32_e32 v89, 0xf0f0f0f, v89
	v_and_b32_e32 v90, 0x10000000, v90
	v_or3_b32 v92, v93, v92, v94
	v_or3_b32 v89, v92, v90, v89
	v_lshlrev_b16_e32 v92, 8, v89
	v_and_b32_e32 v90, 0x1f00, v89
	v_add_i16 v92, v92, s15 clamp
	v_or_b32_sdwa v90, v90, v92 dst_sel:DWORD dst_unused:UNUSED_PAD src0_sel:DWORD src1_sel:BYTE_1
	v_and_b32_sdwa v92, v89, s16 dst_sel:DWORD dst_unused:UNUSED_PAD src0_sel:WORD_1 src1_sel:DWORD
	v_add_i16 v92, v92, s15 clamp
	v_lshlrev_b16_sdwa v89, v151, v89 dst_sel:DWORD dst_unused:UNUSED_PAD src0_sel:DWORD src1_sel:WORD_1
	v_and_b32_e32 v92, 0xffffff00, v92
	v_add_i16 v89, v89, s15 clamp
	v_add_u16_e32 v90, 0xf000, v90
	v_or_b32_sdwa v89, v89, v92 dst_sel:WORD_1 dst_unused:UNUSED_PAD src0_sel:BYTE_1 src1_sel:DWORD
	v_or_b32_e32 v89, v90, v89
	ds_write2_b32 v41, v88, v89 offset1:1
	v_lshlrev_b32_e32 v89, 4, v86
	v_lshlrev_b32_e32 v90, 11, v86
	s_waitcnt vmcnt(1)
	v_and_b32_e32 v88, 0xf0f0f0f, v106
	v_and_b32_e32 v89, 16, v89
	;; [unrolled: 1-line block ×3, first 2 shown]
	v_or3_b32 v89, v89, v88, v90
	v_lshlrev_b32_e32 v90, 18, v86
	v_lshlrev_b32_e32 v92, 25, v86
	v_and_b32_e32 v90, 0x100000, v90
	v_and_b32_e32 v92, 0x10000000, v92
	v_or3_b32 v90, v88, v90, v92
	v_and_b32_e32 v88, 0x1f00, v89
	v_lshlrev_b16_e32 v89, 8, v89
	v_add_u16_e32 v89, 0xf000, v89
	v_or_b32_sdwa v88, v88, v89 dst_sel:DWORD dst_unused:UNUSED_PAD src0_sel:DWORD src1_sel:BYTE_1
	v_add_u16_e32 v108, 0xf000, v88
	v_mad_u64_u32 v[88:89], s[18:19], v44, 22, v[82:83]
	v_add_co_u32_e32 v92, vcc, v88, v34
	v_addc_co_u32_e32 v93, vcc, 0, v89, vcc
	v_mad_u64_u32 v[94:95], s[18:19], v46, 22, v[82:83]
	v_add_co_u32_e32 v96, vcc, v94, v34
	v_addc_co_u32_e32 v97, vcc, 0, v95, vcc
	;; [unrolled: 3-line block ×4, first 2 shown]
	global_load_dword v109, v[104:105], off offset:6
	global_load_dword v110, v[102:103], off offset:2
	;; [unrolled: 1-line block ×3, first 2 shown]
	s_nop 0
	global_load_dword v98, v[98:99], off offset:2
	s_nop 0
	global_load_dword v96, v[96:97], off offset:6
	;; [unrolled: 2-line block ×5, first 2 shown]
	v_and_b32_sdwa v89, v90, s1 dst_sel:DWORD dst_unused:UNUSED_PAD src0_sel:WORD_1 src1_sel:DWORD
	v_lshlrev_b16_sdwa v90, v151, v90 dst_sel:DWORD dst_unused:UNUSED_PAD src0_sel:DWORD src1_sel:WORD_1
	v_add_u16_e32 v90, 0xf000, v90
	v_lshrrev_b32_e32 v93, 12, v86
	v_lshrrev_b32_e32 v95, 5, v86
	v_lshlrev_b32_e32 v97, 2, v86
	v_or_b32_sdwa v89, v89, v90 dst_sel:DWORD dst_unused:UNUSED_PAD src0_sel:DWORD src1_sel:BYTE_1
	v_lshrrev_b32_e32 v90, 4, v106
	v_and_b32_e32 v93, 16, v93
	v_and_b32_e32 v95, 0x1000, v95
	;; [unrolled: 1-line block ×3, first 2 shown]
	v_lshlrev_b32_e32 v86, 9, v86
	v_and_b32_e32 v90, 0xf0f0f0f, v90
	v_and_b32_e32 v86, 0x10000000, v86
	v_or3_b32 v93, v95, v93, v97
	v_or3_b32 v86, v93, v86, v90
	v_lshlrev_b16_e32 v93, 8, v86
	v_and_b32_e32 v90, 0x1f00, v86
	v_add_i16 v93, v93, s15 clamp
	v_or_b32_sdwa v90, v90, v93 dst_sel:DWORD dst_unused:UNUSED_PAD src0_sel:DWORD src1_sel:BYTE_1
	v_and_b32_sdwa v93, v86, s16 dst_sel:DWORD dst_unused:UNUSED_PAD src0_sel:WORD_1 src1_sel:DWORD
	v_add_i16 v93, v93, s15 clamp
	v_lshlrev_b16_sdwa v86, v151, v86 dst_sel:DWORD dst_unused:UNUSED_PAD src0_sel:DWORD src1_sel:WORD_1
	v_and_b32_e32 v93, 0xffffff00, v93
	v_add_i16 v86, v86, s15 clamp
	v_add_u16_sdwa v89, v89, s15 dst_sel:WORD_1 dst_unused:UNUSED_PAD src0_sel:DWORD src1_sel:DWORD
	v_add_u16_e32 v90, 0xf000, v90
	v_or_b32_sdwa v86, v86, v93 dst_sel:WORD_1 dst_unused:UNUSED_PAD src0_sel:BYTE_1 src1_sel:DWORD
	v_or_b32_e32 v89, v108, v89
	v_or_b32_e32 v86, v90, v86
	ds_write2_b32 v43, v89, v86 offset1:1
	v_lshlrev_b32_e32 v89, 4, v84
	v_lshlrev_b32_e32 v90, 11, v84
	s_waitcnt vmcnt(8)
	v_and_b32_e32 v86, 0xf0f0f0f, v107
	v_and_b32_e32 v89, 16, v89
	;; [unrolled: 1-line block ×3, first 2 shown]
	v_or3_b32 v89, v89, v86, v90
	v_lshlrev_b32_e32 v90, 18, v84
	v_lshlrev_b32_e32 v93, 25, v84
	v_and_b32_e32 v90, 0x100000, v90
	v_and_b32_e32 v93, 0x10000000, v93
	v_or3_b32 v86, v86, v90, v93
	v_and_b32_e32 v90, 0x1f00, v89
	v_lshlrev_b16_e32 v89, 8, v89
	v_add_u16_e32 v89, 0xf000, v89
	v_or_b32_sdwa v89, v90, v89 dst_sel:DWORD dst_unused:UNUSED_PAD src0_sel:DWORD src1_sel:BYTE_1
	v_and_b32_sdwa v90, v86, s1 dst_sel:DWORD dst_unused:UNUSED_PAD src0_sel:WORD_1 src1_sel:DWORD
	v_lshlrev_b16_sdwa v86, v151, v86 dst_sel:DWORD dst_unused:UNUSED_PAD src0_sel:DWORD src1_sel:WORD_1
	v_add_u16_e32 v86, 0xf000, v86
	v_or_b32_sdwa v86, v90, v86 dst_sel:DWORD dst_unused:UNUSED_PAD src0_sel:DWORD src1_sel:BYTE_1
	v_add_u16_e32 v89, 0xf000, v89
	v_add_u16_sdwa v86, v86, s15 dst_sel:WORD_1 dst_unused:UNUSED_PAD src0_sel:DWORD src1_sel:DWORD
	v_lshrrev_b32_e32 v90, 12, v84
	v_lshrrev_b32_e32 v93, 5, v84
	v_lshlrev_b32_e32 v95, 2, v84
	v_or_b32_e32 v86, v89, v86
	v_lshrrev_b32_e32 v89, 4, v107
	v_and_b32_e32 v90, 16, v90
	v_and_b32_e32 v93, 0x1000, v93
	;; [unrolled: 1-line block ×3, first 2 shown]
	v_lshlrev_b32_e32 v84, 9, v84
	v_and_b32_e32 v89, 0xf0f0f0f, v89
	v_and_b32_e32 v84, 0x10000000, v84
	v_or3_b32 v90, v93, v90, v95
	v_or3_b32 v84, v90, v84, v89
	v_lshlrev_b16_e32 v90, 8, v84
	v_and_b32_e32 v89, 0x1f00, v84
	v_add_i16 v90, v90, s15 clamp
	v_or_b32_sdwa v89, v89, v90 dst_sel:DWORD dst_unused:UNUSED_PAD src0_sel:DWORD src1_sel:BYTE_1
	v_and_b32_sdwa v90, v84, s16 dst_sel:DWORD dst_unused:UNUSED_PAD src0_sel:WORD_1 src1_sel:DWORD
	v_add_i16 v90, v90, s15 clamp
	v_lshlrev_b16_sdwa v84, v151, v84 dst_sel:DWORD dst_unused:UNUSED_PAD src0_sel:DWORD src1_sel:WORD_1
	v_and_b32_e32 v90, 0xffffff00, v90
	v_add_i16 v84, v84, s15 clamp
	v_add_u16_e32 v89, 0xf000, v89
	v_or_b32_sdwa v84, v84, v90 dst_sel:WORD_1 dst_unused:UNUSED_PAD src0_sel:BYTE_1 src1_sel:DWORD
	v_or_b32_e32 v84, v89, v84
	ds_write2_b32 v45, v86, v84 offset1:1
	s_waitcnt vmcnt(1)
	v_and_b32_e32 v86, 0xf0f0f0f, v92
	s_waitcnt vmcnt(0)
	v_ashrrev_i32_e32 v84, v34, v88
	v_lshlrev_b32_e32 v88, 4, v84
	v_lshlrev_b32_e32 v89, 11, v84
	v_and_b32_e32 v88, 16, v88
	v_and_b32_e32 v89, 0x1000, v89
	v_or3_b32 v88, v88, v86, v89
	v_lshlrev_b32_e32 v89, 18, v84
	v_lshlrev_b32_e32 v90, 25, v84
	v_and_b32_e32 v89, 0x100000, v89
	v_and_b32_e32 v90, 0x10000000, v90
	v_or3_b32 v86, v86, v89, v90
	v_and_b32_e32 v89, 0x1f00, v88
	v_lshlrev_b16_e32 v88, 8, v88
	v_add_u16_e32 v88, 0xf000, v88
	v_or_b32_sdwa v88, v89, v88 dst_sel:DWORD dst_unused:UNUSED_PAD src0_sel:DWORD src1_sel:BYTE_1
	v_and_b32_sdwa v89, v86, s1 dst_sel:DWORD dst_unused:UNUSED_PAD src0_sel:WORD_1 src1_sel:DWORD
	v_lshlrev_b16_sdwa v86, v151, v86 dst_sel:DWORD dst_unused:UNUSED_PAD src0_sel:DWORD src1_sel:WORD_1
	v_add_u16_e32 v86, 0xf000, v86
	v_or_b32_sdwa v86, v89, v86 dst_sel:DWORD dst_unused:UNUSED_PAD src0_sel:DWORD src1_sel:BYTE_1
	v_add_u16_e32 v88, 0xf000, v88
	v_add_u16_sdwa v86, v86, s15 dst_sel:WORD_1 dst_unused:UNUSED_PAD src0_sel:DWORD src1_sel:DWORD
	v_or_b32_e32 v86, v88, v86
	v_lshrrev_b32_e32 v88, 4, v92
	v_lshrrev_b32_e32 v89, 12, v84
	;; [unrolled: 1-line block ×3, first 2 shown]
	v_lshlrev_b32_e32 v92, 2, v84
	v_and_b32_e32 v89, 16, v89
	v_and_b32_e32 v90, 0x1000, v90
	;; [unrolled: 1-line block ×3, first 2 shown]
	v_lshlrev_b32_e32 v84, 9, v84
	v_and_b32_e32 v88, 0xf0f0f0f, v88
	v_and_b32_e32 v84, 0x10000000, v84
	v_or3_b32 v89, v90, v89, v92
	v_or3_b32 v84, v89, v84, v88
	v_lshlrev_b16_e32 v89, 8, v84
	v_and_b32_e32 v88, 0x1f00, v84
	v_add_i16 v89, v89, s15 clamp
	v_or_b32_sdwa v88, v88, v89 dst_sel:DWORD dst_unused:UNUSED_PAD src0_sel:DWORD src1_sel:BYTE_1
	v_and_b32_sdwa v89, v84, s16 dst_sel:DWORD dst_unused:UNUSED_PAD src0_sel:WORD_1 src1_sel:DWORD
	v_add_i16 v89, v89, s15 clamp
	v_lshlrev_b16_sdwa v84, v151, v84 dst_sel:DWORD dst_unused:UNUSED_PAD src0_sel:DWORD src1_sel:WORD_1
	v_and_b32_e32 v89, 0xffffff00, v89
	v_add_i16 v84, v84, s15 clamp
	v_add_u16_e32 v88, 0xf000, v88
	v_or_b32_sdwa v84, v84, v89 dst_sel:WORD_1 dst_unused:UNUSED_PAD src0_sel:BYTE_1 src1_sel:DWORD
	v_or_b32_e32 v84, v88, v84
	ds_write2_b32 v47, v86, v84 offset1:1
	v_ashrrev_i32_e32 v84, v34, v94
	v_lshlrev_b32_e32 v88, 4, v84
	v_lshlrev_b32_e32 v89, 11, v84
	v_and_b32_e32 v86, 0xf0f0f0f, v96
	v_and_b32_e32 v88, 16, v88
	;; [unrolled: 1-line block ×3, first 2 shown]
	v_or3_b32 v88, v88, v86, v89
	v_lshlrev_b32_e32 v89, 18, v84
	v_lshlrev_b32_e32 v90, 25, v84
	v_and_b32_e32 v89, 0x100000, v89
	v_and_b32_e32 v90, 0x10000000, v90
	v_or3_b32 v86, v86, v89, v90
	v_and_b32_e32 v89, 0x1f00, v88
	v_lshlrev_b16_e32 v88, 8, v88
	v_add_u16_e32 v88, 0xf000, v88
	v_or_b32_sdwa v88, v89, v88 dst_sel:DWORD dst_unused:UNUSED_PAD src0_sel:DWORD src1_sel:BYTE_1
	v_and_b32_sdwa v89, v86, s1 dst_sel:DWORD dst_unused:UNUSED_PAD src0_sel:WORD_1 src1_sel:DWORD
	v_lshlrev_b16_sdwa v86, v151, v86 dst_sel:DWORD dst_unused:UNUSED_PAD src0_sel:DWORD src1_sel:WORD_1
	v_add_u16_e32 v86, 0xf000, v86
	v_or_b32_sdwa v86, v89, v86 dst_sel:DWORD dst_unused:UNUSED_PAD src0_sel:DWORD src1_sel:BYTE_1
	v_add_u16_e32 v88, 0xf000, v88
	v_add_u16_sdwa v86, v86, s15 dst_sel:WORD_1 dst_unused:UNUSED_PAD src0_sel:DWORD src1_sel:DWORD
	v_lshrrev_b32_e32 v89, 12, v84
	v_lshrrev_b32_e32 v90, 5, v84
	v_lshlrev_b32_e32 v92, 2, v84
	v_or_b32_e32 v86, v88, v86
	v_lshrrev_b32_e32 v88, 4, v96
	v_and_b32_e32 v89, 16, v89
	v_and_b32_e32 v90, 0x1000, v90
	;; [unrolled: 1-line block ×3, first 2 shown]
	v_lshlrev_b32_e32 v84, 9, v84
	v_and_b32_e32 v88, 0xf0f0f0f, v88
	v_and_b32_e32 v84, 0x10000000, v84
	v_or3_b32 v89, v90, v89, v92
	v_or3_b32 v84, v89, v84, v88
	v_lshlrev_b16_e32 v89, 8, v84
	v_and_b32_e32 v88, 0x1f00, v84
	v_add_i16 v89, v89, s15 clamp
	v_or_b32_sdwa v88, v88, v89 dst_sel:DWORD dst_unused:UNUSED_PAD src0_sel:DWORD src1_sel:BYTE_1
	v_and_b32_sdwa v89, v84, s16 dst_sel:DWORD dst_unused:UNUSED_PAD src0_sel:WORD_1 src1_sel:DWORD
	v_add_i16 v89, v89, s15 clamp
	v_lshlrev_b16_sdwa v84, v151, v84 dst_sel:DWORD dst_unused:UNUSED_PAD src0_sel:DWORD src1_sel:WORD_1
	v_and_b32_e32 v89, 0xffffff00, v89
	v_add_i16 v84, v84, s15 clamp
	v_add_u16_e32 v88, 0xf000, v88
	v_or_b32_sdwa v84, v84, v89 dst_sel:WORD_1 dst_unused:UNUSED_PAD src0_sel:BYTE_1 src1_sel:DWORD
	v_or_b32_e32 v84, v88, v84
	ds_write2_b32 v49, v86, v84 offset1:1
	v_ashrrev_i32_e32 v84, v34, v98
	v_lshlrev_b32_e32 v88, 4, v84
	v_lshlrev_b32_e32 v89, 11, v84
	v_and_b32_e32 v86, 0xf0f0f0f, v111
	v_and_b32_e32 v88, 16, v88
	;; [unrolled: 1-line block ×3, first 2 shown]
	v_or3_b32 v88, v88, v86, v89
	v_lshlrev_b32_e32 v89, 18, v84
	v_lshlrev_b32_e32 v90, 25, v84
	v_and_b32_e32 v89, 0x100000, v89
	v_and_b32_e32 v90, 0x10000000, v90
	v_or3_b32 v86, v86, v89, v90
	v_and_b32_e32 v89, 0x1f00, v88
	v_lshlrev_b16_e32 v88, 8, v88
	v_add_u16_e32 v88, 0xf000, v88
	v_or_b32_sdwa v88, v89, v88 dst_sel:DWORD dst_unused:UNUSED_PAD src0_sel:DWORD src1_sel:BYTE_1
	v_add_u16_e32 v90, 0xf000, v88
	v_mad_u64_u32 v[88:89], s[18:19], v52, 22, v[82:83]
	v_add_co_u32_e32 v92, vcc, v88, v34
	v_addc_co_u32_e32 v93, vcc, 0, v89, vcc
	v_mad_u64_u32 v[94:95], s[18:19], v54, 22, v[82:83]
	v_add_co_u32_e32 v96, vcc, v94, v34
	v_addc_co_u32_e32 v97, vcc, 0, v95, vcc
	;; [unrolled: 3-line block ×4, first 2 shown]
	global_load_dword v104, v[104:105], off offset:6
	s_nop 0
	global_load_dword v105, v[102:103], off offset:2
	global_load_dword v106, v[100:101], off offset:6
	s_nop 0
	global_load_dword v98, v[98:99], off offset:2
	s_nop 0
	;; [unrolled: 2-line block ×5, first 2 shown]
	global_load_dword v88, v[88:89], off offset:2
	v_and_b32_sdwa v89, v86, s1 dst_sel:DWORD dst_unused:UNUSED_PAD src0_sel:WORD_1 src1_sel:DWORD
	v_lshlrev_b16_sdwa v86, v151, v86 dst_sel:DWORD dst_unused:UNUSED_PAD src0_sel:DWORD src1_sel:WORD_1
	v_add_u16_e32 v86, 0xf000, v86
	v_or_b32_sdwa v86, v89, v86 dst_sel:DWORD dst_unused:UNUSED_PAD src0_sel:DWORD src1_sel:BYTE_1
	v_add_u16_sdwa v86, v86, s15 dst_sel:WORD_1 dst_unused:UNUSED_PAD src0_sel:DWORD src1_sel:DWORD
	v_or_b32_e32 v86, v90, v86
	v_lshrrev_b32_e32 v90, 12, v84
	v_lshrrev_b32_e32 v93, 5, v84
	v_lshlrev_b32_e32 v95, 2, v84
	v_lshrrev_b32_e32 v89, 4, v111
	v_and_b32_e32 v90, 16, v90
	v_and_b32_e32 v93, 0x1000, v93
	;; [unrolled: 1-line block ×3, first 2 shown]
	v_lshlrev_b32_e32 v84, 9, v84
	v_and_b32_e32 v89, 0xf0f0f0f, v89
	v_and_b32_e32 v84, 0x10000000, v84
	v_or3_b32 v90, v93, v90, v95
	v_or3_b32 v84, v90, v84, v89
	v_lshlrev_b16_e32 v90, 8, v84
	v_and_b32_e32 v89, 0x1f00, v84
	v_add_i16 v90, v90, s15 clamp
	v_or_b32_sdwa v89, v89, v90 dst_sel:DWORD dst_unused:UNUSED_PAD src0_sel:DWORD src1_sel:BYTE_1
	v_and_b32_sdwa v90, v84, s16 dst_sel:DWORD dst_unused:UNUSED_PAD src0_sel:WORD_1 src1_sel:DWORD
	v_add_i16 v90, v90, s15 clamp
	v_lshlrev_b16_sdwa v84, v151, v84 dst_sel:DWORD dst_unused:UNUSED_PAD src0_sel:DWORD src1_sel:WORD_1
	v_and_b32_e32 v90, 0xffffff00, v90
	v_add_i16 v84, v84, s15 clamp
	v_add_u16_e32 v89, 0xf000, v89
	v_or_b32_sdwa v84, v84, v90 dst_sel:WORD_1 dst_unused:UNUSED_PAD src0_sel:BYTE_1 src1_sel:DWORD
	v_or_b32_e32 v84, v89, v84
	ds_write2_b32 v51, v86, v84 offset1:1
	v_ashrrev_i32_e32 v84, v34, v110
	v_lshlrev_b32_e32 v89, 4, v84
	v_lshlrev_b32_e32 v90, 11, v84
	v_and_b32_e32 v86, 0xf0f0f0f, v109
	v_and_b32_e32 v89, 16, v89
	;; [unrolled: 1-line block ×3, first 2 shown]
	v_or3_b32 v89, v89, v86, v90
	v_lshlrev_b32_e32 v90, 18, v84
	v_lshlrev_b32_e32 v93, 25, v84
	v_and_b32_e32 v90, 0x100000, v90
	v_and_b32_e32 v93, 0x10000000, v93
	v_or3_b32 v86, v86, v90, v93
	v_and_b32_e32 v90, 0x1f00, v89
	v_lshlrev_b16_e32 v89, 8, v89
	v_add_u16_e32 v89, 0xf000, v89
	v_or_b32_sdwa v89, v90, v89 dst_sel:DWORD dst_unused:UNUSED_PAD src0_sel:DWORD src1_sel:BYTE_1
	v_and_b32_sdwa v90, v86, s1 dst_sel:DWORD dst_unused:UNUSED_PAD src0_sel:WORD_1 src1_sel:DWORD
	v_lshlrev_b16_sdwa v86, v151, v86 dst_sel:DWORD dst_unused:UNUSED_PAD src0_sel:DWORD src1_sel:WORD_1
	v_add_u16_e32 v86, 0xf000, v86
	v_or_b32_sdwa v86, v90, v86 dst_sel:DWORD dst_unused:UNUSED_PAD src0_sel:DWORD src1_sel:BYTE_1
	v_add_u16_e32 v89, 0xf000, v89
	v_add_u16_sdwa v86, v86, s15 dst_sel:WORD_1 dst_unused:UNUSED_PAD src0_sel:DWORD src1_sel:DWORD
	v_lshrrev_b32_e32 v90, 12, v84
	v_lshrrev_b32_e32 v93, 5, v84
	v_lshlrev_b32_e32 v95, 2, v84
	v_or_b32_e32 v86, v89, v86
	v_lshrrev_b32_e32 v89, 4, v109
	v_and_b32_e32 v90, 16, v90
	v_and_b32_e32 v93, 0x1000, v93
	;; [unrolled: 1-line block ×3, first 2 shown]
	v_lshlrev_b32_e32 v84, 9, v84
	v_and_b32_e32 v89, 0xf0f0f0f, v89
	v_and_b32_e32 v84, 0x10000000, v84
	v_or3_b32 v90, v93, v90, v95
	v_or3_b32 v84, v90, v84, v89
	v_lshlrev_b16_e32 v90, 8, v84
	v_and_b32_e32 v89, 0x1f00, v84
	v_add_i16 v90, v90, s15 clamp
	v_or_b32_sdwa v89, v89, v90 dst_sel:DWORD dst_unused:UNUSED_PAD src0_sel:DWORD src1_sel:BYTE_1
	v_and_b32_sdwa v90, v84, s16 dst_sel:DWORD dst_unused:UNUSED_PAD src0_sel:WORD_1 src1_sel:DWORD
	v_add_i16 v90, v90, s15 clamp
	v_lshlrev_b16_sdwa v84, v151, v84 dst_sel:DWORD dst_unused:UNUSED_PAD src0_sel:DWORD src1_sel:WORD_1
	v_and_b32_e32 v90, 0xffffff00, v90
	v_add_i16 v84, v84, s15 clamp
	v_add_u16_e32 v89, 0xf000, v89
	v_or_b32_sdwa v84, v84, v90 dst_sel:WORD_1 dst_unused:UNUSED_PAD src0_sel:BYTE_1 src1_sel:DWORD
	v_or_b32_e32 v84, v89, v84
	ds_write2_b32 v53, v86, v84 offset1:1
	s_waitcnt vmcnt(0)
	v_ashrrev_i32_e32 v84, v34, v88
	v_lshlrev_b32_e32 v88, 4, v84
	v_lshlrev_b32_e32 v89, 11, v84
	v_and_b32_e32 v86, 0xf0f0f0f, v92
	v_and_b32_e32 v88, 16, v88
	;; [unrolled: 1-line block ×3, first 2 shown]
	v_or3_b32 v88, v88, v86, v89
	v_lshlrev_b32_e32 v89, 18, v84
	v_lshlrev_b32_e32 v90, 25, v84
	v_and_b32_e32 v89, 0x100000, v89
	v_and_b32_e32 v90, 0x10000000, v90
	v_or3_b32 v86, v86, v89, v90
	v_and_b32_e32 v89, 0x1f00, v88
	v_lshlrev_b16_e32 v88, 8, v88
	v_add_u16_e32 v88, 0xf000, v88
	v_or_b32_sdwa v88, v89, v88 dst_sel:DWORD dst_unused:UNUSED_PAD src0_sel:DWORD src1_sel:BYTE_1
	v_and_b32_sdwa v89, v86, s1 dst_sel:DWORD dst_unused:UNUSED_PAD src0_sel:WORD_1 src1_sel:DWORD
	v_lshlrev_b16_sdwa v86, v151, v86 dst_sel:DWORD dst_unused:UNUSED_PAD src0_sel:DWORD src1_sel:WORD_1
	v_add_u16_e32 v86, 0xf000, v86
	v_or_b32_sdwa v86, v89, v86 dst_sel:DWORD dst_unused:UNUSED_PAD src0_sel:DWORD src1_sel:BYTE_1
	v_add_u16_e32 v88, 0xf000, v88
	v_add_u16_sdwa v86, v86, s15 dst_sel:WORD_1 dst_unused:UNUSED_PAD src0_sel:DWORD src1_sel:DWORD
	v_or_b32_e32 v86, v88, v86
	v_lshrrev_b32_e32 v88, 4, v92
	v_lshrrev_b32_e32 v89, 12, v84
	;; [unrolled: 1-line block ×3, first 2 shown]
	v_lshlrev_b32_e32 v92, 2, v84
	v_and_b32_e32 v89, 16, v89
	v_and_b32_e32 v90, 0x1000, v90
	;; [unrolled: 1-line block ×3, first 2 shown]
	v_lshlrev_b32_e32 v84, 9, v84
	v_and_b32_e32 v88, 0xf0f0f0f, v88
	v_and_b32_e32 v84, 0x10000000, v84
	v_or3_b32 v89, v90, v89, v92
	v_or3_b32 v84, v89, v84, v88
	v_lshlrev_b16_e32 v89, 8, v84
	v_and_b32_e32 v88, 0x1f00, v84
	v_add_i16 v89, v89, s15 clamp
	v_or_b32_sdwa v88, v88, v89 dst_sel:DWORD dst_unused:UNUSED_PAD src0_sel:DWORD src1_sel:BYTE_1
	v_and_b32_sdwa v89, v84, s16 dst_sel:DWORD dst_unused:UNUSED_PAD src0_sel:WORD_1 src1_sel:DWORD
	v_add_i16 v89, v89, s15 clamp
	v_lshlrev_b16_sdwa v84, v151, v84 dst_sel:DWORD dst_unused:UNUSED_PAD src0_sel:DWORD src1_sel:WORD_1
	v_and_b32_e32 v89, 0xffffff00, v89
	v_add_i16 v84, v84, s15 clamp
	v_add_u16_e32 v88, 0xf000, v88
	v_or_b32_sdwa v84, v84, v89 dst_sel:WORD_1 dst_unused:UNUSED_PAD src0_sel:BYTE_1 src1_sel:DWORD
	v_or_b32_e32 v84, v88, v84
	ds_write2_b32 v55, v86, v84 offset1:1
	v_ashrrev_i32_e32 v84, v34, v94
	v_lshlrev_b32_e32 v88, 4, v84
	v_lshlrev_b32_e32 v89, 11, v84
	v_and_b32_e32 v86, 0xf0f0f0f, v96
	v_and_b32_e32 v88, 16, v88
	;; [unrolled: 1-line block ×3, first 2 shown]
	v_or3_b32 v88, v88, v86, v89
	v_lshlrev_b32_e32 v89, 18, v84
	v_lshlrev_b32_e32 v90, 25, v84
	v_and_b32_e32 v89, 0x100000, v89
	v_and_b32_e32 v90, 0x10000000, v90
	v_or3_b32 v86, v86, v89, v90
	v_and_b32_e32 v89, 0x1f00, v88
	v_lshlrev_b16_e32 v88, 8, v88
	v_add_u16_e32 v88, 0xf000, v88
	v_or_b32_sdwa v88, v89, v88 dst_sel:DWORD dst_unused:UNUSED_PAD src0_sel:DWORD src1_sel:BYTE_1
	v_and_b32_sdwa v89, v86, s1 dst_sel:DWORD dst_unused:UNUSED_PAD src0_sel:WORD_1 src1_sel:DWORD
	v_lshlrev_b16_sdwa v86, v151, v86 dst_sel:DWORD dst_unused:UNUSED_PAD src0_sel:DWORD src1_sel:WORD_1
	v_add_u16_e32 v86, 0xf000, v86
	v_or_b32_sdwa v86, v89, v86 dst_sel:DWORD dst_unused:UNUSED_PAD src0_sel:DWORD src1_sel:BYTE_1
	v_add_u16_e32 v88, 0xf000, v88
	v_add_u16_sdwa v86, v86, s15 dst_sel:WORD_1 dst_unused:UNUSED_PAD src0_sel:DWORD src1_sel:DWORD
	v_lshrrev_b32_e32 v89, 12, v84
	v_lshrrev_b32_e32 v90, 5, v84
	v_lshlrev_b32_e32 v92, 2, v84
	v_or_b32_e32 v86, v88, v86
	v_lshrrev_b32_e32 v88, 4, v96
	v_and_b32_e32 v89, 16, v89
	v_and_b32_e32 v90, 0x1000, v90
	;; [unrolled: 1-line block ×3, first 2 shown]
	v_lshlrev_b32_e32 v84, 9, v84
	v_and_b32_e32 v88, 0xf0f0f0f, v88
	v_and_b32_e32 v84, 0x10000000, v84
	v_or3_b32 v89, v90, v89, v92
	v_or3_b32 v84, v89, v84, v88
	v_lshlrev_b16_e32 v89, 8, v84
	v_and_b32_e32 v88, 0x1f00, v84
	v_add_i16 v89, v89, s15 clamp
	v_or_b32_sdwa v88, v88, v89 dst_sel:DWORD dst_unused:UNUSED_PAD src0_sel:DWORD src1_sel:BYTE_1
	v_and_b32_sdwa v89, v84, s16 dst_sel:DWORD dst_unused:UNUSED_PAD src0_sel:WORD_1 src1_sel:DWORD
	v_add_i16 v89, v89, s15 clamp
	v_lshlrev_b16_sdwa v84, v151, v84 dst_sel:DWORD dst_unused:UNUSED_PAD src0_sel:DWORD src1_sel:WORD_1
	v_and_b32_e32 v89, 0xffffff00, v89
	v_add_i16 v84, v84, s15 clamp
	v_add_u16_e32 v88, 0xf000, v88
	v_or_b32_sdwa v84, v84, v89 dst_sel:WORD_1 dst_unused:UNUSED_PAD src0_sel:BYTE_1 src1_sel:DWORD
	v_or_b32_e32 v84, v88, v84
	ds_write2_b32 v57, v86, v84 offset1:1
	v_ashrrev_i32_e32 v84, v34, v98
	v_lshlrev_b32_e32 v88, 4, v84
	v_lshlrev_b32_e32 v89, 11, v84
	v_and_b32_e32 v86, 0xf0f0f0f, v106
	v_and_b32_e32 v88, 16, v88
	;; [unrolled: 1-line block ×3, first 2 shown]
	v_or3_b32 v88, v88, v86, v89
	v_lshlrev_b32_e32 v89, 18, v84
	v_lshlrev_b32_e32 v90, 25, v84
	v_and_b32_e32 v89, 0x100000, v89
	v_and_b32_e32 v90, 0x10000000, v90
	v_or3_b32 v86, v86, v89, v90
	v_and_b32_e32 v89, 0x1f00, v88
	v_lshlrev_b16_e32 v88, 8, v88
	v_add_u16_e32 v88, 0xf000, v88
	v_or_b32_sdwa v88, v89, v88 dst_sel:DWORD dst_unused:UNUSED_PAD src0_sel:DWORD src1_sel:BYTE_1
	v_add_u16_e32 v90, 0xf000, v88
	v_mad_u64_u32 v[88:89], s[18:19], v60, 22, v[82:83]
	v_add_co_u32_e32 v92, vcc, v88, v34
	v_addc_co_u32_e32 v93, vcc, 0, v89, vcc
	v_mad_u64_u32 v[94:95], s[18:19], v62, 22, v[82:83]
	v_add_co_u32_e32 v96, vcc, v94, v34
	v_addc_co_u32_e32 v97, vcc, 0, v95, vcc
	;; [unrolled: 3-line block ×4, first 2 shown]
	global_load_dword v108, v[102:103], off offset:6
	global_load_dword v109, v[82:83], off offset:2
	s_nop 0
	global_load_dword v82, v[100:101], off offset:6
	global_load_dword v83, v[98:99], off offset:2
	s_nop 0
	global_load_dword v96, v[96:97], off offset:6
	s_nop 0
	;; [unrolled: 2-line block ×4, first 2 shown]
	global_load_dword v88, v[88:89], off offset:2
	v_and_b32_sdwa v89, v86, s1 dst_sel:DWORD dst_unused:UNUSED_PAD src0_sel:WORD_1 src1_sel:DWORD
	v_lshlrev_b16_sdwa v86, v151, v86 dst_sel:DWORD dst_unused:UNUSED_PAD src0_sel:DWORD src1_sel:WORD_1
	v_add_u16_e32 v86, 0xf000, v86
	v_or_b32_sdwa v86, v89, v86 dst_sel:DWORD dst_unused:UNUSED_PAD src0_sel:DWORD src1_sel:BYTE_1
	v_add_u16_sdwa v86, v86, s15 dst_sel:WORD_1 dst_unused:UNUSED_PAD src0_sel:DWORD src1_sel:DWORD
	v_or_b32_e32 v86, v90, v86
	v_lshrrev_b32_e32 v90, 12, v84
	v_lshrrev_b32_e32 v93, 5, v84
	v_lshlrev_b32_e32 v95, 2, v84
	v_lshrrev_b32_e32 v89, 4, v106
	v_and_b32_e32 v90, 16, v90
	v_and_b32_e32 v93, 0x1000, v93
	;; [unrolled: 1-line block ×3, first 2 shown]
	v_lshlrev_b32_e32 v84, 9, v84
	v_and_b32_e32 v89, 0xf0f0f0f, v89
	v_and_b32_e32 v84, 0x10000000, v84
	v_or3_b32 v90, v93, v90, v95
	v_or3_b32 v84, v90, v84, v89
	v_lshlrev_b16_e32 v90, 8, v84
	v_and_b32_e32 v89, 0x1f00, v84
	v_add_i16 v90, v90, s15 clamp
	v_or_b32_sdwa v89, v89, v90 dst_sel:DWORD dst_unused:UNUSED_PAD src0_sel:DWORD src1_sel:BYTE_1
	v_and_b32_sdwa v90, v84, s16 dst_sel:DWORD dst_unused:UNUSED_PAD src0_sel:WORD_1 src1_sel:DWORD
	v_add_i16 v90, v90, s15 clamp
	v_lshlrev_b16_sdwa v84, v151, v84 dst_sel:DWORD dst_unused:UNUSED_PAD src0_sel:DWORD src1_sel:WORD_1
	v_and_b32_e32 v90, 0xffffff00, v90
	v_add_i16 v84, v84, s15 clamp
	v_add_u16_e32 v89, 0xf000, v89
	v_or_b32_sdwa v84, v84, v90 dst_sel:WORD_1 dst_unused:UNUSED_PAD src0_sel:BYTE_1 src1_sel:DWORD
	v_or_b32_e32 v84, v89, v84
	ds_write2_b32 v59, v86, v84 offset1:1
	v_ashrrev_i32_e32 v84, v34, v105
	v_lshlrev_b32_e32 v89, 4, v84
	v_lshlrev_b32_e32 v90, 11, v84
	v_and_b32_e32 v86, 0xf0f0f0f, v104
	v_and_b32_e32 v89, 16, v89
	;; [unrolled: 1-line block ×3, first 2 shown]
	v_or3_b32 v89, v89, v86, v90
	v_lshlrev_b32_e32 v90, 18, v84
	v_lshlrev_b32_e32 v93, 25, v84
	v_and_b32_e32 v90, 0x100000, v90
	v_and_b32_e32 v93, 0x10000000, v93
	v_or3_b32 v86, v86, v90, v93
	v_and_b32_e32 v90, 0x1f00, v89
	v_lshlrev_b16_e32 v89, 8, v89
	v_add_u16_e32 v89, 0xf000, v89
	v_or_b32_sdwa v89, v90, v89 dst_sel:DWORD dst_unused:UNUSED_PAD src0_sel:DWORD src1_sel:BYTE_1
	v_and_b32_sdwa v90, v86, s1 dst_sel:DWORD dst_unused:UNUSED_PAD src0_sel:WORD_1 src1_sel:DWORD
	v_lshlrev_b16_sdwa v86, v151, v86 dst_sel:DWORD dst_unused:UNUSED_PAD src0_sel:DWORD src1_sel:WORD_1
	v_add_u16_e32 v86, 0xf000, v86
	v_or_b32_sdwa v86, v90, v86 dst_sel:DWORD dst_unused:UNUSED_PAD src0_sel:DWORD src1_sel:BYTE_1
	v_add_u16_e32 v89, 0xf000, v89
	v_add_u16_sdwa v86, v86, s15 dst_sel:WORD_1 dst_unused:UNUSED_PAD src0_sel:DWORD src1_sel:DWORD
	v_lshrrev_b32_e32 v90, 12, v84
	v_lshrrev_b32_e32 v93, 5, v84
	v_lshlrev_b32_e32 v95, 2, v84
	v_or_b32_e32 v86, v89, v86
	v_lshrrev_b32_e32 v89, 4, v104
	v_and_b32_e32 v90, 16, v90
	v_and_b32_e32 v93, 0x1000, v93
	;; [unrolled: 1-line block ×3, first 2 shown]
	v_lshlrev_b32_e32 v84, 9, v84
	v_and_b32_e32 v89, 0xf0f0f0f, v89
	v_and_b32_e32 v84, 0x10000000, v84
	v_or3_b32 v90, v93, v90, v95
	v_or3_b32 v84, v90, v84, v89
	v_lshlrev_b16_e32 v90, 8, v84
	v_and_b32_e32 v89, 0x1f00, v84
	v_add_i16 v90, v90, s15 clamp
	v_or_b32_sdwa v89, v89, v90 dst_sel:DWORD dst_unused:UNUSED_PAD src0_sel:DWORD src1_sel:BYTE_1
	v_and_b32_sdwa v90, v84, s16 dst_sel:DWORD dst_unused:UNUSED_PAD src0_sel:WORD_1 src1_sel:DWORD
	v_add_i16 v90, v90, s15 clamp
	v_lshlrev_b16_sdwa v84, v151, v84 dst_sel:DWORD dst_unused:UNUSED_PAD src0_sel:DWORD src1_sel:WORD_1
	v_and_b32_e32 v90, 0xffffff00, v90
	v_add_i16 v84, v84, s15 clamp
	v_add_u16_e32 v89, 0xf000, v89
	v_or_b32_sdwa v84, v84, v90 dst_sel:WORD_1 dst_unused:UNUSED_PAD src0_sel:BYTE_1 src1_sel:DWORD
	v_or_b32_e32 v84, v89, v84
	ds_write2_b32 v61, v86, v84 offset1:1
	s_waitcnt vmcnt(0)
	v_ashrrev_i32_e32 v84, v34, v88
	v_lshlrev_b32_e32 v88, 4, v84
	v_lshlrev_b32_e32 v89, 11, v84
	v_and_b32_e32 v86, 0xf0f0f0f, v92
	v_and_b32_e32 v88, 16, v88
	;; [unrolled: 1-line block ×3, first 2 shown]
	v_or3_b32 v88, v88, v86, v89
	v_lshlrev_b32_e32 v89, 18, v84
	v_lshlrev_b32_e32 v90, 25, v84
	v_and_b32_e32 v89, 0x100000, v89
	v_and_b32_e32 v90, 0x10000000, v90
	v_or3_b32 v86, v86, v89, v90
	v_and_b32_e32 v89, 0x1f00, v88
	v_lshlrev_b16_e32 v88, 8, v88
	v_add_u16_e32 v88, 0xf000, v88
	v_or_b32_sdwa v88, v89, v88 dst_sel:DWORD dst_unused:UNUSED_PAD src0_sel:DWORD src1_sel:BYTE_1
	v_and_b32_sdwa v89, v86, s1 dst_sel:DWORD dst_unused:UNUSED_PAD src0_sel:WORD_1 src1_sel:DWORD
	v_lshlrev_b16_sdwa v86, v151, v86 dst_sel:DWORD dst_unused:UNUSED_PAD src0_sel:DWORD src1_sel:WORD_1
	v_add_u16_e32 v86, 0xf000, v86
	v_or_b32_sdwa v86, v89, v86 dst_sel:DWORD dst_unused:UNUSED_PAD src0_sel:DWORD src1_sel:BYTE_1
	v_add_u16_e32 v88, 0xf000, v88
	v_add_u16_sdwa v86, v86, s15 dst_sel:WORD_1 dst_unused:UNUSED_PAD src0_sel:DWORD src1_sel:DWORD
	v_or_b32_e32 v86, v88, v86
	v_lshrrev_b32_e32 v88, 4, v92
	v_lshrrev_b32_e32 v89, 12, v84
	;; [unrolled: 1-line block ×3, first 2 shown]
	v_lshlrev_b32_e32 v92, 2, v84
	v_and_b32_e32 v89, 16, v89
	v_and_b32_e32 v90, 0x1000, v90
	;; [unrolled: 1-line block ×3, first 2 shown]
	v_lshlrev_b32_e32 v84, 9, v84
	v_and_b32_e32 v88, 0xf0f0f0f, v88
	v_and_b32_e32 v84, 0x10000000, v84
	v_or3_b32 v89, v90, v89, v92
	v_or3_b32 v84, v89, v84, v88
	v_lshlrev_b16_e32 v89, 8, v84
	v_and_b32_e32 v88, 0x1f00, v84
	v_add_i16 v89, v89, s15 clamp
	v_or_b32_sdwa v88, v88, v89 dst_sel:DWORD dst_unused:UNUSED_PAD src0_sel:DWORD src1_sel:BYTE_1
	v_and_b32_sdwa v89, v84, s16 dst_sel:DWORD dst_unused:UNUSED_PAD src0_sel:WORD_1 src1_sel:DWORD
	v_add_i16 v89, v89, s15 clamp
	v_lshlrev_b16_sdwa v84, v151, v84 dst_sel:DWORD dst_unused:UNUSED_PAD src0_sel:DWORD src1_sel:WORD_1
	v_and_b32_e32 v89, 0xffffff00, v89
	v_add_i16 v84, v84, s15 clamp
	v_add_u16_e32 v88, 0xf000, v88
	v_or_b32_sdwa v84, v84, v89 dst_sel:WORD_1 dst_unused:UNUSED_PAD src0_sel:BYTE_1 src1_sel:DWORD
	v_or_b32_e32 v84, v88, v84
	ds_write2_b32 v63, v86, v84 offset1:1
	v_ashrrev_i32_e32 v84, v34, v94
	v_lshlrev_b32_e32 v88, 4, v84
	v_lshlrev_b32_e32 v89, 11, v84
	v_and_b32_e32 v86, 0xf0f0f0f, v96
	v_and_b32_e32 v88, 16, v88
	;; [unrolled: 1-line block ×3, first 2 shown]
	v_or3_b32 v88, v88, v86, v89
	v_lshlrev_b32_e32 v89, 18, v84
	v_lshlrev_b32_e32 v90, 25, v84
	v_and_b32_e32 v89, 0x100000, v89
	v_and_b32_e32 v90, 0x10000000, v90
	v_or3_b32 v86, v86, v89, v90
	v_and_b32_e32 v89, 0x1f00, v88
	v_lshlrev_b16_e32 v88, 8, v88
	v_add_u16_e32 v88, 0xf000, v88
	v_or_b32_sdwa v88, v89, v88 dst_sel:DWORD dst_unused:UNUSED_PAD src0_sel:DWORD src1_sel:BYTE_1
	v_and_b32_sdwa v89, v86, s1 dst_sel:DWORD dst_unused:UNUSED_PAD src0_sel:WORD_1 src1_sel:DWORD
	v_lshlrev_b16_sdwa v86, v151, v86 dst_sel:DWORD dst_unused:UNUSED_PAD src0_sel:DWORD src1_sel:WORD_1
	v_add_u16_e32 v86, 0xf000, v86
	v_or_b32_sdwa v86, v89, v86 dst_sel:DWORD dst_unused:UNUSED_PAD src0_sel:DWORD src1_sel:BYTE_1
	v_add_u16_e32 v88, 0xf000, v88
	v_add_u16_sdwa v86, v86, s15 dst_sel:WORD_1 dst_unused:UNUSED_PAD src0_sel:DWORD src1_sel:DWORD
	v_lshrrev_b32_e32 v89, 12, v84
	v_lshrrev_b32_e32 v90, 5, v84
	v_lshlrev_b32_e32 v92, 2, v84
	v_or_b32_e32 v86, v88, v86
	v_lshrrev_b32_e32 v88, 4, v96
	v_and_b32_e32 v89, 16, v89
	v_and_b32_e32 v90, 0x1000, v90
	;; [unrolled: 1-line block ×3, first 2 shown]
	v_lshlrev_b32_e32 v84, 9, v84
	v_and_b32_e32 v88, 0xf0f0f0f, v88
	v_and_b32_e32 v84, 0x10000000, v84
	v_or3_b32 v89, v90, v89, v92
	v_or3_b32 v84, v89, v84, v88
	v_lshlrev_b16_e32 v89, 8, v84
	v_and_b32_e32 v88, 0x1f00, v84
	v_add_i16 v89, v89, s15 clamp
	v_or_b32_sdwa v88, v88, v89 dst_sel:DWORD dst_unused:UNUSED_PAD src0_sel:DWORD src1_sel:BYTE_1
	v_and_b32_sdwa v89, v84, s16 dst_sel:DWORD dst_unused:UNUSED_PAD src0_sel:WORD_1 src1_sel:DWORD
	v_add_i16 v89, v89, s15 clamp
	v_lshlrev_b16_sdwa v84, v151, v84 dst_sel:DWORD dst_unused:UNUSED_PAD src0_sel:DWORD src1_sel:WORD_1
	v_and_b32_e32 v89, 0xffffff00, v89
	v_add_i16 v84, v84, s15 clamp
	v_add_u16_e32 v88, 0xf000, v88
	v_or_b32_sdwa v84, v84, v89 dst_sel:WORD_1 dst_unused:UNUSED_PAD src0_sel:BYTE_1 src1_sel:DWORD
	v_or_b32_e32 v84, v88, v84
	v_ashrrev_i32_e32 v83, v34, v83
	ds_write2_b32 v65, v86, v84 offset1:1
	v_lshlrev_b32_e32 v86, 4, v83
	v_lshlrev_b32_e32 v88, 11, v83
	v_and_b32_e32 v84, 0xf0f0f0f, v82
	v_and_b32_e32 v86, 16, v86
	;; [unrolled: 1-line block ×3, first 2 shown]
	v_or3_b32 v86, v86, v84, v88
	v_lshlrev_b32_e32 v88, 18, v83
	v_lshlrev_b32_e32 v89, 25, v83
	v_and_b32_e32 v88, 0x100000, v88
	v_and_b32_e32 v89, 0x10000000, v89
	v_or3_b32 v84, v84, v88, v89
	v_and_b32_e32 v88, 0x1f00, v86
	v_lshlrev_b16_e32 v86, 8, v86
	v_add_u16_e32 v86, 0xf000, v86
	v_or_b32_sdwa v86, v88, v86 dst_sel:DWORD dst_unused:UNUSED_PAD src0_sel:DWORD src1_sel:BYTE_1
	v_and_b32_sdwa v88, v84, s1 dst_sel:DWORD dst_unused:UNUSED_PAD src0_sel:WORD_1 src1_sel:DWORD
	v_lshlrev_b16_sdwa v84, v151, v84 dst_sel:DWORD dst_unused:UNUSED_PAD src0_sel:DWORD src1_sel:WORD_1
	v_add_u16_e32 v84, 0xf000, v84
	v_or_b32_sdwa v84, v88, v84 dst_sel:DWORD dst_unused:UNUSED_PAD src0_sel:DWORD src1_sel:BYTE_1
	v_add_u16_e32 v86, 0xf000, v86
	v_add_u16_sdwa v84, v84, s15 dst_sel:WORD_1 dst_unused:UNUSED_PAD src0_sel:DWORD src1_sel:DWORD
	v_lshrrev_b32_e32 v82, 4, v82
	v_or_b32_e32 v84, v86, v84
	v_and_b32_e32 v86, 0xf0f0f0f, v82
	v_lshrrev_b32_e32 v82, 12, v83
	v_and_b32_e32 v90, 16, v82
	v_lshrrev_b32_e32 v82, 5, v83
	v_and_b32_e32 v110, 0x1000, v82
	v_lshlrev_b32_e32 v82, 2, v83
	v_and_b32_e32 v111, 0x100000, v82
	v_lshlrev_b32_e32 v82, 9, v83
	v_and_b32_e32 v112, 0x10000000, v82
	v_mad_u64_u32 v[82:83], s[4:5], v68, 22, s[4:5]
	v_mad_u64_u32 v[88:89], s[4:5], v70, 22, v[82:83]
	;; [unrolled: 1-line block ×5, first 2 shown]
	v_add_u32_e32 v104, s0, v71
	global_load_ushort v113, v[88:89], off
	global_load_ushort v114, v[92:93], off
	;; [unrolled: 1-line block ×3, first 2 shown]
	s_nop 0
	global_load_ushort v82, v[82:83], off
	v_add_u32_e32 v88, v104, v75
	v_add_u32_e32 v92, v104, v81
	v_add_u32_e32 v94, v104, v87
	v_add_u32_e32 v96, v104, v124
	v_add_u32_e32 v98, v104, v126
	v_add_u32_e32 v83, s0, v80
	v_mad_i64_i32 v[88:89], s[4:5], v88, 36, v[78:79]
	v_mad_i64_i32 v[92:93], s[4:5], v92, 36, v[78:79]
	;; [unrolled: 1-line block ×5, first 2 shown]
	v_add_u32_e32 v100, v104, v128
	v_add_u32_e32 v102, v104, v130
	;; [unrolled: 1-line block ×3, first 2 shown]
	v_mad_i64_i32 v[100:101], s[4:5], v100, 36, v[78:79]
	v_mad_i64_i32 v[102:103], s[4:5], v102, 36, v[78:79]
	;; [unrolled: 1-line block ×3, first 2 shown]
	v_mad_u64_u32 v[106:107], s[4:5], v83, 36, s[2:3]
	global_load_dword v88, v[88:89], off offset:4
	s_nop 0
	global_load_dword v89, v[92:93], off offset:4
	s_nop 0
	global_load_dword v92, v[94:95], off offset:4
	global_load_dword v93, v[96:97], off offset:4
	s_nop 0
	global_load_dword v94, v[98:99], off offset:4
	global_load_dword v95, v[106:107], off
	global_load_dword v96, v[100:101], off offset:4
	global_load_dword v97, v[102:103], off offset:4
	s_nop 0
	global_load_dword v98, v[104:105], off offset:4
	v_or3_b32 v90, v110, v90, v111
	v_or3_b32 v86, v90, v112, v86
	v_lshlrev_b16_e32 v99, 8, v86
	v_and_b32_e32 v90, 0x1f00, v86
	v_add_i16 v99, v99, s15 clamp
	v_or_b32_sdwa v90, v90, v99 dst_sel:DWORD dst_unused:UNUSED_PAD src0_sel:DWORD src1_sel:BYTE_1
	v_and_b32_sdwa v99, v86, s16 dst_sel:DWORD dst_unused:UNUSED_PAD src0_sel:WORD_1 src1_sel:DWORD
	v_add_i16 v99, v99, s15 clamp
	v_lshlrev_b16_sdwa v86, v151, v86 dst_sel:DWORD dst_unused:UNUSED_PAD src0_sel:DWORD src1_sel:WORD_1
	v_and_b32_e32 v99, 0xffffff00, v99
	v_add_i16 v86, v86, s15 clamp
	v_add_u16_e32 v90, 0xf000, v90
	v_or_b32_sdwa v86, v86, v99 dst_sel:WORD_1 dst_unused:UNUSED_PAD src0_sel:BYTE_1 src1_sel:DWORD
	v_or_b32_e32 v86, v90, v86
	ds_write2_b32 v67, v84, v86 offset1:1
	v_ashrrev_i32_e32 v84, v34, v109
	v_lshlrev_b32_e32 v90, 4, v84
	v_lshlrev_b32_e32 v99, 11, v84
	v_and_b32_e32 v86, 0xf0f0f0f, v108
	v_and_b32_e32 v90, 16, v90
	;; [unrolled: 1-line block ×3, first 2 shown]
	v_or3_b32 v90, v90, v86, v99
	v_lshlrev_b32_e32 v99, 18, v84
	v_lshlrev_b32_e32 v100, 25, v84
	v_and_b32_e32 v99, 0x100000, v99
	v_and_b32_e32 v100, 0x10000000, v100
	v_or3_b32 v86, v86, v99, v100
	v_and_b32_e32 v99, 0x1f00, v90
	v_lshlrev_b16_e32 v90, 8, v90
	v_add_u16_e32 v90, 0xf000, v90
	v_or_b32_sdwa v90, v99, v90 dst_sel:DWORD dst_unused:UNUSED_PAD src0_sel:DWORD src1_sel:BYTE_1
	v_and_b32_sdwa v99, v86, s1 dst_sel:DWORD dst_unused:UNUSED_PAD src0_sel:WORD_1 src1_sel:DWORD
	v_lshlrev_b16_sdwa v86, v151, v86 dst_sel:DWORD dst_unused:UNUSED_PAD src0_sel:DWORD src1_sel:WORD_1
	v_add_u16_e32 v86, 0xf000, v86
	v_or_b32_sdwa v86, v99, v86 dst_sel:DWORD dst_unused:UNUSED_PAD src0_sel:DWORD src1_sel:BYTE_1
	v_add_u16_e32 v90, 0xf000, v90
	v_add_u16_sdwa v86, v86, s15 dst_sel:WORD_1 dst_unused:UNUSED_PAD src0_sel:DWORD src1_sel:DWORD
	v_lshrrev_b32_e32 v99, 12, v84
	v_lshrrev_b32_e32 v100, 5, v84
	v_lshlrev_b32_e32 v101, 2, v84
	v_or_b32_e32 v86, v90, v86
	v_lshrrev_b32_e32 v90, 4, v108
	v_and_b32_e32 v99, 16, v99
	v_and_b32_e32 v100, 0x1000, v100
	;; [unrolled: 1-line block ×3, first 2 shown]
	v_lshlrev_b32_e32 v84, 9, v84
	v_and_b32_e32 v90, 0xf0f0f0f, v90
	v_and_b32_e32 v84, 0x10000000, v84
	v_or3_b32 v99, v100, v99, v101
	v_or3_b32 v84, v99, v84, v90
	v_lshlrev_b16_e32 v99, 8, v84
	v_and_b32_e32 v90, 0x1f00, v84
	v_add_i16 v99, v99, s15 clamp
	v_or_b32_sdwa v90, v90, v99 dst_sel:DWORD dst_unused:UNUSED_PAD src0_sel:DWORD src1_sel:BYTE_1
	v_and_b32_sdwa v99, v84, s16 dst_sel:DWORD dst_unused:UNUSED_PAD src0_sel:WORD_1 src1_sel:DWORD
	v_add_i16 v99, v99, s15 clamp
	v_lshlrev_b16_sdwa v84, v151, v84 dst_sel:DWORD dst_unused:UNUSED_PAD src0_sel:DWORD src1_sel:WORD_1
	v_and_b32_e32 v99, 0xffffff00, v99
	v_add_i16 v84, v84, s15 clamp
	v_add_u16_e32 v90, 0xf000, v90
	v_or_b32_sdwa v84, v84, v99 dst_sel:WORD_1 dst_unused:UNUSED_PAD src0_sel:BYTE_1 src1_sel:DWORD
	v_or_b32_e32 v84, v90, v84
	ds_write2_b32 v69, v86, v84 offset1:1
	s_waitcnt vmcnt(12)
	v_cvt_f32_f16_e32 v84, v113
	s_waitcnt vmcnt(11)
	v_cvt_f32_f16_e32 v86, v114
	;; [unrolled: 2-line block ×4, first 2 shown]
	ds_write_b32 v147, v84
	ds_write_b32 v148, v86
	;; [unrolled: 1-line block ×4, first 2 shown]
	s_waitcnt vmcnt(8)
	ds_write_b32 v77, v88
	s_waitcnt vmcnt(7)
	ds_write_b32 v85, v89
	;; [unrolled: 2-line block ×5, first 2 shown]
	s_waitcnt vmcnt(3)
	v_cvt_f32_f16_e32 v82, v95
	s_mov_b32 s4, -4
	s_waitcnt vmcnt(2)
	ds_write_b32 v129, v96
	s_waitcnt vmcnt(1)
	ds_write_b32 v131, v97
	;; [unrolled: 2-line block ×3, first 2 shown]
	ds_write_b32 v73, v82
	s_waitcnt lgkmcnt(0)
	s_barrier
.LBB161_7:                              ;   Parent Loop BB161_6 Depth=1
                                        ; =>  This Inner Loop Header: Depth=2
	v_add_u32_e32 v84, 0x2080, v154
	ds_read_b128 v[160:163], v153
	ds_read_b128 v[164:167], v153 offset:16
	ds_read2_b32 v[122:123], v152 offset1:32
	ds_read_b32 v86, v155
	ds_read2_b32 v[94:95], v154 offset1:1
	ds_read2_b32 v[102:103], v154 offset0:2 offset1:3
	ds_read2_b32 v[108:109], v154 offset0:4 offset1:5
	;; [unrolled: 1-line block ×3, first 2 shown]
	ds_read_b32 v82, v156
	ds_read2_b32 v[88:89], v84 offset1:1
	v_add_u32_e32 v84, 0x2088, v154
	ds_read2_b32 v[96:97], v84 offset1:1
	v_add_u32_e32 v84, 0x2090, v154
	;; [unrolled: 2-line block ×3, first 2 shown]
	v_add_u32_e32 v90, 0x4100, v154
	ds_read2_b32 v[114:115], v84 offset1:1
	ds_read_b32 v84, v157
	ds_read2_b32 v[92:93], v90 offset1:1
	v_add_u32_e32 v90, 0x4108, v154
	ds_read2_b32 v[100:101], v90 offset1:1
	v_add_u32_e32 v90, 0x4110, v154
	;; [unrolled: 2-line block ×3, first 2 shown]
	v_add_u32_e32 v98, 0x6180, v154
	ds_read2_b32 v[118:119], v90 offset1:1
	ds_read_b32 v90, v158
	ds_read2_b32 v[98:99], v98 offset1:1
	v_add_u32_e32 v106, 0x6188, v154
	ds_read2_b32 v[106:107], v106 offset1:1
	v_add_u32_e32 v116, 0x6190, v154
	ds_read2_b32 v[116:117], v116 offset1:1
	v_mov_b32_e32 v159, 0
	v_mov_b32_e32 v172, 0
	;; [unrolled: 1-line block ×4, first 2 shown]
	s_waitcnt lgkmcnt(14)
	v_dot4c_i32_i8_e32 v159, v94, v160
	s_waitcnt lgkmcnt(12)
	v_dot4c_i32_i8_e32 v172, v88, v160
	;; [unrolled: 2-line block ×4, first 2 shown]
	v_add_u32_e32 v120, 0x6198, v154
	ds_read2_b32 v[120:121], v120 offset1:1
	v_dot4c_i32_i8_e32 v159, v95, v164
	v_dot4c_i32_i8_e32 v172, v89, v164
	v_dot4c_i32_i8_e32 v173, v93, v164
	v_dot4c_i32_i8_e32 v174, v99, v164
	v_dot4c_i32_i8_e32 v159, v102, v161
	v_dot4c_i32_i8_e32 v172, v96, v161
	v_dot4c_i32_i8_e32 v173, v100, v161
	s_waitcnt lgkmcnt(2)
	v_dot4c_i32_i8_e32 v174, v106, v161
	v_dot4c_i32_i8_e32 v159, v103, v165
	v_dot4c_i32_i8_e32 v172, v97, v165
	v_dot4c_i32_i8_e32 v173, v101, v165
	v_dot4c_i32_i8_e32 v174, v107, v165
	v_dot4c_i32_i8_e32 v159, v108, v162
	v_dot4c_i32_i8_e32 v172, v104, v162
	v_dot4c_i32_i8_e32 v173, v110, v162
	s_waitcnt lgkmcnt(1)
	v_dot4c_i32_i8_e32 v174, v116, v162
	;; [unrolled: 9-line block ×3, first 2 shown]
	v_dot4c_i32_i8_e32 v159, v113, v167
	v_dot4c_i32_i8_e32 v172, v115, v167
	;; [unrolled: 1-line block ×4, first 2 shown]
	ds_read_b128 v[160:163], v153 offset:1024
	ds_read_b128 v[164:167], v153 offset:1040
	v_mov_b32_e32 v170, 0
	v_pk_mul_f32 v[168:169], v[86:87], v[122:123] op_sel_hi:[0,1]
	s_add_i32 s4, s4, 4
	s_waitcnt lgkmcnt(1)
	v_dot4c_i32_i8_e32 v170, v94, v160
	s_waitcnt lgkmcnt(0)
	v_dot4c_i32_i8_e32 v170, v95, v164
	v_dot4c_i32_i8_e32 v170, v102, v161
	;; [unrolled: 1-line block ×7, first 2 shown]
	v_add_u32_e32 v158, 4, v158
	v_add_u32_e32 v157, 4, v157
	;; [unrolled: 1-line block ×3, first 2 shown]
	v_cvt_f32_i32_e32 v171, v170
	v_cvt_f32_i32_e32 v170, v159
	v_mov_b32_e32 v159, 0
	v_dot4c_i32_i8_e32 v159, v88, v160
	v_dot4c_i32_i8_e32 v159, v89, v164
	;; [unrolled: 1-line block ×8, first 2 shown]
	v_pk_fma_f32 v[32:33], v[168:169], v[170:171], v[32:33]
	v_cvt_f32_i32_e32 v170, v172
	v_pk_mul_f32 v[168:169], v[82:83], v[122:123] op_sel_hi:[0,1]
	v_cvt_f32_i32_e32 v171, v159
	v_mov_b32_e32 v159, 0
	v_dot4c_i32_i8_e32 v159, v92, v160
	v_dot4c_i32_i8_e32 v159, v93, v164
	;; [unrolled: 1-line block ×8, first 2 shown]
	v_pk_fma_f32 v[30:31], v[168:169], v[170:171], v[30:31]
	v_pk_mul_f32 v[168:169], v[84:85], v[122:123] op_sel_hi:[0,1]
	v_pk_mul_f32 v[122:123], v[90:91], v[122:123] op_sel_hi:[0,1]
	v_cvt_f32_i32_e32 v171, v159
	v_mov_b32_e32 v159, 0
	v_dot4c_i32_i8_e32 v159, v98, v160
	v_dot4c_i32_i8_e32 v159, v99, v164
	;; [unrolled: 1-line block ×8, first 2 shown]
	v_cvt_f32_i32_e32 v160, v174
	v_cvt_f32_i32_e32 v170, v173
	v_mov_b32_e32 v172, 0
	v_cvt_f32_i32_e32 v161, v159
	v_mov_b32_e32 v159, 0
	v_mov_b32_e32 v173, 0
	;; [unrolled: 1-line block ×3, first 2 shown]
	v_pk_fma_f32 v[26:27], v[122:123], v[160:161], v[26:27]
	ds_read_b128 v[160:163], v153 offset:2048
	ds_read_b128 v[164:167], v153 offset:2064
	ds_read2_b32 v[122:123], v152 offset0:64 offset1:96
	v_pk_fma_f32 v[28:29], v[168:169], v[170:171], v[28:29]
	v_mov_b32_e32 v170, 0
	s_waitcnt lgkmcnt(2)
	v_dot4c_i32_i8_e32 v159, v94, v160
	v_dot4c_i32_i8_e32 v172, v88, v160
	;; [unrolled: 1-line block ×4, first 2 shown]
	s_waitcnt lgkmcnt(1)
	v_dot4c_i32_i8_e32 v159, v95, v164
	v_dot4c_i32_i8_e32 v172, v89, v164
	;; [unrolled: 1-line block ×28, first 2 shown]
	ds_read_b128 v[160:163], v153 offset:3072
	ds_read_b128 v[164:167], v153 offset:3088
	s_waitcnt lgkmcnt(2)
	v_pk_mul_f32 v[168:169], v[86:87], v[122:123] op_sel_hi:[0,1]
	v_add_u32_e32 v155, 4, v155
	v_add_u32_e32 v154, 32, v154
	s_waitcnt lgkmcnt(1)
	v_dot4c_i32_i8_e32 v170, v94, v160
	s_waitcnt lgkmcnt(0)
	v_dot4c_i32_i8_e32 v170, v95, v164
	v_dot4c_i32_i8_e32 v170, v102, v161
	;; [unrolled: 1-line block ×7, first 2 shown]
	s_cmp_lt_u32 s4, 12
	s_nop 1
	v_cvt_f32_i32_e32 v171, v170
	v_cvt_f32_i32_e32 v170, v159
	v_mov_b32_e32 v159, 0
	v_dot4c_i32_i8_e32 v159, v88, v160
	v_dot4c_i32_i8_e32 v159, v89, v164
	;; [unrolled: 1-line block ×8, first 2 shown]
	v_pk_fma_f32 v[24:25], v[168:169], v[170:171], v[24:25]
	v_cvt_f32_i32_e32 v170, v172
	v_pk_mul_f32 v[168:169], v[82:83], v[122:123] op_sel_hi:[0,1]
	v_cvt_f32_i32_e32 v171, v159
	v_mov_b32_e32 v159, 0
	v_dot4c_i32_i8_e32 v159, v92, v160
	v_dot4c_i32_i8_e32 v159, v93, v164
	;; [unrolled: 1-line block ×8, first 2 shown]
	v_pk_fma_f32 v[22:23], v[168:169], v[170:171], v[22:23]
	v_pk_mul_f32 v[168:169], v[84:85], v[122:123] op_sel_hi:[0,1]
	v_pk_mul_f32 v[122:123], v[90:91], v[122:123] op_sel_hi:[0,1]
	v_cvt_f32_i32_e32 v171, v159
	v_mov_b32_e32 v159, 0
	v_dot4c_i32_i8_e32 v159, v98, v160
	v_dot4c_i32_i8_e32 v159, v99, v164
	;; [unrolled: 1-line block ×8, first 2 shown]
	v_cvt_f32_i32_e32 v160, v174
	v_cvt_f32_i32_e32 v170, v173
	v_mov_b32_e32 v172, 0
	v_cvt_f32_i32_e32 v161, v159
	v_mov_b32_e32 v159, 0
	v_mov_b32_e32 v173, 0
	;; [unrolled: 1-line block ×3, first 2 shown]
	v_pk_fma_f32 v[18:19], v[122:123], v[160:161], v[18:19]
	ds_read_b128 v[160:163], v153 offset:4096
	ds_read_b128 v[164:167], v153 offset:4112
	ds_read2_b32 v[122:123], v152 offset0:128 offset1:160
	v_pk_fma_f32 v[20:21], v[168:169], v[170:171], v[20:21]
	v_mov_b32_e32 v170, 0
	s_waitcnt lgkmcnt(2)
	v_dot4c_i32_i8_e32 v159, v94, v160
	v_dot4c_i32_i8_e32 v172, v88, v160
	;; [unrolled: 1-line block ×4, first 2 shown]
	s_waitcnt lgkmcnt(1)
	v_dot4c_i32_i8_e32 v159, v95, v164
	v_dot4c_i32_i8_e32 v172, v89, v164
	;; [unrolled: 1-line block ×28, first 2 shown]
	ds_read_b128 v[160:163], v153 offset:5120
	ds_read_b128 v[164:167], v153 offset:5136
	s_waitcnt lgkmcnt(2)
	v_pk_mul_f32 v[168:169], v[86:87], v[122:123] op_sel_hi:[0,1]
	s_waitcnt lgkmcnt(1)
	v_dot4c_i32_i8_e32 v170, v94, v160
	s_waitcnt lgkmcnt(0)
	v_dot4c_i32_i8_e32 v170, v95, v164
	v_dot4c_i32_i8_e32 v170, v102, v161
	;; [unrolled: 1-line block ×7, first 2 shown]
	s_nop 2
	v_cvt_f32_i32_e32 v171, v170
	v_cvt_f32_i32_e32 v170, v159
	v_mov_b32_e32 v159, 0
	v_dot4c_i32_i8_e32 v159, v88, v160
	v_dot4c_i32_i8_e32 v159, v89, v164
	;; [unrolled: 1-line block ×8, first 2 shown]
	v_pk_fma_f32 v[16:17], v[168:169], v[170:171], v[16:17]
	v_cvt_f32_i32_e32 v170, v172
	v_pk_mul_f32 v[168:169], v[82:83], v[122:123] op_sel_hi:[0,1]
	v_cvt_f32_i32_e32 v171, v159
	v_mov_b32_e32 v159, 0
	v_dot4c_i32_i8_e32 v159, v92, v160
	v_dot4c_i32_i8_e32 v159, v93, v164
	;; [unrolled: 1-line block ×8, first 2 shown]
	v_pk_fma_f32 v[14:15], v[168:169], v[170:171], v[14:15]
	v_cvt_f32_i32_e32 v170, v173
	v_pk_mul_f32 v[168:169], v[84:85], v[122:123] op_sel_hi:[0,1]
	v_cvt_f32_i32_e32 v171, v159
	v_mov_b32_e32 v159, 0
	v_dot4c_i32_i8_e32 v159, v98, v160
	v_dot4c_i32_i8_e32 v159, v99, v164
	;; [unrolled: 1-line block ×8, first 2 shown]
	v_cvt_f32_i32_e32 v160, v174
	v_pk_mul_f32 v[122:123], v[90:91], v[122:123] op_sel_hi:[0,1]
	v_pk_fma_f32 v[12:13], v[168:169], v[170:171], v[12:13]
	v_cvt_f32_i32_e32 v161, v159
	v_mov_b32_e32 v159, 0
	v_mov_b32_e32 v168, 0
	;; [unrolled: 1-line block ×3, first 2 shown]
	v_pk_fma_f32 v[10:11], v[122:123], v[160:161], v[10:11]
	ds_read_b128 v[160:163], v153 offset:6144
	ds_read_b128 v[164:167], v153 offset:6160
	ds_read2_b32 v[122:123], v152 offset0:192 offset1:224
	v_mov_b32_e32 v170, 0
	v_mov_b32_e32 v171, 0
	s_waitcnt lgkmcnt(2)
	v_dot4c_i32_i8_e32 v159, v94, v160
	v_dot4c_i32_i8_e32 v168, v88, v160
	;; [unrolled: 1-line block ×4, first 2 shown]
	s_waitcnt lgkmcnt(1)
	v_dot4c_i32_i8_e32 v159, v95, v164
	v_dot4c_i32_i8_e32 v168, v89, v164
	;; [unrolled: 1-line block ×28, first 2 shown]
	ds_read_b128 v[160:163], v153 offset:7168
	ds_read_b128 v[164:167], v153 offset:7184
	v_add_u32_e32 v153, 32, v153
	v_add_u32_e32 v152, 4, v152
	s_waitcnt lgkmcnt(1)
	v_dot4c_i32_i8_e32 v171, v94, v160
	s_waitcnt lgkmcnt(0)
	v_dot4c_i32_i8_e32 v171, v95, v164
	v_pk_mul_f32 v[94:95], v[86:87], v[122:123] op_sel_hi:[0,1]
	v_mov_b32_e32 v86, 0
	v_dot4c_i32_i8_e32 v86, v88, v160
	v_dot4c_i32_i8_e32 v86, v89, v164
	v_pk_mul_f32 v[88:89], v[82:83], v[122:123] op_sel_hi:[0,1]
	v_mov_b32_e32 v82, 0
	v_dot4c_i32_i8_e32 v82, v92, v160
	v_dot4c_i32_i8_e32 v82, v93, v164
	;; [unrolled: 1-line block ×16, first 2 shown]
	v_cvt_f32_i32_e32 v102, v159
	v_cvt_f32_i32_e32 v103, v171
	v_dot4c_i32_i8_e32 v86, v104, v162
	v_cvt_f32_i32_e32 v93, v82
	v_mov_b32_e32 v82, 0
	v_dot4c_i32_i8_e32 v86, v105, v166
	v_dot4c_i32_i8_e32 v82, v98, v160
	;; [unrolled: 1-line block ×6, first 2 shown]
	v_pk_fma_f32 v[8:9], v[94:95], v[102:103], v[8:9]
	v_cvt_f32_i32_e32 v94, v168
	v_cvt_f32_i32_e32 v95, v86
	v_dot4c_i32_i8_e32 v82, v107, v165
	v_cvt_f32_i32_e32 v92, v169
	v_dot4c_i32_i8_e32 v82, v116, v162
	v_dot4c_i32_i8_e32 v82, v117, v166
	;; [unrolled: 1-line block ×3, first 2 shown]
	v_pk_fma_f32 v[6:7], v[88:89], v[94:95], v[6:7]
	v_pk_mul_f32 v[88:89], v[84:85], v[122:123] op_sel_hi:[0,1]
	v_dot4c_i32_i8_e32 v82, v121, v167
	v_pk_fma_f32 v[4:5], v[88:89], v[92:93], v[4:5]
	v_cvt_f32_i32_e32 v92, v170
	v_pk_mul_f32 v[88:89], v[90:91], v[122:123] op_sel_hi:[0,1]
	v_cvt_f32_i32_e32 v93, v82
	v_pk_fma_f32 v[2:3], v[88:89], v[92:93], v[2:3]
	s_cbranch_scc1 .LBB161_7
; %bb.8:                                ;   in Loop: Header=BB161_6 Depth=1
	s_or_b32 s4, s0, 4
	s_cmp_ge_i32 s4, s7
	s_barrier
	s_cbranch_scc1 .LBB161_5
; %bb.9:                                ;   in Loop: Header=BB161_6 Depth=1
	v_add_u32_e32 v82, s0, v135
	v_add_u32_e32 v84, v82, v75
	v_mad_i64_i32 v[88:89], s[4:5], v84, 36, v[78:79]
	v_add_u32_e32 v84, v82, v81
	v_mad_i64_i32 v[92:93], s[4:5], v84, 36, v[78:79]
	;; [unrolled: 2-line block ×6, first 2 shown]
	v_add_u32_e32 v84, v82, v130
	v_add_u32_e32 v82, v82, v132
	v_mad_i64_i32 v[104:105], s[4:5], v82, 36, v[78:79]
	v_add_u32_e32 v82, 4, v83
	v_mad_u64_u32 v[82:83], s[4:5], v82, 36, s[2:3]
	v_mad_i64_i32 v[102:103], s[4:5], v84, 36, v[78:79]
	global_load_dword v82, v[82:83], off
	s_nop 0
	global_load_dword v84, v[88:89], off offset:4
	global_load_dword v86, v[92:93], off offset:4
	s_nop 0
	global_load_dword v88, v[94:95], off offset:4
	global_load_dword v89, v[96:97], off offset:4
	;; [unrolled: 1-line block ×4, first 2 shown]
                                        ; kill: killed $vgpr100_vgpr101
                                        ; kill: killed $vgpr98_vgpr99
	global_load_dword v93, v[102:103], off offset:4
	s_nop 0
	global_load_dword v94, v[104:105], off offset:4
	s_mov_b32 s4, 12
	v_mov_b32_e32 v83, v141
	v_mov_b32_e32 v152, v140
	v_mov_b32_e32 v153, v146
	v_mov_b32_e32 v154, v145
	v_mov_b32_e32 v155, v144
	v_mov_b32_e32 v156, v143
	v_mov_b32_e32 v157, v142
	s_waitcnt vmcnt(8)
	v_cvt_f32_f16_e32 v82, v82
	s_waitcnt vmcnt(7)
	ds_write_b32 v77, v84
	s_waitcnt vmcnt(6)
	ds_write_b32 v85, v86
	;; [unrolled: 2-line block ×8, first 2 shown]
	ds_write_b32 v73, v82
	s_waitcnt lgkmcnt(0)
	s_barrier
.LBB161_10:                             ;   Parent Loop BB161_6 Depth=1
                                        ; =>  This Inner Loop Header: Depth=2
	v_add_u32_e32 v84, 0x2080, v153
	ds_read_b128 v[158:161], v152
	ds_read_b128 v[162:165], v152 offset:16
	ds_read2_b32 v[122:123], v83 offset1:32
	ds_read_b32 v86, v154
	ds_read2_b32 v[94:95], v153 offset1:1
	ds_read2_b32 v[102:103], v153 offset0:2 offset1:3
	ds_read2_b32 v[108:109], v153 offset0:4 offset1:5
	ds_read2_b32 v[112:113], v153 offset0:6 offset1:7
	ds_read_b32 v82, v155
	ds_read2_b32 v[88:89], v84 offset1:1
	v_add_u32_e32 v84, 0x2088, v153
	ds_read2_b32 v[96:97], v84 offset1:1
	v_add_u32_e32 v84, 0x2090, v153
	;; [unrolled: 2-line block ×3, first 2 shown]
	v_add_u32_e32 v90, 0x4100, v153
	ds_read2_b32 v[114:115], v84 offset1:1
	ds_read_b32 v84, v156
	ds_read2_b32 v[92:93], v90 offset1:1
	v_add_u32_e32 v90, 0x4108, v153
	ds_read2_b32 v[100:101], v90 offset1:1
	v_add_u32_e32 v90, 0x4110, v153
	;; [unrolled: 2-line block ×3, first 2 shown]
	v_add_u32_e32 v98, 0x6180, v153
	ds_read2_b32 v[118:119], v90 offset1:1
	ds_read_b32 v90, v157
	ds_read2_b32 v[98:99], v98 offset1:1
	v_add_u32_e32 v106, 0x6188, v153
	ds_read2_b32 v[106:107], v106 offset1:1
	v_add_u32_e32 v116, 0x6190, v153
	ds_read2_b32 v[116:117], v116 offset1:1
	v_mov_b32_e32 v168, 0
	v_mov_b32_e32 v170, 0
	;; [unrolled: 1-line block ×4, first 2 shown]
	s_waitcnt lgkmcnt(14)
	v_dot4c_i32_i8_e32 v168, v94, v158
	s_waitcnt lgkmcnt(12)
	v_dot4c_i32_i8_e32 v170, v88, v158
	;; [unrolled: 2-line block ×4, first 2 shown]
	v_add_u32_e32 v120, 0x6198, v153
	ds_read2_b32 v[120:121], v120 offset1:1
	v_dot4c_i32_i8_e32 v168, v95, v162
	v_dot4c_i32_i8_e32 v170, v89, v162
	v_dot4c_i32_i8_e32 v171, v93, v162
	v_dot4c_i32_i8_e32 v172, v99, v162
	v_dot4c_i32_i8_e32 v168, v102, v159
	v_dot4c_i32_i8_e32 v170, v96, v159
	v_dot4c_i32_i8_e32 v171, v100, v159
	s_waitcnt lgkmcnt(2)
	v_dot4c_i32_i8_e32 v172, v106, v159
	v_dot4c_i32_i8_e32 v168, v103, v163
	v_dot4c_i32_i8_e32 v170, v97, v163
	v_dot4c_i32_i8_e32 v171, v101, v163
	v_dot4c_i32_i8_e32 v172, v107, v163
	v_dot4c_i32_i8_e32 v168, v108, v160
	v_dot4c_i32_i8_e32 v170, v104, v160
	v_dot4c_i32_i8_e32 v171, v110, v160
	s_waitcnt lgkmcnt(1)
	v_dot4c_i32_i8_e32 v172, v116, v160
	;; [unrolled: 9-line block ×3, first 2 shown]
	v_dot4c_i32_i8_e32 v168, v113, v165
	v_dot4c_i32_i8_e32 v170, v115, v165
	;; [unrolled: 1-line block ×4, first 2 shown]
	ds_read_b128 v[158:161], v152 offset:1024
	ds_read_b128 v[162:165], v152 offset:1040
	v_mov_b32_e32 v169, 0
	v_cvt_f32_i32_e32 v168, v168
	v_pk_mul_f32 v[166:167], v[86:87], v[122:123] op_sel_hi:[0,1]
	s_waitcnt lgkmcnt(1)
	v_dot4c_i32_i8_e32 v169, v94, v158
	s_waitcnt lgkmcnt(0)
	v_dot4c_i32_i8_e32 v169, v95, v162
	v_dot4c_i32_i8_e32 v169, v102, v159
	;; [unrolled: 1-line block ×7, first 2 shown]
	s_add_i32 s4, s4, 4
	v_add_u32_e32 v157, 4, v157
	v_add_u32_e32 v156, 4, v156
	v_cvt_f32_i32_e32 v169, v169
	v_add_u32_e32 v155, 4, v155
	v_add_u32_e32 v154, 4, v154
	;; [unrolled: 1-line block ×3, first 2 shown]
	v_pk_fma_f32 v[32:33], v[166:167], v[168:169], v[32:33]
	v_mov_b32_e32 v168, 0
	v_dot4c_i32_i8_e32 v168, v88, v158
	v_dot4c_i32_i8_e32 v168, v89, v162
	;; [unrolled: 1-line block ×8, first 2 shown]
	v_pk_mul_f32 v[166:167], v[82:83], v[122:123] op_sel_hi:[0,1]
	s_cmp_lt_u32 s4, 28
	s_nop 0
	v_cvt_f32_i32_e32 v169, v168
	v_cvt_f32_i32_e32 v168, v170
	v_mov_b32_e32 v170, 0
	v_pk_fma_f32 v[30:31], v[166:167], v[168:169], v[30:31]
	v_mov_b32_e32 v168, 0
	v_dot4c_i32_i8_e32 v168, v92, v158
	v_dot4c_i32_i8_e32 v168, v93, v162
	;; [unrolled: 1-line block ×8, first 2 shown]
	v_pk_mul_f32 v[166:167], v[84:85], v[122:123] op_sel_hi:[0,1]
	v_pk_mul_f32 v[122:123], v[90:91], v[122:123] op_sel_hi:[0,1]
	s_nop 0
	v_cvt_f32_i32_e32 v169, v168
	v_cvt_f32_i32_e32 v168, v171
	v_mov_b32_e32 v171, 0
	v_pk_fma_f32 v[28:29], v[166:167], v[168:169], v[28:29]
	v_mov_b32_e32 v166, 0
	v_dot4c_i32_i8_e32 v166, v98, v158
	v_dot4c_i32_i8_e32 v166, v99, v162
	;; [unrolled: 1-line block ×8, first 2 shown]
	v_cvt_f32_i32_e32 v158, v172
	v_mov_b32_e32 v168, 0
	v_mov_b32_e32 v172, 0
	v_cvt_f32_i32_e32 v159, v166
	v_mov_b32_e32 v169, 0
	v_pk_fma_f32 v[26:27], v[122:123], v[158:159], v[26:27]
	ds_read_b128 v[158:161], v152 offset:2048
	ds_read_b128 v[162:165], v152 offset:2064
	ds_read2_b32 v[122:123], v83 offset0:64 offset1:96
	s_waitcnt lgkmcnt(2)
	v_dot4c_i32_i8_e32 v168, v94, v158
	v_dot4c_i32_i8_e32 v170, v88, v158
	;; [unrolled: 1-line block ×4, first 2 shown]
	s_waitcnt lgkmcnt(1)
	v_dot4c_i32_i8_e32 v168, v95, v162
	v_dot4c_i32_i8_e32 v170, v89, v162
	;; [unrolled: 1-line block ×28, first 2 shown]
	ds_read_b128 v[158:161], v152 offset:3072
	ds_read_b128 v[162:165], v152 offset:3088
	v_cvt_f32_i32_e32 v168, v168
	s_waitcnt lgkmcnt(2)
	v_pk_mul_f32 v[166:167], v[86:87], v[122:123] op_sel_hi:[0,1]
	s_waitcnt lgkmcnt(1)
	v_dot4c_i32_i8_e32 v169, v94, v158
	s_waitcnt lgkmcnt(0)
	v_dot4c_i32_i8_e32 v169, v95, v162
	v_dot4c_i32_i8_e32 v169, v102, v159
	;; [unrolled: 1-line block ×7, first 2 shown]
	s_nop 2
	v_cvt_f32_i32_e32 v169, v169
	v_pk_fma_f32 v[24:25], v[166:167], v[168:169], v[24:25]
	v_mov_b32_e32 v168, 0
	v_dot4c_i32_i8_e32 v168, v88, v158
	v_dot4c_i32_i8_e32 v168, v89, v162
	;; [unrolled: 1-line block ×8, first 2 shown]
	v_pk_mul_f32 v[166:167], v[82:83], v[122:123] op_sel_hi:[0,1]
	s_nop 1
	v_cvt_f32_i32_e32 v169, v168
	v_cvt_f32_i32_e32 v168, v170
	v_mov_b32_e32 v170, 0
	v_pk_fma_f32 v[22:23], v[166:167], v[168:169], v[22:23]
	v_mov_b32_e32 v168, 0
	v_dot4c_i32_i8_e32 v168, v92, v158
	v_dot4c_i32_i8_e32 v168, v93, v162
	;; [unrolled: 1-line block ×8, first 2 shown]
	v_pk_mul_f32 v[166:167], v[84:85], v[122:123] op_sel_hi:[0,1]
	v_pk_mul_f32 v[122:123], v[90:91], v[122:123] op_sel_hi:[0,1]
	s_nop 0
	v_cvt_f32_i32_e32 v169, v168
	v_cvt_f32_i32_e32 v168, v171
	v_mov_b32_e32 v171, 0
	v_pk_fma_f32 v[20:21], v[166:167], v[168:169], v[20:21]
	v_mov_b32_e32 v166, 0
	v_dot4c_i32_i8_e32 v166, v98, v158
	v_dot4c_i32_i8_e32 v166, v99, v162
	v_dot4c_i32_i8_e32 v166, v106, v159
	v_dot4c_i32_i8_e32 v166, v107, v163
	v_dot4c_i32_i8_e32 v166, v116, v160
	v_dot4c_i32_i8_e32 v166, v117, v164
	v_dot4c_i32_i8_e32 v166, v120, v161
	v_dot4c_i32_i8_e32 v166, v121, v165
	v_cvt_f32_i32_e32 v158, v172
	v_mov_b32_e32 v168, 0
	v_mov_b32_e32 v172, 0
	v_cvt_f32_i32_e32 v159, v166
	v_mov_b32_e32 v169, 0
	v_pk_fma_f32 v[18:19], v[122:123], v[158:159], v[18:19]
	ds_read_b128 v[158:161], v152 offset:4096
	ds_read_b128 v[162:165], v152 offset:4112
	ds_read2_b32 v[122:123], v83 offset0:128 offset1:160
	s_waitcnt lgkmcnt(2)
	v_dot4c_i32_i8_e32 v168, v94, v158
	v_dot4c_i32_i8_e32 v170, v88, v158
	;; [unrolled: 1-line block ×4, first 2 shown]
	s_waitcnt lgkmcnt(1)
	v_dot4c_i32_i8_e32 v168, v95, v162
	v_dot4c_i32_i8_e32 v170, v89, v162
	;; [unrolled: 1-line block ×28, first 2 shown]
	ds_read_b128 v[158:161], v152 offset:5120
	ds_read_b128 v[162:165], v152 offset:5136
	v_cvt_f32_i32_e32 v168, v168
	s_waitcnt lgkmcnt(2)
	v_pk_mul_f32 v[166:167], v[86:87], v[122:123] op_sel_hi:[0,1]
	s_waitcnt lgkmcnt(1)
	v_dot4c_i32_i8_e32 v169, v94, v158
	s_waitcnt lgkmcnt(0)
	v_dot4c_i32_i8_e32 v169, v95, v162
	v_dot4c_i32_i8_e32 v169, v102, v159
	;; [unrolled: 1-line block ×7, first 2 shown]
	s_nop 2
	v_cvt_f32_i32_e32 v169, v169
	v_pk_fma_f32 v[16:17], v[166:167], v[168:169], v[16:17]
	v_mov_b32_e32 v168, 0
	v_dot4c_i32_i8_e32 v168, v88, v158
	v_dot4c_i32_i8_e32 v168, v89, v162
	;; [unrolled: 1-line block ×8, first 2 shown]
	v_pk_mul_f32 v[166:167], v[82:83], v[122:123] op_sel_hi:[0,1]
	s_nop 1
	v_cvt_f32_i32_e32 v169, v168
	v_cvt_f32_i32_e32 v168, v170
	v_mov_b32_e32 v170, 0
	v_pk_fma_f32 v[14:15], v[166:167], v[168:169], v[14:15]
	v_mov_b32_e32 v168, 0
	v_dot4c_i32_i8_e32 v168, v92, v158
	v_dot4c_i32_i8_e32 v168, v93, v162
	;; [unrolled: 1-line block ×8, first 2 shown]
	v_pk_mul_f32 v[166:167], v[84:85], v[122:123] op_sel_hi:[0,1]
	v_pk_mul_f32 v[122:123], v[90:91], v[122:123] op_sel_hi:[0,1]
	s_nop 0
	v_cvt_f32_i32_e32 v169, v168
	v_cvt_f32_i32_e32 v168, v171
	v_pk_fma_f32 v[12:13], v[166:167], v[168:169], v[12:13]
	v_mov_b32_e32 v166, 0
	v_dot4c_i32_i8_e32 v166, v98, v158
	v_dot4c_i32_i8_e32 v166, v99, v162
	;; [unrolled: 1-line block ×8, first 2 shown]
	v_cvt_f32_i32_e32 v158, v172
	v_mov_b32_e32 v167, 0
	v_mov_b32_e32 v168, 0
	v_cvt_f32_i32_e32 v159, v166
	v_mov_b32_e32 v166, 0
	v_mov_b32_e32 v169, 0
	v_pk_fma_f32 v[10:11], v[122:123], v[158:159], v[10:11]
	ds_read_b128 v[158:161], v152 offset:6144
	ds_read_b128 v[162:165], v152 offset:6160
	ds_read2_b32 v[122:123], v83 offset0:192 offset1:224
	s_waitcnt lgkmcnt(2)
	v_dot4c_i32_i8_e32 v166, v94, v158
	v_dot4c_i32_i8_e32 v167, v88, v158
	;; [unrolled: 1-line block ×4, first 2 shown]
	s_waitcnt lgkmcnt(1)
	v_dot4c_i32_i8_e32 v166, v95, v162
	v_dot4c_i32_i8_e32 v167, v89, v162
	;; [unrolled: 1-line block ×28, first 2 shown]
	ds_read_b128 v[158:161], v152 offset:7168
	ds_read_b128 v[162:165], v152 offset:7184
	v_add_u32_e32 v152, 32, v152
	s_waitcnt lgkmcnt(1)
	v_dot4c_i32_i8_e32 v170, v94, v158
	s_waitcnt lgkmcnt(0)
	v_dot4c_i32_i8_e32 v170, v95, v162
	v_pk_mul_f32 v[94:95], v[86:87], v[122:123] op_sel_hi:[0,1]
	v_mov_b32_e32 v86, 0
	v_dot4c_i32_i8_e32 v86, v88, v158
	v_dot4c_i32_i8_e32 v86, v89, v162
	v_pk_mul_f32 v[88:89], v[82:83], v[122:123] op_sel_hi:[0,1]
	v_mov_b32_e32 v82, 0
	v_dot4c_i32_i8_e32 v82, v92, v158
	v_dot4c_i32_i8_e32 v82, v93, v162
	;; [unrolled: 1-line block ×16, first 2 shown]
	v_cvt_f32_i32_e32 v102, v166
	v_cvt_f32_i32_e32 v103, v170
	v_dot4c_i32_i8_e32 v86, v104, v160
	v_cvt_f32_i32_e32 v93, v82
	v_mov_b32_e32 v82, 0
	v_dot4c_i32_i8_e32 v86, v105, v164
	v_dot4c_i32_i8_e32 v82, v98, v158
	;; [unrolled: 1-line block ×6, first 2 shown]
	v_pk_fma_f32 v[8:9], v[94:95], v[102:103], v[8:9]
	v_cvt_f32_i32_e32 v94, v167
	v_cvt_f32_i32_e32 v95, v86
	v_dot4c_i32_i8_e32 v82, v107, v163
	v_cvt_f32_i32_e32 v92, v168
	v_dot4c_i32_i8_e32 v82, v116, v160
	v_dot4c_i32_i8_e32 v82, v117, v164
	;; [unrolled: 1-line block ×3, first 2 shown]
	v_pk_fma_f32 v[6:7], v[88:89], v[94:95], v[6:7]
	v_pk_mul_f32 v[88:89], v[84:85], v[122:123] op_sel_hi:[0,1]
	v_dot4c_i32_i8_e32 v82, v121, v165
	v_pk_fma_f32 v[4:5], v[88:89], v[92:93], v[4:5]
	v_cvt_f32_i32_e32 v92, v169
	v_pk_mul_f32 v[88:89], v[90:91], v[122:123] op_sel_hi:[0,1]
	v_cvt_f32_i32_e32 v93, v82
	v_add_u32_e32 v83, 4, v83
	v_pk_fma_f32 v[2:3], v[88:89], v[92:93], v[2:3]
	s_cbranch_scc1 .LBB161_10
; %bb.11:                               ;   in Loop: Header=BB161_6 Depth=1
	s_barrier
	s_branch .LBB161_5
.LBB161_12:
	v_mov_b32_e32 v34, v35
.LBB161_13:
	v_cmp_gt_u32_e32 vcc, s8, v37
	s_and_saveexec_b64 s[0:1], vcc
	s_cbranch_execz .LBB161_64
; %bb.14:
	v_add_u32_e32 v0, s6, v1
	v_mul_lo_u32 v35, v37, s10
	v_cmp_gt_u32_e32 vcc, s10, v0
	s_and_saveexec_b64 s[2:3], vcc
	s_cbranch_execz .LBB161_16
; %bb.15:
	v_bfe_u32 v1, v32, 16, 1
	s_movk_i32 s0, 0x7fff
	v_add3_u32 v1, v32, v1, s0
	v_lshrrev_b32_e32 v1, 16, v1
	v_mov_b32_e32 v36, 0x7fc0
	v_cmp_o_f32_e64 s[0:1], v32, v32
	v_cndmask_b32_e64 v1, v36, v1, s[0:1]
	v_add_u32_e32 v36, v0, v35
	v_mov_b32_e32 v37, 0
	v_lshlrev_b64 v[36:37], 1, v[36:37]
	s_waitcnt lgkmcnt(0)
	v_mov_b32_e32 v32, s13
	v_add_co_u32_e64 v36, s[0:1], s12, v36
	v_addc_co_u32_e64 v37, s[0:1], v32, v37, s[0:1]
	global_store_short v[36:37], v1, off
.LBB161_16:
	s_or_b64 exec, exec, s[2:3]
	v_add_u32_e32 v1, 32, v0
	v_cmp_gt_u32_e64 s[0:1], s10, v1
	s_and_saveexec_b64 s[4:5], s[0:1]
	s_cbranch_execz .LBB161_18
; %bb.17:
	v_bfe_u32 v32, v30, 16, 1
	s_movk_i32 s2, 0x7fff
	v_add3_u32 v32, v30, v32, s2
	v_lshrrev_b32_e32 v32, 16, v32
	v_mov_b32_e32 v36, 0x7fc0
	v_cmp_o_f32_e64 s[2:3], v30, v30
	v_cndmask_b32_e64 v30, v36, v32, s[2:3]
	v_add_u32_e32 v36, v1, v35
	v_mov_b32_e32 v37, 0
	v_lshlrev_b64 v[36:37], 1, v[36:37]
	s_waitcnt lgkmcnt(0)
	v_mov_b32_e32 v32, s13
	v_add_co_u32_e64 v36, s[2:3], s12, v36
	v_addc_co_u32_e64 v37, s[2:3], v32, v37, s[2:3]
	global_store_short v[36:37], v30, off
.LBB161_18:
	s_or_b64 exec, exec, s[4:5]
	v_add_u32_e32 v30, 64, v0
	v_cmp_gt_u32_e64 s[2:3], s10, v30
	s_and_saveexec_b64 s[6:7], s[2:3]
	;; [unrolled: 22-line block ×3, first 2 shown]
	s_cbranch_execz .LBB161_22
; %bb.21:
	v_bfe_u32 v32, v26, 16, 1
	s_movk_i32 s6, 0x7fff
	v_add3_u32 v32, v26, v32, s6
	v_lshrrev_b32_e32 v32, 16, v32
	v_mov_b32_e32 v36, 0x7fc0
	v_cmp_o_f32_e64 s[6:7], v26, v26
	v_cndmask_b32_e64 v26, v36, v32, s[6:7]
	v_add_u32_e32 v36, v28, v35
	v_mov_b32_e32 v37, 0
	v_lshlrev_b64 v[36:37], 1, v[36:37]
	s_waitcnt lgkmcnt(0)
	v_mov_b32_e32 v32, s13
	v_add_co_u32_e64 v36, s[6:7], s12, v36
	v_addc_co_u32_e64 v37, s[6:7], v32, v37, s[6:7]
	global_store_short v[36:37], v26, off
.LBB161_22:
	s_or_b64 exec, exec, s[14:15]
	v_add3_u32 v26, v34, s11, 8
	v_cmp_gt_u32_e64 s[6:7], s8, v26
	s_and_b64 exec, exec, s[6:7]
	s_cbranch_execz .LBB161_64
; %bb.23:
	v_mul_lo_u32 v26, v26, s10
	s_and_saveexec_b64 s[14:15], vcc
	s_cbranch_execnz .LBB161_65
; %bb.24:
	s_or_b64 exec, exec, s[14:15]
	s_and_saveexec_b64 s[14:15], s[0:1]
	s_cbranch_execnz .LBB161_66
.LBB161_25:
	s_or_b64 exec, exec, s[14:15]
	s_and_saveexec_b64 s[14:15], s[2:3]
	s_cbranch_execnz .LBB161_67
.LBB161_26:
	s_or_b64 exec, exec, s[14:15]
	s_and_saveexec_b64 s[14:15], s[4:5]
	s_cbranch_execz .LBB161_28
.LBB161_27:
	v_bfe_u32 v29, v27, 16, 1
	s_movk_i32 s6, 0x7fff
	v_add3_u32 v29, v27, v29, s6
	v_cmp_o_f32_e64 s[6:7], v27, v27
	v_add_u32_e32 v26, v26, v28
	v_mov_b32_e32 v27, 0
	v_lshrrev_b32_e32 v29, 16, v29
	v_mov_b32_e32 v31, 0x7fc0
	v_lshlrev_b64 v[26:27], 1, v[26:27]
	v_cndmask_b32_e64 v29, v31, v29, s[6:7]
	s_waitcnt lgkmcnt(0)
	v_mov_b32_e32 v31, s13
	v_add_co_u32_e64 v26, s[6:7], s12, v26
	v_addc_co_u32_e64 v27, s[6:7], v31, v27, s[6:7]
	global_store_short v[26:27], v29, off
.LBB161_28:
	s_or_b64 exec, exec, s[14:15]
	v_add3_u32 v26, v34, s11, 16
	v_cmp_gt_u32_e64 s[6:7], s8, v26
	s_and_b64 exec, exec, s[6:7]
	s_cbranch_execz .LBB161_64
; %bb.29:
	v_mul_lo_u32 v26, v26, s10
	s_and_saveexec_b64 s[14:15], vcc
	s_cbranch_execnz .LBB161_68
; %bb.30:
	s_or_b64 exec, exec, s[14:15]
	s_and_saveexec_b64 s[14:15], s[0:1]
	s_cbranch_execnz .LBB161_69
.LBB161_31:
	s_or_b64 exec, exec, s[14:15]
	s_and_saveexec_b64 s[14:15], s[2:3]
	s_cbranch_execnz .LBB161_70
.LBB161_32:
	s_or_b64 exec, exec, s[14:15]
	s_and_saveexec_b64 s[14:15], s[4:5]
	s_cbranch_execz .LBB161_34
.LBB161_33:
	v_bfe_u32 v20, v18, 16, 1
	s_movk_i32 s6, 0x7fff
	v_add3_u32 v20, v18, v20, s6
	v_add_u32_e32 v26, v26, v28
	v_mov_b32_e32 v27, 0
	v_lshrrev_b32_e32 v20, 16, v20
	v_mov_b32_e32 v22, 0x7fc0
	v_cmp_o_f32_e64 s[6:7], v18, v18
	v_lshlrev_b64 v[26:27], 1, v[26:27]
	v_cndmask_b32_e64 v18, v22, v20, s[6:7]
	s_waitcnt lgkmcnt(0)
	v_mov_b32_e32 v20, s13
	v_add_co_u32_e64 v26, s[6:7], s12, v26
	v_addc_co_u32_e64 v27, s[6:7], v20, v27, s[6:7]
	global_store_short v[26:27], v18, off
.LBB161_34:
	s_or_b64 exec, exec, s[14:15]
	v_add3_u32 v18, v34, s11, 24
	v_cmp_gt_u32_e64 s[6:7], s8, v18
	s_and_b64 exec, exec, s[6:7]
	s_cbranch_execz .LBB161_64
; %bb.35:
	v_mul_lo_u32 v18, v18, s10
	s_and_saveexec_b64 s[14:15], vcc
	s_cbranch_execnz .LBB161_71
; %bb.36:
	s_or_b64 exec, exec, s[14:15]
	s_and_saveexec_b64 s[14:15], s[0:1]
	s_cbranch_execnz .LBB161_72
.LBB161_37:
	s_or_b64 exec, exec, s[14:15]
	s_and_saveexec_b64 s[14:15], s[2:3]
	s_cbranch_execnz .LBB161_73
.LBB161_38:
	s_or_b64 exec, exec, s[14:15]
	s_and_saveexec_b64 s[14:15], s[4:5]
	s_cbranch_execz .LBB161_40
.LBB161_39:
	v_bfe_u32 v20, v19, 16, 1
	s_movk_i32 s6, 0x7fff
	v_add3_u32 v20, v19, v20, s6
	v_cmp_o_f32_e64 s[6:7], v19, v19
	v_add_u32_e32 v18, v18, v28
	v_mov_b32_e32 v19, 0
	v_lshrrev_b32_e32 v20, 16, v20
	v_mov_b32_e32 v21, 0x7fc0
	v_lshlrev_b64 v[18:19], 1, v[18:19]
	v_cndmask_b32_e64 v20, v21, v20, s[6:7]
	s_waitcnt lgkmcnt(0)
	v_mov_b32_e32 v21, s13
	v_add_co_u32_e64 v18, s[6:7], s12, v18
	v_addc_co_u32_e64 v19, s[6:7], v21, v19, s[6:7]
	global_store_short v[18:19], v20, off
.LBB161_40:
	s_or_b64 exec, exec, s[14:15]
	v_add3_u32 v18, v34, s11, 32
	v_cmp_gt_u32_e64 s[6:7], s8, v18
	s_and_b64 exec, exec, s[6:7]
	s_cbranch_execz .LBB161_64
; %bb.41:
	v_mul_lo_u32 v18, v18, s10
	s_and_saveexec_b64 s[14:15], vcc
	s_cbranch_execnz .LBB161_74
; %bb.42:
	s_or_b64 exec, exec, s[14:15]
	s_and_saveexec_b64 s[14:15], s[0:1]
	s_cbranch_execnz .LBB161_75
.LBB161_43:
	s_or_b64 exec, exec, s[14:15]
	s_and_saveexec_b64 s[14:15], s[2:3]
	s_cbranch_execnz .LBB161_76
.LBB161_44:
	s_or_b64 exec, exec, s[14:15]
	s_and_saveexec_b64 s[14:15], s[4:5]
	s_cbranch_execz .LBB161_46
.LBB161_45:
	v_bfe_u32 v12, v10, 16, 1
	s_movk_i32 s6, 0x7fff
	v_add3_u32 v12, v10, v12, s6
	v_add_u32_e32 v18, v18, v28
	v_mov_b32_e32 v19, 0
	v_lshrrev_b32_e32 v12, 16, v12
	v_mov_b32_e32 v14, 0x7fc0
	v_cmp_o_f32_e64 s[6:7], v10, v10
	v_lshlrev_b64 v[18:19], 1, v[18:19]
	v_cndmask_b32_e64 v10, v14, v12, s[6:7]
	s_waitcnt lgkmcnt(0)
	v_mov_b32_e32 v12, s13
	v_add_co_u32_e64 v18, s[6:7], s12, v18
	v_addc_co_u32_e64 v19, s[6:7], v12, v19, s[6:7]
	global_store_short v[18:19], v10, off
.LBB161_46:
	s_or_b64 exec, exec, s[14:15]
	v_add3_u32 v10, v34, s11, 40
	v_cmp_gt_u32_e64 s[6:7], s8, v10
	s_and_b64 exec, exec, s[6:7]
	s_cbranch_execz .LBB161_64
; %bb.47:
	v_mul_lo_u32 v10, v10, s10
	s_and_saveexec_b64 s[14:15], vcc
	s_cbranch_execnz .LBB161_77
; %bb.48:
	s_or_b64 exec, exec, s[14:15]
	s_and_saveexec_b64 s[14:15], s[0:1]
	s_cbranch_execnz .LBB161_78
.LBB161_49:
	s_or_b64 exec, exec, s[14:15]
	s_and_saveexec_b64 s[14:15], s[2:3]
	s_cbranch_execnz .LBB161_79
.LBB161_50:
	s_or_b64 exec, exec, s[14:15]
	s_and_saveexec_b64 s[14:15], s[4:5]
	s_cbranch_execz .LBB161_52
.LBB161_51:
	v_bfe_u32 v12, v11, 16, 1
	s_movk_i32 s6, 0x7fff
	v_add3_u32 v12, v11, v12, s6
	v_cmp_o_f32_e64 s[6:7], v11, v11
	v_add_u32_e32 v10, v10, v28
	v_mov_b32_e32 v11, 0
	v_lshrrev_b32_e32 v12, 16, v12
	v_mov_b32_e32 v13, 0x7fc0
	v_lshlrev_b64 v[10:11], 1, v[10:11]
	v_cndmask_b32_e64 v12, v13, v12, s[6:7]
	s_waitcnt lgkmcnt(0)
	v_mov_b32_e32 v13, s13
	v_add_co_u32_e64 v10, s[6:7], s12, v10
	v_addc_co_u32_e64 v11, s[6:7], v13, v11, s[6:7]
	global_store_short v[10:11], v12, off
.LBB161_52:
	s_or_b64 exec, exec, s[14:15]
	v_add3_u32 v10, v34, s11, 48
	v_cmp_gt_u32_e64 s[6:7], s8, v10
	s_and_b64 exec, exec, s[6:7]
	s_cbranch_execz .LBB161_64
; %bb.53:
	v_mul_lo_u32 v10, v10, s10
	s_and_saveexec_b64 s[14:15], vcc
	s_cbranch_execnz .LBB161_80
; %bb.54:
	s_or_b64 exec, exec, s[14:15]
	s_and_saveexec_b64 s[14:15], s[0:1]
	s_cbranch_execnz .LBB161_81
.LBB161_55:
	s_or_b64 exec, exec, s[14:15]
	s_and_saveexec_b64 s[14:15], s[2:3]
	s_cbranch_execnz .LBB161_82
.LBB161_56:
	s_or_b64 exec, exec, s[14:15]
	s_and_saveexec_b64 s[14:15], s[4:5]
	s_cbranch_execz .LBB161_58
.LBB161_57:
	v_bfe_u32 v4, v2, 16, 1
	s_movk_i32 s6, 0x7fff
	v_add3_u32 v4, v2, v4, s6
	v_add_u32_e32 v10, v10, v28
	v_mov_b32_e32 v11, 0
	v_lshrrev_b32_e32 v4, 16, v4
	v_mov_b32_e32 v6, 0x7fc0
	v_cmp_o_f32_e64 s[6:7], v2, v2
	v_lshlrev_b64 v[10:11], 1, v[10:11]
	v_cndmask_b32_e64 v2, v6, v4, s[6:7]
	s_waitcnt lgkmcnt(0)
	v_mov_b32_e32 v4, s13
	v_add_co_u32_e64 v10, s[6:7], s12, v10
	v_addc_co_u32_e64 v11, s[6:7], v4, v11, s[6:7]
	global_store_short v[10:11], v2, off
.LBB161_58:
	s_or_b64 exec, exec, s[14:15]
	v_add3_u32 v2, v34, s11, 56
	v_cmp_gt_u32_e64 s[6:7], s8, v2
	s_and_b64 exec, exec, s[6:7]
	s_cbranch_execz .LBB161_64
; %bb.59:
	v_mul_lo_u32 v2, v2, s10
	s_and_saveexec_b64 s[6:7], vcc
	s_cbranch_execnz .LBB161_83
; %bb.60:
	s_or_b64 exec, exec, s[6:7]
	s_and_saveexec_b64 s[6:7], s[0:1]
	s_cbranch_execnz .LBB161_84
.LBB161_61:
	s_or_b64 exec, exec, s[6:7]
	s_and_saveexec_b64 s[0:1], s[2:3]
	s_cbranch_execnz .LBB161_85
.LBB161_62:
	s_or_b64 exec, exec, s[0:1]
	s_and_b64 exec, exec, s[4:5]
	s_cbranch_execz .LBB161_64
.LBB161_63:
	v_bfe_u32 v0, v3, 16, 1
	s_movk_i32 s0, 0x7fff
	v_add3_u32 v0, v3, v0, s0
	v_lshrrev_b32_e32 v0, 16, v0
	v_mov_b32_e32 v1, 0x7fc0
	v_cmp_o_f32_e32 vcc, v3, v3
	v_cndmask_b32_e32 v3, v1, v0, vcc
	v_add_u32_e32 v0, v2, v28
	v_mov_b32_e32 v1, 0
	v_lshlrev_b64 v[0:1], 1, v[0:1]
	s_waitcnt lgkmcnt(0)
	v_mov_b32_e32 v2, s13
	v_add_co_u32_e32 v0, vcc, s12, v0
	v_addc_co_u32_e32 v1, vcc, v2, v1, vcc
	global_store_short v[0:1], v3, off
.LBB161_64:
	s_endpgm
.LBB161_65:
	v_bfe_u32 v32, v33, 16, 1
	s_movk_i32 s6, 0x7fff
	v_add3_u32 v32, v33, v32, s6
	v_lshrrev_b32_e32 v32, 16, v32
	v_mov_b32_e32 v35, 0x7fc0
	v_cmp_o_f32_e64 s[6:7], v33, v33
	v_cndmask_b32_e64 v35, v35, v32, s[6:7]
	v_add_u32_e32 v32, v26, v0
	v_mov_b32_e32 v33, 0
	v_lshlrev_b64 v[32:33], 1, v[32:33]
	s_waitcnt lgkmcnt(0)
	v_mov_b32_e32 v36, s13
	v_add_co_u32_e64 v32, s[6:7], s12, v32
	v_addc_co_u32_e64 v33, s[6:7], v36, v33, s[6:7]
	global_store_short v[32:33], v35, off
	s_or_b64 exec, exec, s[14:15]
	s_and_saveexec_b64 s[14:15], s[0:1]
	s_cbranch_execz .LBB161_25
.LBB161_66:
	v_bfe_u32 v32, v31, 16, 1
	s_movk_i32 s6, 0x7fff
	v_add3_u32 v32, v31, v32, s6
	v_lshrrev_b32_e32 v32, 16, v32
	v_mov_b32_e32 v33, 0x7fc0
	v_cmp_o_f32_e64 s[6:7], v31, v31
	v_cndmask_b32_e64 v31, v33, v32, s[6:7]
	v_add_u32_e32 v32, v26, v1
	v_mov_b32_e32 v33, 0
	v_lshlrev_b64 v[32:33], 1, v[32:33]
	s_waitcnt lgkmcnt(0)
	v_mov_b32_e32 v35, s13
	v_add_co_u32_e64 v32, s[6:7], s12, v32
	v_addc_co_u32_e64 v33, s[6:7], v35, v33, s[6:7]
	global_store_short v[32:33], v31, off
	s_or_b64 exec, exec, s[14:15]
	s_and_saveexec_b64 s[14:15], s[2:3]
	s_cbranch_execz .LBB161_26
.LBB161_67:
	v_bfe_u32 v31, v29, 16, 1
	s_movk_i32 s6, 0x7fff
	v_add3_u32 v31, v29, v31, s6
	v_lshrrev_b32_e32 v31, 16, v31
	v_mov_b32_e32 v32, 0x7fc0
	v_cmp_o_f32_e64 s[6:7], v29, v29
	v_cndmask_b32_e64 v29, v32, v31, s[6:7]
	v_add_u32_e32 v32, v26, v30
	v_mov_b32_e32 v33, 0
	v_lshlrev_b64 v[32:33], 1, v[32:33]
	s_waitcnt lgkmcnt(0)
	v_mov_b32_e32 v31, s13
	v_add_co_u32_e64 v32, s[6:7], s12, v32
	v_addc_co_u32_e64 v33, s[6:7], v31, v33, s[6:7]
	global_store_short v[32:33], v29, off
	s_or_b64 exec, exec, s[14:15]
	s_and_saveexec_b64 s[14:15], s[4:5]
	s_cbranch_execnz .LBB161_27
	s_branch .LBB161_28
.LBB161_68:
	v_bfe_u32 v27, v24, 16, 1
	s_movk_i32 s6, 0x7fff
	v_add3_u32 v27, v24, v27, s6
	v_add_u32_e32 v32, v26, v0
	v_mov_b32_e32 v33, 0
	v_lshrrev_b32_e32 v27, 16, v27
	v_mov_b32_e32 v29, 0x7fc0
	v_cmp_o_f32_e64 s[6:7], v24, v24
	v_lshlrev_b64 v[32:33], 1, v[32:33]
	v_cndmask_b32_e64 v24, v29, v27, s[6:7]
	s_waitcnt lgkmcnt(0)
	v_mov_b32_e32 v27, s13
	v_add_co_u32_e64 v32, s[6:7], s12, v32
	v_addc_co_u32_e64 v33, s[6:7], v27, v33, s[6:7]
	global_store_short v[32:33], v24, off
	s_or_b64 exec, exec, s[14:15]
	s_and_saveexec_b64 s[14:15], s[0:1]
	s_cbranch_execz .LBB161_31
.LBB161_69:
	v_bfe_u32 v24, v22, 16, 1
	s_movk_i32 s6, 0x7fff
	v_add3_u32 v24, v22, v24, s6
	v_add_u32_e32 v32, v26, v1
	v_mov_b32_e32 v33, 0
	v_lshrrev_b32_e32 v24, 16, v24
	v_mov_b32_e32 v27, 0x7fc0
	v_cmp_o_f32_e64 s[6:7], v22, v22
	v_lshlrev_b64 v[32:33], 1, v[32:33]
	v_cndmask_b32_e64 v22, v27, v24, s[6:7]
	s_waitcnt lgkmcnt(0)
	v_mov_b32_e32 v24, s13
	v_add_co_u32_e64 v32, s[6:7], s12, v32
	v_addc_co_u32_e64 v33, s[6:7], v24, v33, s[6:7]
	global_store_short v[32:33], v22, off
	s_or_b64 exec, exec, s[14:15]
	s_and_saveexec_b64 s[14:15], s[2:3]
	s_cbranch_execz .LBB161_32
.LBB161_70:
	v_bfe_u32 v22, v20, 16, 1
	s_movk_i32 s6, 0x7fff
	v_add3_u32 v22, v20, v22, s6
	v_add_u32_e32 v32, v26, v30
	v_mov_b32_e32 v33, 0
	v_lshrrev_b32_e32 v22, 16, v22
	v_mov_b32_e32 v24, 0x7fc0
	v_cmp_o_f32_e64 s[6:7], v20, v20
	v_lshlrev_b64 v[32:33], 1, v[32:33]
	v_cndmask_b32_e64 v20, v24, v22, s[6:7]
	s_waitcnt lgkmcnt(0)
	v_mov_b32_e32 v22, s13
	v_add_co_u32_e64 v32, s[6:7], s12, v32
	v_addc_co_u32_e64 v33, s[6:7], v22, v33, s[6:7]
	global_store_short v[32:33], v20, off
	s_or_b64 exec, exec, s[14:15]
	s_and_saveexec_b64 s[14:15], s[4:5]
	s_cbranch_execnz .LBB161_33
	s_branch .LBB161_34
.LBB161_71:
	v_bfe_u32 v20, v25, 16, 1
	s_movk_i32 s6, 0x7fff
	v_add3_u32 v20, v25, v20, s6
	v_cmp_o_f32_e64 s[6:7], v25, v25
	v_add_u32_e32 v24, v18, v0
	v_mov_b32_e32 v25, 0
	v_lshrrev_b32_e32 v20, 16, v20
	v_mov_b32_e32 v22, 0x7fc0
	v_lshlrev_b64 v[24:25], 1, v[24:25]
	v_cndmask_b32_e64 v20, v22, v20, s[6:7]
	s_waitcnt lgkmcnt(0)
	v_mov_b32_e32 v22, s13
	v_add_co_u32_e64 v24, s[6:7], s12, v24
	v_addc_co_u32_e64 v25, s[6:7], v22, v25, s[6:7]
	global_store_short v[24:25], v20, off
	s_or_b64 exec, exec, s[14:15]
	s_and_saveexec_b64 s[14:15], s[0:1]
	s_cbranch_execz .LBB161_37
.LBB161_72:
	v_bfe_u32 v20, v23, 16, 1
	s_movk_i32 s6, 0x7fff
	v_add3_u32 v20, v23, v20, s6
	v_lshrrev_b32_e32 v20, 16, v20
	v_mov_b32_e32 v22, 0x7fc0
	v_cmp_o_f32_e64 s[6:7], v23, v23
	v_cndmask_b32_e64 v20, v22, v20, s[6:7]
	v_add_u32_e32 v22, v18, v1
	v_mov_b32_e32 v23, 0
	v_lshlrev_b64 v[22:23], 1, v[22:23]
	s_waitcnt lgkmcnt(0)
	v_mov_b32_e32 v24, s13
	v_add_co_u32_e64 v22, s[6:7], s12, v22
	v_addc_co_u32_e64 v23, s[6:7], v24, v23, s[6:7]
	global_store_short v[22:23], v20, off
	s_or_b64 exec, exec, s[14:15]
	s_and_saveexec_b64 s[14:15], s[2:3]
	s_cbranch_execz .LBB161_38
.LBB161_73:
	v_bfe_u32 v20, v21, 16, 1
	s_movk_i32 s6, 0x7fff
	v_add3_u32 v20, v21, v20, s6
	v_lshrrev_b32_e32 v20, 16, v20
	v_mov_b32_e32 v22, 0x7fc0
	v_cmp_o_f32_e64 s[6:7], v21, v21
	v_cndmask_b32_e64 v22, v22, v20, s[6:7]
	v_add_u32_e32 v20, v18, v30
	v_mov_b32_e32 v21, 0
	v_lshlrev_b64 v[20:21], 1, v[20:21]
	s_waitcnt lgkmcnt(0)
	v_mov_b32_e32 v23, s13
	v_add_co_u32_e64 v20, s[6:7], s12, v20
	v_addc_co_u32_e64 v21, s[6:7], v23, v21, s[6:7]
	global_store_short v[20:21], v22, off
	s_or_b64 exec, exec, s[14:15]
	s_and_saveexec_b64 s[14:15], s[4:5]
	s_cbranch_execnz .LBB161_39
	s_branch .LBB161_40
.LBB161_74:
	v_bfe_u32 v19, v16, 16, 1
	s_movk_i32 s6, 0x7fff
	v_add3_u32 v19, v16, v19, s6
	v_lshrrev_b32_e32 v19, 16, v19
	v_mov_b32_e32 v20, 0x7fc0
	v_cmp_o_f32_e64 s[6:7], v16, v16
	v_cndmask_b32_e64 v16, v20, v19, s[6:7]
	v_add_u32_e32 v20, v18, v0
	v_mov_b32_e32 v21, 0
	v_lshlrev_b64 v[20:21], 1, v[20:21]
	s_waitcnt lgkmcnt(0)
	v_mov_b32_e32 v19, s13
	v_add_co_u32_e64 v20, s[6:7], s12, v20
	v_addc_co_u32_e64 v21, s[6:7], v19, v21, s[6:7]
	global_store_short v[20:21], v16, off
	s_or_b64 exec, exec, s[14:15]
	s_and_saveexec_b64 s[14:15], s[0:1]
	s_cbranch_execz .LBB161_43
.LBB161_75:
	v_bfe_u32 v16, v14, 16, 1
	s_movk_i32 s6, 0x7fff
	v_add3_u32 v16, v14, v16, s6
	v_add_u32_e32 v20, v18, v1
	v_mov_b32_e32 v21, 0
	v_lshrrev_b32_e32 v16, 16, v16
	v_mov_b32_e32 v19, 0x7fc0
	v_cmp_o_f32_e64 s[6:7], v14, v14
	v_lshlrev_b64 v[20:21], 1, v[20:21]
	v_cndmask_b32_e64 v14, v19, v16, s[6:7]
	s_waitcnt lgkmcnt(0)
	v_mov_b32_e32 v16, s13
	v_add_co_u32_e64 v20, s[6:7], s12, v20
	v_addc_co_u32_e64 v21, s[6:7], v16, v21, s[6:7]
	global_store_short v[20:21], v14, off
	s_or_b64 exec, exec, s[14:15]
	s_and_saveexec_b64 s[14:15], s[2:3]
	s_cbranch_execz .LBB161_44
.LBB161_76:
	v_bfe_u32 v14, v12, 16, 1
	s_movk_i32 s6, 0x7fff
	v_add3_u32 v14, v12, v14, s6
	v_add_u32_e32 v20, v18, v30
	v_mov_b32_e32 v21, 0
	v_lshrrev_b32_e32 v14, 16, v14
	v_mov_b32_e32 v16, 0x7fc0
	v_cmp_o_f32_e64 s[6:7], v12, v12
	v_lshlrev_b64 v[20:21], 1, v[20:21]
	v_cndmask_b32_e64 v12, v16, v14, s[6:7]
	s_waitcnt lgkmcnt(0)
	v_mov_b32_e32 v14, s13
	v_add_co_u32_e64 v20, s[6:7], s12, v20
	v_addc_co_u32_e64 v21, s[6:7], v14, v21, s[6:7]
	global_store_short v[20:21], v12, off
	s_or_b64 exec, exec, s[14:15]
	s_and_saveexec_b64 s[14:15], s[4:5]
	s_cbranch_execnz .LBB161_45
	s_branch .LBB161_46
.LBB161_77:
	v_bfe_u32 v12, v17, 16, 1
	s_movk_i32 s6, 0x7fff
	v_add3_u32 v12, v17, v12, s6
	v_cmp_o_f32_e64 s[6:7], v17, v17
	v_add_u32_e32 v16, v10, v0
	v_mov_b32_e32 v17, 0
	v_lshrrev_b32_e32 v12, 16, v12
	v_mov_b32_e32 v14, 0x7fc0
	v_lshlrev_b64 v[16:17], 1, v[16:17]
	v_cndmask_b32_e64 v12, v14, v12, s[6:7]
	s_waitcnt lgkmcnt(0)
	v_mov_b32_e32 v14, s13
	v_add_co_u32_e64 v16, s[6:7], s12, v16
	v_addc_co_u32_e64 v17, s[6:7], v14, v17, s[6:7]
	global_store_short v[16:17], v12, off
	s_or_b64 exec, exec, s[14:15]
	s_and_saveexec_b64 s[14:15], s[0:1]
	s_cbranch_execz .LBB161_49
.LBB161_78:
	v_bfe_u32 v12, v15, 16, 1
	s_movk_i32 s6, 0x7fff
	v_add3_u32 v12, v15, v12, s6
	v_lshrrev_b32_e32 v12, 16, v12
	v_mov_b32_e32 v14, 0x7fc0
	v_cmp_o_f32_e64 s[6:7], v15, v15
	v_cndmask_b32_e64 v12, v14, v12, s[6:7]
	v_add_u32_e32 v14, v10, v1
	v_mov_b32_e32 v15, 0
	v_lshlrev_b64 v[14:15], 1, v[14:15]
	s_waitcnt lgkmcnt(0)
	v_mov_b32_e32 v16, s13
	v_add_co_u32_e64 v14, s[6:7], s12, v14
	v_addc_co_u32_e64 v15, s[6:7], v16, v15, s[6:7]
	global_store_short v[14:15], v12, off
	s_or_b64 exec, exec, s[14:15]
	s_and_saveexec_b64 s[14:15], s[2:3]
	s_cbranch_execz .LBB161_50
.LBB161_79:
	v_bfe_u32 v12, v13, 16, 1
	s_movk_i32 s6, 0x7fff
	v_add3_u32 v12, v13, v12, s6
	v_lshrrev_b32_e32 v12, 16, v12
	v_mov_b32_e32 v14, 0x7fc0
	v_cmp_o_f32_e64 s[6:7], v13, v13
	v_cndmask_b32_e64 v14, v14, v12, s[6:7]
	v_add_u32_e32 v12, v10, v30
	v_mov_b32_e32 v13, 0
	v_lshlrev_b64 v[12:13], 1, v[12:13]
	s_waitcnt lgkmcnt(0)
	v_mov_b32_e32 v15, s13
	v_add_co_u32_e64 v12, s[6:7], s12, v12
	v_addc_co_u32_e64 v13, s[6:7], v15, v13, s[6:7]
	global_store_short v[12:13], v14, off
	s_or_b64 exec, exec, s[14:15]
	s_and_saveexec_b64 s[14:15], s[4:5]
	s_cbranch_execnz .LBB161_51
	s_branch .LBB161_52
.LBB161_80:
	v_bfe_u32 v11, v8, 16, 1
	s_movk_i32 s6, 0x7fff
	v_add3_u32 v11, v8, v11, s6
	v_lshrrev_b32_e32 v11, 16, v11
	v_mov_b32_e32 v12, 0x7fc0
	v_cmp_o_f32_e64 s[6:7], v8, v8
	v_cndmask_b32_e64 v8, v12, v11, s[6:7]
	v_add_u32_e32 v12, v10, v0
	v_mov_b32_e32 v13, 0
	v_lshlrev_b64 v[12:13], 1, v[12:13]
	s_waitcnt lgkmcnt(0)
	v_mov_b32_e32 v11, s13
	v_add_co_u32_e64 v12, s[6:7], s12, v12
	v_addc_co_u32_e64 v13, s[6:7], v11, v13, s[6:7]
	global_store_short v[12:13], v8, off
	s_or_b64 exec, exec, s[14:15]
	s_and_saveexec_b64 s[14:15], s[0:1]
	s_cbranch_execz .LBB161_55
.LBB161_81:
	v_bfe_u32 v8, v6, 16, 1
	s_movk_i32 s6, 0x7fff
	v_add3_u32 v8, v6, v8, s6
	v_add_u32_e32 v12, v10, v1
	v_mov_b32_e32 v13, 0
	v_lshrrev_b32_e32 v8, 16, v8
	v_mov_b32_e32 v11, 0x7fc0
	v_cmp_o_f32_e64 s[6:7], v6, v6
	v_lshlrev_b64 v[12:13], 1, v[12:13]
	v_cndmask_b32_e64 v6, v11, v8, s[6:7]
	s_waitcnt lgkmcnt(0)
	v_mov_b32_e32 v8, s13
	v_add_co_u32_e64 v12, s[6:7], s12, v12
	v_addc_co_u32_e64 v13, s[6:7], v8, v13, s[6:7]
	global_store_short v[12:13], v6, off
	s_or_b64 exec, exec, s[14:15]
	s_and_saveexec_b64 s[14:15], s[2:3]
	s_cbranch_execz .LBB161_56
.LBB161_82:
	v_bfe_u32 v6, v4, 16, 1
	s_movk_i32 s6, 0x7fff
	v_add3_u32 v6, v4, v6, s6
	v_add_u32_e32 v12, v10, v30
	v_mov_b32_e32 v13, 0
	v_lshrrev_b32_e32 v6, 16, v6
	v_mov_b32_e32 v8, 0x7fc0
	v_cmp_o_f32_e64 s[6:7], v4, v4
	v_lshlrev_b64 v[12:13], 1, v[12:13]
	v_cndmask_b32_e64 v4, v8, v6, s[6:7]
	s_waitcnt lgkmcnt(0)
	v_mov_b32_e32 v6, s13
	v_add_co_u32_e64 v12, s[6:7], s12, v12
	v_addc_co_u32_e64 v13, s[6:7], v6, v13, s[6:7]
	global_store_short v[12:13], v4, off
	s_or_b64 exec, exec, s[14:15]
	s_and_saveexec_b64 s[14:15], s[4:5]
	s_cbranch_execnz .LBB161_57
	s_branch .LBB161_58
.LBB161_83:
	v_bfe_u32 v4, v9, 16, 1
	s_movk_i32 s8, 0x7fff
	v_add3_u32 v4, v9, v4, s8
	v_cmp_o_f32_e32 vcc, v9, v9
	v_add_u32_e32 v8, v2, v0
	v_mov_b32_e32 v9, 0
	v_lshrrev_b32_e32 v4, 16, v4
	v_mov_b32_e32 v6, 0x7fc0
	v_lshlrev_b64 v[8:9], 1, v[8:9]
	v_cndmask_b32_e32 v4, v6, v4, vcc
	s_waitcnt lgkmcnt(0)
	v_mov_b32_e32 v0, s13
	v_add_co_u32_e32 v8, vcc, s12, v8
	v_addc_co_u32_e32 v9, vcc, v0, v9, vcc
	global_store_short v[8:9], v4, off
	s_or_b64 exec, exec, s[6:7]
	s_and_saveexec_b64 s[6:7], s[0:1]
	s_cbranch_execz .LBB161_61
.LBB161_84:
	v_bfe_u32 v0, v7, 16, 1
	s_movk_i32 s0, 0x7fff
	v_add3_u32 v0, v7, v0, s0
	v_lshrrev_b32_e32 v0, 16, v0
	v_mov_b32_e32 v4, 0x7fc0
	v_cmp_o_f32_e32 vcc, v7, v7
	v_cndmask_b32_e32 v4, v4, v0, vcc
	v_add_u32_e32 v0, v2, v1
	v_mov_b32_e32 v1, 0
	v_lshlrev_b64 v[0:1], 1, v[0:1]
	s_waitcnt lgkmcnt(0)
	v_mov_b32_e32 v6, s13
	v_add_co_u32_e32 v0, vcc, s12, v0
	v_addc_co_u32_e32 v1, vcc, v6, v1, vcc
	global_store_short v[0:1], v4, off
	s_or_b64 exec, exec, s[6:7]
	s_and_saveexec_b64 s[0:1], s[2:3]
	s_cbranch_execz .LBB161_62
.LBB161_85:
	v_bfe_u32 v0, v5, 16, 1
	s_movk_i32 s2, 0x7fff
	v_add3_u32 v0, v5, v0, s2
	v_lshrrev_b32_e32 v0, 16, v0
	v_mov_b32_e32 v1, 0x7fc0
	v_cmp_o_f32_e32 vcc, v5, v5
	v_cndmask_b32_e32 v4, v1, v0, vcc
	v_add_u32_e32 v0, v2, v30
	v_mov_b32_e32 v1, 0
	v_lshlrev_b64 v[0:1], 1, v[0:1]
	s_waitcnt lgkmcnt(0)
	v_mov_b32_e32 v5, s13
	v_add_co_u32_e32 v0, vcc, s12, v0
	v_addc_co_u32_e32 v1, vcc, v5, v1, vcc
	global_store_short v[0:1], v4, off
	s_or_b64 exec, exec, s[0:1]
	s_and_b64 exec, exec, s[4:5]
	s_cbranch_execnz .LBB161_63
	s_branch .LBB161_64
	.section	.rodata,"a",@progbits
	.p2align	6, 0x0
	.amdhsa_kernel _ZL12mul_mat_q5_0IN3c108BFloat16ELb0EEvPKvS3_PT_iiiii
		.amdhsa_group_segment_fixed_size 46720
		.amdhsa_private_segment_fixed_size 0
		.amdhsa_kernarg_size 44
		.amdhsa_user_sgpr_count 6
		.amdhsa_user_sgpr_private_segment_buffer 1
		.amdhsa_user_sgpr_dispatch_ptr 0
		.amdhsa_user_sgpr_queue_ptr 0
		.amdhsa_user_sgpr_kernarg_segment_ptr 1
		.amdhsa_user_sgpr_dispatch_id 0
		.amdhsa_user_sgpr_flat_scratch_init 0
		.amdhsa_user_sgpr_kernarg_preload_length 0
		.amdhsa_user_sgpr_kernarg_preload_offset 0
		.amdhsa_user_sgpr_private_segment_size 0
		.amdhsa_uses_dynamic_stack 0
		.amdhsa_system_sgpr_private_segment_wavefront_offset 0
		.amdhsa_system_sgpr_workgroup_id_x 1
		.amdhsa_system_sgpr_workgroup_id_y 1
		.amdhsa_system_sgpr_workgroup_id_z 0
		.amdhsa_system_sgpr_workgroup_info 0
		.amdhsa_system_vgpr_workitem_id 1
		.amdhsa_next_free_vgpr 175
		.amdhsa_next_free_sgpr 20
		.amdhsa_accum_offset 176
		.amdhsa_reserve_vcc 1
		.amdhsa_reserve_flat_scratch 0
		.amdhsa_float_round_mode_32 0
		.amdhsa_float_round_mode_16_64 0
		.amdhsa_float_denorm_mode_32 3
		.amdhsa_float_denorm_mode_16_64 3
		.amdhsa_dx10_clamp 1
		.amdhsa_ieee_mode 1
		.amdhsa_fp16_overflow 0
		.amdhsa_tg_split 0
		.amdhsa_exception_fp_ieee_invalid_op 0
		.amdhsa_exception_fp_denorm_src 0
		.amdhsa_exception_fp_ieee_div_zero 0
		.amdhsa_exception_fp_ieee_overflow 0
		.amdhsa_exception_fp_ieee_underflow 0
		.amdhsa_exception_fp_ieee_inexact 0
		.amdhsa_exception_int_div_zero 0
	.end_amdhsa_kernel
	.section	.text._ZL12mul_mat_q5_0IN3c108BFloat16ELb0EEvPKvS3_PT_iiiii,"axG",@progbits,_ZL12mul_mat_q5_0IN3c108BFloat16ELb0EEvPKvS3_PT_iiiii,comdat
.Lfunc_end161:
	.size	_ZL12mul_mat_q5_0IN3c108BFloat16ELb0EEvPKvS3_PT_iiiii, .Lfunc_end161-_ZL12mul_mat_q5_0IN3c108BFloat16ELb0EEvPKvS3_PT_iiiii
                                        ; -- End function
	.section	.AMDGPU.csdata,"",@progbits
; Kernel info:
; codeLenInByte = 16228
; NumSgprs: 24
; NumVgprs: 175
; NumAgprs: 0
; TotalNumVgprs: 175
; ScratchSize: 0
; MemoryBound: 0
; FloatMode: 240
; IeeeMode: 1
; LDSByteSize: 46720 bytes/workgroup (compile time only)
; SGPRBlocks: 2
; VGPRBlocks: 21
; NumSGPRsForWavesPerEU: 24
; NumVGPRsForWavesPerEU: 175
; AccumOffset: 176
; Occupancy: 1
; WaveLimiterHint : 0
; COMPUTE_PGM_RSRC2:SCRATCH_EN: 0
; COMPUTE_PGM_RSRC2:USER_SGPR: 6
; COMPUTE_PGM_RSRC2:TRAP_HANDLER: 0
; COMPUTE_PGM_RSRC2:TGID_X_EN: 1
; COMPUTE_PGM_RSRC2:TGID_Y_EN: 1
; COMPUTE_PGM_RSRC2:TGID_Z_EN: 0
; COMPUTE_PGM_RSRC2:TIDIG_COMP_CNT: 1
; COMPUTE_PGM_RSRC3_GFX90A:ACCUM_OFFSET: 43
; COMPUTE_PGM_RSRC3_GFX90A:TG_SPLIT: 0
	.section	.text._ZL12mul_mat_q5_0IN3c108BFloat16ELb1EEvPKvS3_PT_iiiii,"axG",@progbits,_ZL12mul_mat_q5_0IN3c108BFloat16ELb1EEvPKvS3_PT_iiiii,comdat
	.globl	_ZL12mul_mat_q5_0IN3c108BFloat16ELb1EEvPKvS3_PT_iiiii ; -- Begin function _ZL12mul_mat_q5_0IN3c108BFloat16ELb1EEvPKvS3_PT_iiiii
	.p2align	8
	.type	_ZL12mul_mat_q5_0IN3c108BFloat16ELb1EEvPKvS3_PT_iiiii,@function
_ZL12mul_mat_q5_0IN3c108BFloat16ELb1EEvPKvS3_PT_iiiii: ; @_ZL12mul_mat_q5_0IN3c108BFloat16ELb1EEvPKvS3_PT_iiiii
; %bb.0:
	s_load_dwordx4 s[8:11], s[4:5], 0x18
	s_load_dword s14, s[4:5], 0x28
	s_lshl_b32 s15, s7, 6
	v_bfe_u32 v31, v0, 10, 10
	s_waitcnt lgkmcnt(0)
	s_cmp_gt_i32 s8, 31
	s_cbranch_scc1 .LBB162_2
; %bb.1:
	v_bfe_u32 v30, v0, 10, 10
	s_mov_b32 s0, 0
	v_and_b32_e32 v1, 0x3ff, v0
	v_add_u32_e32 v33, s15, v30
	s_mov_b32 s1, s0
	s_mov_b64 s[2:3], 0
	s_branch .LBB162_3
.LBB162_2:
	s_mov_b64 s[2:3], -1
                                        ; implicit-def: $sgpr0_sgpr1
                                        ; implicit-def: $vgpr30
                                        ; implicit-def: $vgpr1
                                        ; implicit-def: $vgpr33
.LBB162_3:
	s_load_dwordx2 s[12:13], s[4:5], 0x10
	s_lshl_b32 s6, s6, 7
	s_andn2_b64 vcc, exec, s[2:3]
	v_pk_mov_b32 v[2:3], s[0:1], s[0:1] op_sel:[0,1]
	v_pk_mov_b32 v[10:11], s[0:1], s[0:1] op_sel:[0,1]
	v_pk_mov_b32 v[18:19], s[0:1], s[0:1] op_sel:[0,1]
	v_pk_mov_b32 v[26:27], s[0:1], s[0:1] op_sel:[0,1]
	v_pk_mov_b32 v[4:5], s[0:1], s[0:1] op_sel:[0,1]
	v_pk_mov_b32 v[12:13], s[0:1], s[0:1] op_sel:[0,1]
	v_pk_mov_b32 v[20:21], s[0:1], s[0:1] op_sel:[0,1]
	v_pk_mov_b32 v[28:29], s[0:1], s[0:1] op_sel:[0,1]
	v_pk_mov_b32 v[6:7], s[0:1], s[0:1] op_sel:[0,1]
	v_pk_mov_b32 v[14:15], s[0:1], s[0:1] op_sel:[0,1]
	v_pk_mov_b32 v[22:23], s[0:1], s[0:1] op_sel:[0,1]
	v_pk_mov_b32 v[42:43], s[0:1], s[0:1] op_sel:[0,1]
	v_pk_mov_b32 v[8:9], s[0:1], s[0:1] op_sel:[0,1]
	v_pk_mov_b32 v[16:17], s[0:1], s[0:1] op_sel:[0,1]
	v_pk_mov_b32 v[24:25], s[0:1], s[0:1] op_sel:[0,1]
	v_pk_mov_b32 v[60:61], s[0:1], s[0:1] op_sel:[0,1]
	s_cbranch_vccnz .LBB162_13
; %bb.4:
	s_load_dwordx4 s[0:3], s[4:5], 0x0
	s_ashr_i32 s4, s8, 31
	s_lshr_b32 s4, s4, 27
	s_add_i32 s4, s8, s4
	s_ashr_i32 s7, s4, 5
	s_ashr_i32 s4, s11, 31
	s_lshr_b32 s4, s4, 27
	s_add_i32 s4, s11, s4
	s_mul_i32 s5, s7, s6
	s_ashr_i32 s4, s4, 5
	s_mul_hi_i32 s11, s5, 22
	s_mul_i32 s5, s5, 22
	s_waitcnt lgkmcnt(0)
	s_add_u32 s8, s0, s5
	s_addc_u32 s11, s1, s11
	s_not_b32 s0, s6
	s_add_i32 s5, s0, s9
	v_and_b32_e32 v1, 0x3ff, v0
	v_min_i32_e32 v3, s5, v31
	v_lshlrev_b32_e32 v4, 3, v1
	s_movk_i32 s1, 0x104
	v_add_u32_e32 v6, 8, v31
	v_mul_lo_u32 v32, v3, s7
	v_mad_u64_u32 v[34:35], s[16:17], v3, s1, v[4:5]
	v_min_i32_e32 v3, s5, v6
	v_add_u32_e32 v7, 16, v31
	v_mul_lo_u32 v36, v3, s7
	v_mad_u64_u32 v[38:39], s[16:17], v3, s1, v[4:5]
	v_min_i32_e32 v3, s5, v7
	;; [unrolled: 4-line block ×7, first 2 shown]
	v_mul_lo_u32 v64, v3, s7
	v_mad_u64_u32 v[66:67], s[16:17], v3, s1, v[4:5]
	v_add_u32_e32 v3, 64, v31
	v_min_i32_e32 v3, s5, v3
	v_mul_lo_u32 v68, v3, s7
	v_mad_u64_u32 v[70:71], s[16:17], v3, s1, v[4:5]
	v_add_u32_e32 v3, 0x48, v31
	v_min_i32_e32 v3, s5, v3
	;; [unrolled: 4-line block ×8, first 2 shown]
	v_lshrrev_b32_e32 v35, 3, v1
	v_mul_lo_u32 v96, v3, s7
	v_mad_u64_u32 v[98:99], s[16:17], v3, s1, v[4:5]
	v_lshl_add_u32 v3, v31, 2, v35
	v_min_i32_e32 v4, s5, v3
	v_ashrrev_i32_e32 v5, 31, v4
	v_lshrrev_b32_e32 v5, 30, v5
	v_and_b32_e32 v100, 7, v1
	v_mul_lo_u32 v102, v4, s7
	v_add_u32_e32 v5, v4, v5
	v_lshlrev_b32_e32 v15, 5, v4
	v_add_u32_e32 v4, 32, v3
	v_and_b32_e32 v5, -4, v5
	v_lshlrev_b32_e32 v13, 2, v100
	s_mov_b32 s9, 0xa200
	v_min_i32_e32 v4, s5, v4
	v_add3_u32 v14, v5, v13, s9
	v_ashrrev_i32_e32 v5, 31, v4
	v_lshrrev_b32_e32 v5, 30, v5
	v_mul_lo_u32 v104, v4, s7
	v_add_u32_e32 v5, v4, v5
	v_lshlrev_b32_e32 v17, 5, v4
	v_add_u32_e32 v4, 64, v3
	v_and_b32_e32 v5, -4, v5
	v_min_i32_e32 v4, s5, v4
	v_add3_u32 v16, v5, v13, s9
	v_ashrrev_i32_e32 v5, 31, v4
	v_add_u32_e32 v3, 0x60, v3
	v_lshrrev_b32_e32 v5, 30, v5
	v_min_i32_e32 v3, s5, v3
	v_mul_lo_u32 v106, v4, s7
	v_add_u32_e32 v5, v4, v5
	v_lshlrev_b32_e32 v19, 5, v4
	v_ashrrev_i32_e32 v4, 31, v3
	v_lshrrev_b32_e32 v4, 30, v4
	v_mul_lo_u32 v108, v3, s7
	v_add_u32_e32 v4, v3, v4
	v_lshlrev_b32_e32 v20, 5, v3
	v_lshlrev_b32_e32 v3, 2, v1
	v_lshrrev_b32_e32 v0, 2, v1
	v_and_b32_e32 v3, 28, v3
	v_add_co_u32_e32 v110, vcc, s2, v3
	v_lshl_add_u32 v3, v31, 3, v0
	v_mov_b32_e32 v22, s3
	v_and_b32_e32 v3, 63, v3
	v_and_b32_e32 v2, 3, v1
	s_add_i32 s5, s10, -1
	v_addc_co_u32_e32 v111, vcc, 0, v22, vcc
	v_or_b32_e32 v22, s15, v3
	v_lshlrev_b32_e32 v30, 2, v2
	v_min_i32_e32 v22, s5, v22
	v_and_b32_e32 v5, -4, v5
	v_and_b32_e32 v4, -4, v4
	v_add_u32_e32 v33, s15, v31
	v_mad_u64_u32 v[112:113], s[16:17], v22, s4, v[2:3]
	v_lshl_or_b32 v2, v3, 4, v30
	v_add3_u32 v18, v5, v13, s9
	v_add3_u32 v13, v4, v13, s9
	v_cvt_f64_i32_e32 v[4:5], s5
	v_add_u32_e32 v37, 0xb280, v2
	v_cvt_f64_u32_e32 v[2:3], v33
	v_and_b32_e32 v21, 31, v1
	v_min_f64 v[2:3], v[2:3], v[4:5]
	v_cvt_i32_f64_e32 v2, v[2:3]
	v_lshlrev_b32_e32 v21, 2, v21
	v_lshlrev_b32_e32 v22, 7, v31
	v_mul_lo_u32 v39, s4, v2
	v_or_b32_e32 v2, v22, v21
	v_add_u32_e32 v41, 0x8200, v2
	v_add_u32_e32 v2, 8, v33
	v_cvt_f64_u32_e32 v[2:3], v2
	v_min_f64 v[2:3], v[2:3], v[4:5]
	v_cvt_i32_f64_e32 v2, v[2:3]
	v_mul_lo_u32 v45, s4, v2
	v_lshl_or_b32 v2, v6, 7, v21
	v_add_u32_e32 v47, 0x8200, v2
	v_add_u32_e32 v2, 16, v33
	v_cvt_f64_u32_e32 v[2:3], v2
	v_min_f64 v[2:3], v[2:3], v[4:5]
	v_cvt_i32_f64_e32 v2, v[2:3]
	v_mul_lo_u32 v49, s4, v2
	v_lshl_or_b32 v2, v7, 7, v21
	;; [unrolled: 7-line block ×7, first 2 shown]
	v_add_u32_e32 v73, 0x8200, v2
	v_add_u32_e32 v2, 32, v1
	v_lshlrev_b32_e32 v5, 5, v1
	v_lshrrev_b32_e32 v77, 3, v2
	v_and_b32_e32 v2, 0x1fc, v2
	v_add_u32_e32 v2, v5, v2
	s_mov_b32 s0, 0
	v_add_u32_e32 v3, 64, v1
	v_add_u32_e32 v4, 0x60, v1
	;; [unrolled: 1-line block ×4, first 2 shown]
	v_mov_b32_e32 v2, 0x80
	v_and_b32_e32 v4, 0x1fc, v4
	v_and_b32_e32 v3, 0x1fc, v3
	v_and_b32_e32 v6, 0xfc, v1
	v_mad_u32_u24 v99, v1, s1, v2
	s_mov_b32 s1, s0
	v_add_u32_e32 v4, v5, v4
	v_add_u32_e32 v3, v5, v3
	;; [unrolled: 1-line block ×3, first 2 shown]
	v_mov_b32_e32 v6, 0xb280
	v_pk_mov_b32 v[60:61], s[0:1], s[0:1] op_sel:[0,1]
	v_mul_u32_u24_e32 v75, 0x104, v1
	v_add_u32_e32 v79, 0xae00, v4
	v_add_u32_e32 v81, 0xaa00, v3
	;; [unrolled: 1-line block ×4, first 2 shown]
	v_lshl_add_u32 v89, v31, 4, v6
	v_add_u32_e32 v91, 0xae10, v4
	v_add_u32_e32 v93, 0xaa10, v3
	;; [unrolled: 1-line block ×3, first 2 shown]
	s_movk_i32 s1, 0x1f00
	s_movk_i32 s9, 0xf000
	;; [unrolled: 1-line block ×3, first 2 shown]
	v_add_u32_e32 v101, v14, v15
	v_add_u32_e32 v103, v16, v17
	;; [unrolled: 1-line block ×4, first 2 shown]
	v_mov_b32_e32 v109, 8
	v_pk_mov_b32 v[24:25], v[60:61], v[60:61] op_sel:[0,1]
	v_pk_mov_b32 v[16:17], v[60:61], v[60:61] op_sel:[0,1]
	;; [unrolled: 1-line block ×15, first 2 shown]
	s_branch .LBB162_6
.LBB162_5:                              ;   in Loop: Header=BB162_6 Depth=1
	s_add_i32 s0, s0, 8
	s_cmp_ge_i32 s0, s7
	s_cbranch_scc1 .LBB162_12
.LBB162_6:                              ; =>This Loop Header: Depth=1
                                        ;     Child Loop BB162_7 Depth 2
                                        ;     Child Loop BB162_10 Depth 2
	s_mul_i32 s4, s0, 22
	s_mul_hi_u32 s5, s0, 22
	s_add_u32 s4, s8, s4
	s_addc_u32 s5, s11, s5
	v_mad_u64_u32 v[114:115], s[18:19], v0, 22, s[4:5]
	v_mad_i64_i32 v[116:117], s[18:19], v32, 22, v[114:115]
	v_add_co_u32_e32 v118, vcc, v116, v30
	v_addc_co_u32_e32 v119, vcc, 0, v117, vcc
	v_mad_i64_i32 v[124:125], s[18:19], v46, 22, v[114:115]
	v_mad_i64_i32 v[120:121], s[18:19], v36, 22, v[114:115]
	;; [unrolled: 1-line block ×3, first 2 shown]
	global_load_dword v113, v[124:125], off offset:2
	global_load_dword v126, v[122:123], off offset:2
	;; [unrolled: 1-line block ×3, first 2 shown]
	s_nop 0
	global_load_dword v118, v[118:119], off offset:6
	s_nop 0
	global_load_dword v119, v[116:117], off offset:2
	v_add_co_u32_e32 v116, vcc, v120, v30
	v_addc_co_u32_e32 v117, vcc, 0, v121, vcc
	global_load_dword v120, v[116:117], off offset:6
	v_add_co_u32_e32 v116, vcc, v122, v30
	v_addc_co_u32_e32 v117, vcc, 0, v123, vcc
	global_load_dword v132, v[116:117], off offset:6
	v_add_co_u32_e32 v116, vcc, v124, v30
	v_addc_co_u32_e32 v117, vcc, 0, v125, vcc
	global_load_dword v133, v[116:117], off offset:6
	v_mov_b32_e32 v156, v83
	v_mov_b32_e32 v157, v81
	;; [unrolled: 1-line block ×3, first 2 shown]
	s_waitcnt vmcnt(7)
	v_ashrrev_i32_e32 v113, v30, v113
	s_waitcnt vmcnt(4)
	v_and_b32_e32 v117, 0xf0f0f0f, v118
	s_waitcnt vmcnt(3)
	v_ashrrev_i32_e32 v116, v30, v119
	v_ashrrev_i32_e32 v119, v30, v127
	v_lshlrev_b32_e32 v122, 4, v116
	v_lshlrev_b32_e32 v123, 11, v116
	;; [unrolled: 1-line block ×4, first 2 shown]
	v_lshrrev_b32_e32 v127, 12, v116
	v_lshrrev_b32_e32 v128, 5, v116
	v_lshlrev_b32_e32 v129, 2, v116
	v_lshrrev_b32_e32 v118, 4, v118
	v_lshlrev_b32_e32 v116, 9, v116
	v_and_b32_e32 v122, 16, v122
	v_and_b32_e32 v123, 0x1000, v123
	;; [unrolled: 1-line block ×9, first 2 shown]
	v_or3_b32 v122, v122, v117, v123
	v_or3_b32 v117, v117, v124, v125
	;; [unrolled: 1-line block ×3, first 2 shown]
	v_and_b32_e32 v125, 0x1f00, v122
	v_lshlrev_b16_e32 v122, 8, v122
	v_and_b32_sdwa v127, v117, s1 dst_sel:DWORD dst_unused:UNUSED_PAD src0_sel:WORD_1 src1_sel:DWORD
	v_lshlrev_b16_sdwa v117, v109, v117 dst_sel:DWORD dst_unused:UNUSED_PAD src0_sel:DWORD src1_sel:WORD_1
	v_or3_b32 v116, v123, v116, v118
	v_add_u16_e32 v118, 0xf000, v122
	v_add_u16_e32 v117, 0xf000, v117
	v_lshlrev_b16_e32 v123, 8, v116
	v_and_b32_sdwa v128, v116, s16 dst_sel:DWORD dst_unused:UNUSED_PAD src0_sel:WORD_1 src1_sel:DWORD
	v_lshlrev_b32_e32 v130, 4, v119
	v_lshlrev_b32_e32 v131, 11, v119
	v_and_b32_e32 v122, 0x1f00, v116
	v_lshlrev_b16_sdwa v116, v109, v116 dst_sel:DWORD dst_unused:UNUSED_PAD src0_sel:DWORD src1_sel:WORD_1
	v_or_b32_sdwa v118, v125, v118 dst_sel:DWORD dst_unused:UNUSED_PAD src0_sel:DWORD src1_sel:BYTE_1
	v_or_b32_sdwa v117, v127, v117 dst_sel:DWORD dst_unused:UNUSED_PAD src0_sel:DWORD src1_sel:BYTE_1
	v_add_i16 v123, v123, s9 clamp
	v_add_i16 v125, v128, s9 clamp
	s_waitcnt vmcnt(2)
	v_and_b32_e32 v121, 0xf0f0f0f, v120
	v_and_b32_e32 v130, 16, v130
	;; [unrolled: 1-line block ×3, first 2 shown]
	v_add_i16 v116, v116, s9 clamp
	v_add_u16_e32 v118, 0xf000, v118
	v_add_u16_sdwa v117, v117, s9 dst_sel:WORD_1 dst_unused:UNUSED_PAD src0_sel:DWORD src1_sel:DWORD
	v_or_b32_sdwa v122, v122, v123 dst_sel:DWORD dst_unused:UNUSED_PAD src0_sel:DWORD src1_sel:BYTE_1
	v_and_b32_e32 v123, 0xffffff00, v125
	v_lshlrev_b32_e32 v134, 18, v119
	v_lshlrev_b32_e32 v135, 25, v119
	v_or3_b32 v124, v130, v121, v131
	v_or_b32_e32 v117, v118, v117
	v_add_u16_e32 v118, 0xf000, v122
	v_or_b32_sdwa v116, v116, v123 dst_sel:WORD_1 dst_unused:UNUSED_PAD src0_sel:BYTE_1 src1_sel:DWORD
	v_and_b32_e32 v134, 0x100000, v134
	v_and_b32_e32 v135, 0x10000000, v135
	v_or_b32_e32 v116, v118, v116
	v_lshlrev_b16_e32 v118, 8, v124
	ds_write2_b32 v34, v117, v116 offset1:1
	v_or3_b32 v116, v121, v134, v135
	v_and_b32_e32 v117, 0x1f00, v124
	v_add_u16_e32 v118, 0xf000, v118
	v_or_b32_sdwa v117, v117, v118 dst_sel:DWORD dst_unused:UNUSED_PAD src0_sel:DWORD src1_sel:BYTE_1
	v_and_b32_sdwa v118, v116, s1 dst_sel:DWORD dst_unused:UNUSED_PAD src0_sel:WORD_1 src1_sel:DWORD
	v_lshlrev_b16_sdwa v116, v109, v116 dst_sel:DWORD dst_unused:UNUSED_PAD src0_sel:DWORD src1_sel:WORD_1
	v_add_u16_e32 v116, 0xf000, v116
	v_or_b32_sdwa v116, v118, v116 dst_sel:DWORD dst_unused:UNUSED_PAD src0_sel:DWORD src1_sel:BYTE_1
	v_add_u16_e32 v117, 0xf000, v117
	v_add_u16_sdwa v116, v116, s9 dst_sel:WORD_1 dst_unused:UNUSED_PAD src0_sel:DWORD src1_sel:DWORD
	v_or_b32_e32 v116, v117, v116
	v_lshrrev_b32_e32 v117, 4, v120
	v_lshrrev_b32_e32 v118, 12, v119
	;; [unrolled: 1-line block ×3, first 2 shown]
	v_lshlrev_b32_e32 v121, 2, v119
	v_and_b32_e32 v118, 16, v118
	v_and_b32_e32 v120, 0x1000, v120
	v_and_b32_e32 v121, 0x100000, v121
	v_lshlrev_b32_e32 v119, 9, v119
	v_and_b32_e32 v117, 0xf0f0f0f, v117
	v_and_b32_e32 v119, 0x10000000, v119
	v_or3_b32 v118, v120, v118, v121
	v_or3_b32 v117, v118, v119, v117
	v_lshlrev_b16_e32 v119, 8, v117
	v_and_b32_e32 v118, 0x1f00, v117
	v_add_i16 v119, v119, s9 clamp
	v_or_b32_sdwa v118, v118, v119 dst_sel:DWORD dst_unused:UNUSED_PAD src0_sel:DWORD src1_sel:BYTE_1
	v_and_b32_sdwa v119, v117, s16 dst_sel:DWORD dst_unused:UNUSED_PAD src0_sel:WORD_1 src1_sel:DWORD
	v_add_i16 v119, v119, s9 clamp
	v_lshlrev_b16_sdwa v117, v109, v117 dst_sel:DWORD dst_unused:UNUSED_PAD src0_sel:DWORD src1_sel:WORD_1
	v_and_b32_e32 v119, 0xffffff00, v119
	v_add_i16 v117, v117, s9 clamp
	v_add_u16_e32 v118, 0xf000, v118
	v_or_b32_sdwa v117, v117, v119 dst_sel:WORD_1 dst_unused:UNUSED_PAD src0_sel:BYTE_1 src1_sel:DWORD
	v_or_b32_e32 v117, v118, v117
	v_ashrrev_i32_e32 v134, v30, v126
	ds_write2_b32 v38, v116, v117 offset1:1
	v_lshlrev_b32_e32 v117, 4, v134
	v_lshlrev_b32_e32 v118, 11, v134
	s_waitcnt vmcnt(1)
	v_and_b32_e32 v116, 0xf0f0f0f, v132
	v_and_b32_e32 v117, 16, v117
	;; [unrolled: 1-line block ×3, first 2 shown]
	v_or3_b32 v117, v117, v116, v118
	v_lshlrev_b32_e32 v118, 18, v134
	v_lshlrev_b32_e32 v119, 25, v134
	v_and_b32_e32 v118, 0x100000, v118
	v_and_b32_e32 v119, 0x10000000, v119
	v_or3_b32 v135, v116, v118, v119
	v_and_b32_e32 v116, 0x1f00, v117
	v_lshlrev_b16_e32 v117, 8, v117
	v_add_u16_e32 v117, 0xf000, v117
	v_or_b32_sdwa v116, v116, v117 dst_sel:DWORD dst_unused:UNUSED_PAD src0_sel:DWORD src1_sel:BYTE_1
	v_add_u16_e32 v136, 0xf000, v116
	v_mad_i64_i32 v[116:117], s[18:19], v50, 22, v[114:115]
	v_add_co_u32_e32 v118, vcc, v116, v30
	v_addc_co_u32_e32 v119, vcc, 0, v117, vcc
	v_mad_i64_i32 v[120:121], s[18:19], v54, 22, v[114:115]
	v_add_co_u32_e32 v122, vcc, v120, v30
	v_addc_co_u32_e32 v123, vcc, 0, v121, vcc
	;; [unrolled: 3-line block ×4, first 2 shown]
	global_load_dword v137, v[130:131], off offset:6
	global_load_dword v138, v[128:129], off offset:2
	;; [unrolled: 1-line block ×3, first 2 shown]
	s_nop 0
	global_load_dword v124, v[124:125], off offset:2
	s_nop 0
	global_load_dword v122, v[122:123], off offset:6
	;; [unrolled: 2-line block ×5, first 2 shown]
	v_lshlrev_b16_sdwa v119, v109, v135 dst_sel:DWORD dst_unused:UNUSED_PAD src0_sel:DWORD src1_sel:WORD_1
	v_and_b32_sdwa v117, v135, s1 dst_sel:DWORD dst_unused:UNUSED_PAD src0_sel:WORD_1 src1_sel:DWORD
	v_add_u16_e32 v119, 0xf000, v119
	v_lshrrev_b32_e32 v121, 12, v134
	v_lshrrev_b32_e32 v123, 5, v134
	v_lshlrev_b32_e32 v125, 2, v134
	v_or_b32_sdwa v117, v117, v119 dst_sel:DWORD dst_unused:UNUSED_PAD src0_sel:DWORD src1_sel:BYTE_1
	v_lshrrev_b32_e32 v119, 4, v132
	v_and_b32_e32 v121, 16, v121
	v_and_b32_e32 v123, 0x1000, v123
	;; [unrolled: 1-line block ×3, first 2 shown]
	v_lshlrev_b32_e32 v126, 9, v134
	v_and_b32_e32 v119, 0xf0f0f0f, v119
	v_and_b32_e32 v126, 0x10000000, v126
	v_or3_b32 v121, v123, v121, v125
	v_or3_b32 v119, v121, v126, v119
	v_lshlrev_b16_e32 v123, 8, v119
	v_and_b32_e32 v121, 0x1f00, v119
	v_add_i16 v123, v123, s9 clamp
	v_or_b32_sdwa v121, v121, v123 dst_sel:DWORD dst_unused:UNUSED_PAD src0_sel:DWORD src1_sel:BYTE_1
	v_and_b32_sdwa v123, v119, s16 dst_sel:DWORD dst_unused:UNUSED_PAD src0_sel:WORD_1 src1_sel:DWORD
	v_add_i16 v123, v123, s9 clamp
	v_lshlrev_b16_sdwa v119, v109, v119 dst_sel:DWORD dst_unused:UNUSED_PAD src0_sel:DWORD src1_sel:WORD_1
	v_and_b32_e32 v123, 0xffffff00, v123
	v_add_i16 v119, v119, s9 clamp
	v_add_u16_sdwa v117, v117, s9 dst_sel:WORD_1 dst_unused:UNUSED_PAD src0_sel:DWORD src1_sel:DWORD
	v_add_u16_e32 v121, 0xf000, v121
	v_or_b32_sdwa v119, v119, v123 dst_sel:WORD_1 dst_unused:UNUSED_PAD src0_sel:BYTE_1 src1_sel:DWORD
	v_or_b32_e32 v117, v136, v117
	v_or_b32_e32 v119, v121, v119
	ds_write2_b32 v44, v117, v119 offset1:1
	v_lshlrev_b32_e32 v119, 4, v113
	v_lshlrev_b32_e32 v121, 11, v113
	s_waitcnt vmcnt(8)
	v_and_b32_e32 v117, 0xf0f0f0f, v133
	v_and_b32_e32 v119, 16, v119
	;; [unrolled: 1-line block ×3, first 2 shown]
	v_or3_b32 v119, v119, v117, v121
	v_lshlrev_b32_e32 v121, 18, v113
	v_lshlrev_b32_e32 v123, 25, v113
	v_and_b32_e32 v121, 0x100000, v121
	v_and_b32_e32 v123, 0x10000000, v123
	v_or3_b32 v117, v117, v121, v123
	v_and_b32_e32 v121, 0x1f00, v119
	v_lshlrev_b16_e32 v119, 8, v119
	v_add_u16_e32 v119, 0xf000, v119
	v_or_b32_sdwa v119, v121, v119 dst_sel:DWORD dst_unused:UNUSED_PAD src0_sel:DWORD src1_sel:BYTE_1
	v_and_b32_sdwa v121, v117, s1 dst_sel:DWORD dst_unused:UNUSED_PAD src0_sel:WORD_1 src1_sel:DWORD
	v_lshlrev_b16_sdwa v117, v109, v117 dst_sel:DWORD dst_unused:UNUSED_PAD src0_sel:DWORD src1_sel:WORD_1
	v_add_u16_e32 v117, 0xf000, v117
	v_or_b32_sdwa v117, v121, v117 dst_sel:DWORD dst_unused:UNUSED_PAD src0_sel:DWORD src1_sel:BYTE_1
	v_add_u16_e32 v119, 0xf000, v119
	v_add_u16_sdwa v117, v117, s9 dst_sel:WORD_1 dst_unused:UNUSED_PAD src0_sel:DWORD src1_sel:DWORD
	v_lshrrev_b32_e32 v121, 12, v113
	v_lshrrev_b32_e32 v123, 5, v113
	v_lshlrev_b32_e32 v125, 2, v113
	v_or_b32_e32 v117, v119, v117
	v_lshrrev_b32_e32 v119, 4, v133
	v_and_b32_e32 v121, 16, v121
	v_and_b32_e32 v123, 0x1000, v123
	;; [unrolled: 1-line block ×3, first 2 shown]
	v_lshlrev_b32_e32 v113, 9, v113
	v_and_b32_e32 v119, 0xf0f0f0f, v119
	v_and_b32_e32 v113, 0x10000000, v113
	v_or3_b32 v121, v123, v121, v125
	v_or3_b32 v113, v121, v113, v119
	v_lshlrev_b16_e32 v121, 8, v113
	v_and_b32_e32 v119, 0x1f00, v113
	v_add_i16 v121, v121, s9 clamp
	v_or_b32_sdwa v119, v119, v121 dst_sel:DWORD dst_unused:UNUSED_PAD src0_sel:DWORD src1_sel:BYTE_1
	v_and_b32_sdwa v121, v113, s16 dst_sel:DWORD dst_unused:UNUSED_PAD src0_sel:WORD_1 src1_sel:DWORD
	v_add_i16 v121, v121, s9 clamp
	v_lshlrev_b16_sdwa v113, v109, v113 dst_sel:DWORD dst_unused:UNUSED_PAD src0_sel:DWORD src1_sel:WORD_1
	v_and_b32_e32 v121, 0xffffff00, v121
	v_add_i16 v113, v113, s9 clamp
	v_add_u16_e32 v119, 0xf000, v119
	v_or_b32_sdwa v113, v113, v121 dst_sel:WORD_1 dst_unused:UNUSED_PAD src0_sel:BYTE_1 src1_sel:DWORD
	v_or_b32_e32 v113, v119, v113
	ds_write2_b32 v48, v117, v113 offset1:1
	v_mad_i64_i32 v[128:129], s[18:19], v80, 22, v[114:115]
	s_waitcnt vmcnt(0)
	v_ashrrev_i32_e32 v113, v30, v116
	v_lshlrev_b32_e32 v117, 4, v113
	v_lshlrev_b32_e32 v119, 11, v113
	v_and_b32_e32 v116, 0xf0f0f0f, v118
	v_and_b32_e32 v117, 16, v117
	;; [unrolled: 1-line block ×3, first 2 shown]
	v_or3_b32 v117, v117, v116, v119
	v_lshlrev_b32_e32 v119, 18, v113
	v_lshlrev_b32_e32 v121, 25, v113
	v_and_b32_e32 v119, 0x100000, v119
	v_and_b32_e32 v121, 0x10000000, v121
	v_or3_b32 v116, v116, v119, v121
	v_and_b32_e32 v119, 0x1f00, v117
	v_lshlrev_b16_e32 v117, 8, v117
	v_add_u16_e32 v117, 0xf000, v117
	v_or_b32_sdwa v117, v119, v117 dst_sel:DWORD dst_unused:UNUSED_PAD src0_sel:DWORD src1_sel:BYTE_1
	v_and_b32_sdwa v119, v116, s1 dst_sel:DWORD dst_unused:UNUSED_PAD src0_sel:WORD_1 src1_sel:DWORD
	v_lshlrev_b16_sdwa v116, v109, v116 dst_sel:DWORD dst_unused:UNUSED_PAD src0_sel:DWORD src1_sel:WORD_1
	v_add_u16_e32 v116, 0xf000, v116
	v_or_b32_sdwa v116, v119, v116 dst_sel:DWORD dst_unused:UNUSED_PAD src0_sel:DWORD src1_sel:BYTE_1
	v_add_u16_e32 v117, 0xf000, v117
	v_add_u16_sdwa v116, v116, s9 dst_sel:WORD_1 dst_unused:UNUSED_PAD src0_sel:DWORD src1_sel:DWORD
	v_or_b32_e32 v116, v117, v116
	v_lshrrev_b32_e32 v117, 4, v118
	v_lshrrev_b32_e32 v118, 12, v113
	;; [unrolled: 1-line block ×3, first 2 shown]
	v_lshlrev_b32_e32 v121, 2, v113
	v_and_b32_e32 v118, 16, v118
	v_and_b32_e32 v119, 0x1000, v119
	;; [unrolled: 1-line block ×3, first 2 shown]
	v_lshlrev_b32_e32 v113, 9, v113
	v_and_b32_e32 v117, 0xf0f0f0f, v117
	v_and_b32_e32 v113, 0x10000000, v113
	v_or3_b32 v118, v119, v118, v121
	v_or3_b32 v113, v118, v113, v117
	v_lshlrev_b16_e32 v118, 8, v113
	v_and_b32_e32 v117, 0x1f00, v113
	v_add_i16 v118, v118, s9 clamp
	v_or_b32_sdwa v117, v117, v118 dst_sel:DWORD dst_unused:UNUSED_PAD src0_sel:DWORD src1_sel:BYTE_1
	v_and_b32_sdwa v118, v113, s16 dst_sel:DWORD dst_unused:UNUSED_PAD src0_sel:WORD_1 src1_sel:DWORD
	v_add_i16 v118, v118, s9 clamp
	v_lshlrev_b16_sdwa v113, v109, v113 dst_sel:DWORD dst_unused:UNUSED_PAD src0_sel:DWORD src1_sel:WORD_1
	v_and_b32_e32 v118, 0xffffff00, v118
	v_add_i16 v113, v113, s9 clamp
	v_add_u16_e32 v117, 0xf000, v117
	v_or_b32_sdwa v113, v113, v118 dst_sel:WORD_1 dst_unused:UNUSED_PAD src0_sel:BYTE_1 src1_sel:DWORD
	v_or_b32_e32 v113, v117, v113
	ds_write2_b32 v52, v116, v113 offset1:1
	v_ashrrev_i32_e32 v113, v30, v120
	v_lshlrev_b32_e32 v117, 4, v113
	v_lshlrev_b32_e32 v118, 11, v113
	v_and_b32_e32 v116, 0xf0f0f0f, v122
	v_and_b32_e32 v117, 16, v117
	;; [unrolled: 1-line block ×3, first 2 shown]
	v_or3_b32 v117, v117, v116, v118
	v_lshlrev_b32_e32 v118, 18, v113
	v_lshlrev_b32_e32 v119, 25, v113
	v_and_b32_e32 v118, 0x100000, v118
	v_and_b32_e32 v119, 0x10000000, v119
	v_or3_b32 v116, v116, v118, v119
	v_and_b32_e32 v118, 0x1f00, v117
	v_lshlrev_b16_e32 v117, 8, v117
	v_add_u16_e32 v117, 0xf000, v117
	v_or_b32_sdwa v117, v118, v117 dst_sel:DWORD dst_unused:UNUSED_PAD src0_sel:DWORD src1_sel:BYTE_1
	v_and_b32_sdwa v118, v116, s1 dst_sel:DWORD dst_unused:UNUSED_PAD src0_sel:WORD_1 src1_sel:DWORD
	v_lshlrev_b16_sdwa v116, v109, v116 dst_sel:DWORD dst_unused:UNUSED_PAD src0_sel:DWORD src1_sel:WORD_1
	v_add_u16_e32 v116, 0xf000, v116
	v_or_b32_sdwa v116, v118, v116 dst_sel:DWORD dst_unused:UNUSED_PAD src0_sel:DWORD src1_sel:BYTE_1
	v_add_u16_e32 v117, 0xf000, v117
	v_add_u16_sdwa v116, v116, s9 dst_sel:WORD_1 dst_unused:UNUSED_PAD src0_sel:DWORD src1_sel:DWORD
	v_lshrrev_b32_e32 v118, 12, v113
	v_lshrrev_b32_e32 v119, 5, v113
	v_lshlrev_b32_e32 v120, 2, v113
	v_or_b32_e32 v116, v117, v116
	v_lshrrev_b32_e32 v117, 4, v122
	v_and_b32_e32 v118, 16, v118
	v_and_b32_e32 v119, 0x1000, v119
	;; [unrolled: 1-line block ×3, first 2 shown]
	v_lshlrev_b32_e32 v113, 9, v113
	v_and_b32_e32 v117, 0xf0f0f0f, v117
	v_and_b32_e32 v113, 0x10000000, v113
	v_or3_b32 v118, v119, v118, v120
	v_or3_b32 v113, v118, v113, v117
	v_lshlrev_b16_e32 v118, 8, v113
	v_and_b32_e32 v117, 0x1f00, v113
	v_add_i16 v118, v118, s9 clamp
	v_or_b32_sdwa v117, v117, v118 dst_sel:DWORD dst_unused:UNUSED_PAD src0_sel:DWORD src1_sel:BYTE_1
	v_and_b32_sdwa v118, v113, s16 dst_sel:DWORD dst_unused:UNUSED_PAD src0_sel:WORD_1 src1_sel:DWORD
	v_add_i16 v118, v118, s9 clamp
	v_lshlrev_b16_sdwa v113, v109, v113 dst_sel:DWORD dst_unused:UNUSED_PAD src0_sel:DWORD src1_sel:WORD_1
	v_and_b32_e32 v118, 0xffffff00, v118
	v_add_i16 v113, v113, s9 clamp
	v_add_u16_e32 v117, 0xf000, v117
	v_or_b32_sdwa v113, v113, v118 dst_sel:WORD_1 dst_unused:UNUSED_PAD src0_sel:BYTE_1 src1_sel:DWORD
	v_or_b32_e32 v113, v117, v113
	ds_write2_b32 v56, v116, v113 offset1:1
	v_ashrrev_i32_e32 v113, v30, v124
	v_lshlrev_b32_e32 v117, 4, v113
	v_lshlrev_b32_e32 v118, 11, v113
	v_and_b32_e32 v116, 0xf0f0f0f, v139
	v_and_b32_e32 v117, 16, v117
	;; [unrolled: 1-line block ×3, first 2 shown]
	v_or3_b32 v117, v117, v116, v118
	v_lshlrev_b32_e32 v118, 18, v113
	v_lshlrev_b32_e32 v119, 25, v113
	v_and_b32_e32 v118, 0x100000, v118
	v_and_b32_e32 v119, 0x10000000, v119
	v_or3_b32 v132, v116, v118, v119
	v_and_b32_e32 v116, 0x1f00, v117
	v_lshlrev_b16_e32 v117, 8, v117
	v_add_u16_e32 v117, 0xf000, v117
	v_or_b32_sdwa v116, v116, v117 dst_sel:DWORD dst_unused:UNUSED_PAD src0_sel:DWORD src1_sel:BYTE_1
	v_add_u16_e32 v133, 0xf000, v116
	v_mad_i64_i32 v[116:117], s[18:19], v68, 22, v[114:115]
	v_add_co_u32_e32 v118, vcc, v116, v30
	v_addc_co_u32_e32 v119, vcc, 0, v117, vcc
	v_mad_i64_i32 v[120:121], s[18:19], v72, 22, v[114:115]
	v_add_co_u32_e32 v122, vcc, v120, v30
	v_addc_co_u32_e32 v123, vcc, 0, v121, vcc
	;; [unrolled: 3-line block ×3, first 2 shown]
	v_add_co_u32_e32 v130, vcc, v128, v30
	v_addc_co_u32_e32 v131, vcc, 0, v129, vcc
	global_load_dword v130, v[130:131], off offset:6
	s_nop 0
	global_load_dword v131, v[128:129], off offset:2
	global_load_dword v134, v[126:127], off offset:6
	s_nop 0
	global_load_dword v124, v[124:125], off offset:2
	s_nop 0
	;; [unrolled: 2-line block ×5, first 2 shown]
	global_load_dword v116, v[116:117], off offset:2
	v_lshlrev_b16_sdwa v119, v109, v132 dst_sel:DWORD dst_unused:UNUSED_PAD src0_sel:DWORD src1_sel:WORD_1
	v_and_b32_sdwa v117, v132, s1 dst_sel:DWORD dst_unused:UNUSED_PAD src0_sel:WORD_1 src1_sel:DWORD
	v_add_u16_e32 v119, 0xf000, v119
	v_lshrrev_b32_e32 v121, 12, v113
	v_lshrrev_b32_e32 v123, 5, v113
	v_lshlrev_b32_e32 v125, 2, v113
	v_or_b32_sdwa v117, v117, v119 dst_sel:DWORD dst_unused:UNUSED_PAD src0_sel:DWORD src1_sel:BYTE_1
	v_lshrrev_b32_e32 v119, 4, v139
	v_and_b32_e32 v121, 16, v121
	v_and_b32_e32 v123, 0x1000, v123
	v_and_b32_e32 v125, 0x100000, v125
	v_lshlrev_b32_e32 v113, 9, v113
	v_and_b32_e32 v119, 0xf0f0f0f, v119
	v_and_b32_e32 v113, 0x10000000, v113
	v_or3_b32 v121, v123, v121, v125
	v_or3_b32 v113, v121, v113, v119
	v_lshlrev_b16_e32 v121, 8, v113
	v_and_b32_e32 v119, 0x1f00, v113
	v_add_i16 v121, v121, s9 clamp
	v_or_b32_sdwa v119, v119, v121 dst_sel:DWORD dst_unused:UNUSED_PAD src0_sel:DWORD src1_sel:BYTE_1
	v_and_b32_sdwa v121, v113, s16 dst_sel:DWORD dst_unused:UNUSED_PAD src0_sel:WORD_1 src1_sel:DWORD
	v_add_i16 v121, v121, s9 clamp
	v_lshlrev_b16_sdwa v113, v109, v113 dst_sel:DWORD dst_unused:UNUSED_PAD src0_sel:DWORD src1_sel:WORD_1
	v_and_b32_e32 v121, 0xffffff00, v121
	v_add_i16 v113, v113, s9 clamp
	v_add_u16_sdwa v117, v117, s9 dst_sel:WORD_1 dst_unused:UNUSED_PAD src0_sel:DWORD src1_sel:DWORD
	v_add_u16_e32 v119, 0xf000, v119
	v_or_b32_sdwa v113, v113, v121 dst_sel:WORD_1 dst_unused:UNUSED_PAD src0_sel:BYTE_1 src1_sel:DWORD
	v_or_b32_e32 v117, v133, v117
	v_or_b32_e32 v113, v119, v113
	ds_write2_b32 v62, v117, v113 offset1:1
	v_ashrrev_i32_e32 v113, v30, v138
	v_lshlrev_b32_e32 v119, 4, v113
	v_lshlrev_b32_e32 v121, 11, v113
	v_and_b32_e32 v117, 0xf0f0f0f, v137
	v_and_b32_e32 v119, 16, v119
	;; [unrolled: 1-line block ×3, first 2 shown]
	v_or3_b32 v119, v119, v117, v121
	v_lshlrev_b32_e32 v121, 18, v113
	v_lshlrev_b32_e32 v123, 25, v113
	v_and_b32_e32 v121, 0x100000, v121
	v_and_b32_e32 v123, 0x10000000, v123
	v_or3_b32 v117, v117, v121, v123
	v_and_b32_e32 v121, 0x1f00, v119
	v_lshlrev_b16_e32 v119, 8, v119
	v_add_u16_e32 v119, 0xf000, v119
	v_or_b32_sdwa v119, v121, v119 dst_sel:DWORD dst_unused:UNUSED_PAD src0_sel:DWORD src1_sel:BYTE_1
	v_and_b32_sdwa v121, v117, s1 dst_sel:DWORD dst_unused:UNUSED_PAD src0_sel:WORD_1 src1_sel:DWORD
	v_lshlrev_b16_sdwa v117, v109, v117 dst_sel:DWORD dst_unused:UNUSED_PAD src0_sel:DWORD src1_sel:WORD_1
	v_add_u16_e32 v117, 0xf000, v117
	v_or_b32_sdwa v117, v121, v117 dst_sel:DWORD dst_unused:UNUSED_PAD src0_sel:DWORD src1_sel:BYTE_1
	v_add_u16_e32 v119, 0xf000, v119
	v_add_u16_sdwa v117, v117, s9 dst_sel:WORD_1 dst_unused:UNUSED_PAD src0_sel:DWORD src1_sel:DWORD
	v_lshrrev_b32_e32 v121, 12, v113
	v_lshrrev_b32_e32 v123, 5, v113
	v_lshlrev_b32_e32 v125, 2, v113
	v_or_b32_e32 v117, v119, v117
	v_lshrrev_b32_e32 v119, 4, v137
	v_and_b32_e32 v121, 16, v121
	v_and_b32_e32 v123, 0x1000, v123
	;; [unrolled: 1-line block ×3, first 2 shown]
	v_lshlrev_b32_e32 v113, 9, v113
	v_and_b32_e32 v119, 0xf0f0f0f, v119
	v_and_b32_e32 v113, 0x10000000, v113
	v_or3_b32 v121, v123, v121, v125
	v_or3_b32 v113, v121, v113, v119
	v_lshlrev_b16_e32 v121, 8, v113
	v_and_b32_e32 v119, 0x1f00, v113
	v_add_i16 v121, v121, s9 clamp
	v_or_b32_sdwa v119, v119, v121 dst_sel:DWORD dst_unused:UNUSED_PAD src0_sel:DWORD src1_sel:BYTE_1
	v_and_b32_sdwa v121, v113, s16 dst_sel:DWORD dst_unused:UNUSED_PAD src0_sel:WORD_1 src1_sel:DWORD
	v_add_i16 v121, v121, s9 clamp
	v_lshlrev_b16_sdwa v113, v109, v113 dst_sel:DWORD dst_unused:UNUSED_PAD src0_sel:DWORD src1_sel:WORD_1
	v_and_b32_e32 v121, 0xffffff00, v121
	v_add_i16 v113, v113, s9 clamp
	v_add_u16_e32 v119, 0xf000, v119
	v_or_b32_sdwa v113, v113, v121 dst_sel:WORD_1 dst_unused:UNUSED_PAD src0_sel:BYTE_1 src1_sel:DWORD
	v_or_b32_e32 v113, v119, v113
	ds_write2_b32 v66, v117, v113 offset1:1
	s_waitcnt vmcnt(0)
	v_ashrrev_i32_e32 v113, v30, v116
	v_lshlrev_b32_e32 v117, 4, v113
	v_lshlrev_b32_e32 v119, 11, v113
	v_and_b32_e32 v116, 0xf0f0f0f, v118
	v_and_b32_e32 v117, 16, v117
	;; [unrolled: 1-line block ×3, first 2 shown]
	v_or3_b32 v117, v117, v116, v119
	v_lshlrev_b32_e32 v119, 18, v113
	v_lshlrev_b32_e32 v121, 25, v113
	v_and_b32_e32 v119, 0x100000, v119
	v_and_b32_e32 v121, 0x10000000, v121
	v_or3_b32 v116, v116, v119, v121
	v_and_b32_e32 v119, 0x1f00, v117
	v_lshlrev_b16_e32 v117, 8, v117
	v_add_u16_e32 v117, 0xf000, v117
	v_or_b32_sdwa v117, v119, v117 dst_sel:DWORD dst_unused:UNUSED_PAD src0_sel:DWORD src1_sel:BYTE_1
	v_and_b32_sdwa v119, v116, s1 dst_sel:DWORD dst_unused:UNUSED_PAD src0_sel:WORD_1 src1_sel:DWORD
	v_lshlrev_b16_sdwa v116, v109, v116 dst_sel:DWORD dst_unused:UNUSED_PAD src0_sel:DWORD src1_sel:WORD_1
	v_add_u16_e32 v116, 0xf000, v116
	v_or_b32_sdwa v116, v119, v116 dst_sel:DWORD dst_unused:UNUSED_PAD src0_sel:DWORD src1_sel:BYTE_1
	v_add_u16_e32 v117, 0xf000, v117
	v_add_u16_sdwa v116, v116, s9 dst_sel:WORD_1 dst_unused:UNUSED_PAD src0_sel:DWORD src1_sel:DWORD
	v_or_b32_e32 v116, v117, v116
	v_lshrrev_b32_e32 v117, 4, v118
	v_lshrrev_b32_e32 v118, 12, v113
	;; [unrolled: 1-line block ×3, first 2 shown]
	v_lshlrev_b32_e32 v121, 2, v113
	v_and_b32_e32 v118, 16, v118
	v_and_b32_e32 v119, 0x1000, v119
	;; [unrolled: 1-line block ×3, first 2 shown]
	v_lshlrev_b32_e32 v113, 9, v113
	v_and_b32_e32 v117, 0xf0f0f0f, v117
	v_and_b32_e32 v113, 0x10000000, v113
	v_or3_b32 v118, v119, v118, v121
	v_or3_b32 v113, v118, v113, v117
	v_lshlrev_b16_e32 v118, 8, v113
	v_and_b32_e32 v117, 0x1f00, v113
	v_add_i16 v118, v118, s9 clamp
	v_or_b32_sdwa v117, v117, v118 dst_sel:DWORD dst_unused:UNUSED_PAD src0_sel:DWORD src1_sel:BYTE_1
	v_and_b32_sdwa v118, v113, s16 dst_sel:DWORD dst_unused:UNUSED_PAD src0_sel:WORD_1 src1_sel:DWORD
	v_add_i16 v118, v118, s9 clamp
	v_lshlrev_b16_sdwa v113, v109, v113 dst_sel:DWORD dst_unused:UNUSED_PAD src0_sel:DWORD src1_sel:WORD_1
	v_and_b32_e32 v118, 0xffffff00, v118
	v_add_i16 v113, v113, s9 clamp
	v_add_u16_e32 v117, 0xf000, v117
	v_or_b32_sdwa v113, v113, v118 dst_sel:WORD_1 dst_unused:UNUSED_PAD src0_sel:BYTE_1 src1_sel:DWORD
	v_or_b32_e32 v113, v117, v113
	ds_write2_b32 v70, v116, v113 offset1:1
	v_ashrrev_i32_e32 v113, v30, v120
	v_lshlrev_b32_e32 v117, 4, v113
	v_lshlrev_b32_e32 v118, 11, v113
	v_and_b32_e32 v116, 0xf0f0f0f, v122
	v_and_b32_e32 v117, 16, v117
	;; [unrolled: 1-line block ×3, first 2 shown]
	v_or3_b32 v117, v117, v116, v118
	v_lshlrev_b32_e32 v118, 18, v113
	v_lshlrev_b32_e32 v119, 25, v113
	v_and_b32_e32 v118, 0x100000, v118
	v_and_b32_e32 v119, 0x10000000, v119
	v_or3_b32 v116, v116, v118, v119
	v_and_b32_e32 v118, 0x1f00, v117
	v_lshlrev_b16_e32 v117, 8, v117
	v_add_u16_e32 v117, 0xf000, v117
	v_or_b32_sdwa v117, v118, v117 dst_sel:DWORD dst_unused:UNUSED_PAD src0_sel:DWORD src1_sel:BYTE_1
	v_and_b32_sdwa v118, v116, s1 dst_sel:DWORD dst_unused:UNUSED_PAD src0_sel:WORD_1 src1_sel:DWORD
	v_lshlrev_b16_sdwa v116, v109, v116 dst_sel:DWORD dst_unused:UNUSED_PAD src0_sel:DWORD src1_sel:WORD_1
	v_add_u16_e32 v116, 0xf000, v116
	v_or_b32_sdwa v116, v118, v116 dst_sel:DWORD dst_unused:UNUSED_PAD src0_sel:DWORD src1_sel:BYTE_1
	v_add_u16_e32 v117, 0xf000, v117
	v_add_u16_sdwa v116, v116, s9 dst_sel:WORD_1 dst_unused:UNUSED_PAD src0_sel:DWORD src1_sel:DWORD
	v_lshrrev_b32_e32 v118, 12, v113
	v_lshrrev_b32_e32 v119, 5, v113
	v_lshlrev_b32_e32 v120, 2, v113
	v_or_b32_e32 v116, v117, v116
	v_lshrrev_b32_e32 v117, 4, v122
	v_and_b32_e32 v118, 16, v118
	v_and_b32_e32 v119, 0x1000, v119
	;; [unrolled: 1-line block ×3, first 2 shown]
	v_lshlrev_b32_e32 v113, 9, v113
	v_and_b32_e32 v117, 0xf0f0f0f, v117
	v_and_b32_e32 v113, 0x10000000, v113
	v_or3_b32 v118, v119, v118, v120
	v_or3_b32 v113, v118, v113, v117
	v_lshlrev_b16_e32 v118, 8, v113
	v_and_b32_e32 v117, 0x1f00, v113
	v_add_i16 v118, v118, s9 clamp
	v_or_b32_sdwa v117, v117, v118 dst_sel:DWORD dst_unused:UNUSED_PAD src0_sel:DWORD src1_sel:BYTE_1
	v_and_b32_sdwa v118, v113, s16 dst_sel:DWORD dst_unused:UNUSED_PAD src0_sel:WORD_1 src1_sel:DWORD
	v_add_i16 v118, v118, s9 clamp
	v_lshlrev_b16_sdwa v113, v109, v113 dst_sel:DWORD dst_unused:UNUSED_PAD src0_sel:DWORD src1_sel:WORD_1
	v_and_b32_e32 v118, 0xffffff00, v118
	v_add_i16 v113, v113, s9 clamp
	v_add_u16_e32 v117, 0xf000, v117
	v_or_b32_sdwa v113, v113, v118 dst_sel:WORD_1 dst_unused:UNUSED_PAD src0_sel:BYTE_1 src1_sel:DWORD
	v_or_b32_e32 v113, v117, v113
	ds_write2_b32 v74, v116, v113 offset1:1
	v_ashrrev_i32_e32 v113, v30, v124
	v_lshlrev_b32_e32 v117, 4, v113
	v_lshlrev_b32_e32 v118, 11, v113
	v_and_b32_e32 v116, 0xf0f0f0f, v134
	v_and_b32_e32 v117, 16, v117
	;; [unrolled: 1-line block ×3, first 2 shown]
	v_or3_b32 v117, v117, v116, v118
	v_lshlrev_b32_e32 v118, 18, v113
	v_lshlrev_b32_e32 v119, 25, v113
	v_and_b32_e32 v118, 0x100000, v118
	v_and_b32_e32 v119, 0x10000000, v119
	v_or3_b32 v132, v116, v118, v119
	v_and_b32_e32 v116, 0x1f00, v117
	v_lshlrev_b16_e32 v117, 8, v117
	v_add_u16_e32 v117, 0xf000, v117
	v_or_b32_sdwa v116, v116, v117 dst_sel:DWORD dst_unused:UNUSED_PAD src0_sel:DWORD src1_sel:BYTE_1
	v_add_u16_e32 v133, 0xf000, v116
	v_mad_i64_i32 v[116:117], s[18:19], v84, 22, v[114:115]
	v_add_co_u32_e32 v118, vcc, v116, v30
	v_addc_co_u32_e32 v119, vcc, 0, v117, vcc
	v_mad_i64_i32 v[120:121], s[18:19], v88, 22, v[114:115]
	v_add_co_u32_e32 v122, vcc, v120, v30
	v_addc_co_u32_e32 v123, vcc, 0, v121, vcc
	;; [unrolled: 3-line block ×4, first 2 shown]
	global_load_dword v135, v[128:129], off offset:6
	global_load_dword v136, v[114:115], off offset:2
	s_nop 0
	global_load_dword v114, v[126:127], off offset:6
	global_load_dword v115, v[124:125], off offset:2
	s_nop 0
	global_load_dword v122, v[122:123], off offset:6
	s_nop 0
	;; [unrolled: 2-line block ×4, first 2 shown]
	global_load_dword v116, v[116:117], off offset:2
	v_lshlrev_b16_sdwa v119, v109, v132 dst_sel:DWORD dst_unused:UNUSED_PAD src0_sel:DWORD src1_sel:WORD_1
	v_and_b32_sdwa v117, v132, s1 dst_sel:DWORD dst_unused:UNUSED_PAD src0_sel:WORD_1 src1_sel:DWORD
	v_add_u16_e32 v119, 0xf000, v119
	v_lshrrev_b32_e32 v121, 12, v113
	v_lshrrev_b32_e32 v123, 5, v113
	v_lshlrev_b32_e32 v124, 2, v113
	v_or_b32_sdwa v117, v117, v119 dst_sel:DWORD dst_unused:UNUSED_PAD src0_sel:DWORD src1_sel:BYTE_1
	v_lshrrev_b32_e32 v119, 4, v134
	v_and_b32_e32 v121, 16, v121
	v_and_b32_e32 v123, 0x1000, v123
	;; [unrolled: 1-line block ×3, first 2 shown]
	v_lshlrev_b32_e32 v113, 9, v113
	v_and_b32_e32 v119, 0xf0f0f0f, v119
	v_and_b32_e32 v113, 0x10000000, v113
	v_or3_b32 v121, v123, v121, v124
	v_or3_b32 v113, v121, v113, v119
	v_lshlrev_b16_e32 v121, 8, v113
	v_and_b32_e32 v119, 0x1f00, v113
	v_add_i16 v121, v121, s9 clamp
	v_or_b32_sdwa v119, v119, v121 dst_sel:DWORD dst_unused:UNUSED_PAD src0_sel:DWORD src1_sel:BYTE_1
	v_and_b32_sdwa v121, v113, s16 dst_sel:DWORD dst_unused:UNUSED_PAD src0_sel:WORD_1 src1_sel:DWORD
	v_add_i16 v121, v121, s9 clamp
	v_lshlrev_b16_sdwa v113, v109, v113 dst_sel:DWORD dst_unused:UNUSED_PAD src0_sel:DWORD src1_sel:WORD_1
	v_and_b32_e32 v121, 0xffffff00, v121
	v_add_i16 v113, v113, s9 clamp
	v_add_u16_sdwa v117, v117, s9 dst_sel:WORD_1 dst_unused:UNUSED_PAD src0_sel:DWORD src1_sel:DWORD
	v_add_u16_e32 v119, 0xf000, v119
	v_or_b32_sdwa v113, v113, v121 dst_sel:WORD_1 dst_unused:UNUSED_PAD src0_sel:BYTE_1 src1_sel:DWORD
	v_or_b32_e32 v117, v133, v117
	v_or_b32_e32 v113, v119, v113
	ds_write2_b32 v78, v117, v113 offset1:1
	v_ashrrev_i32_e32 v113, v30, v131
	v_lshlrev_b32_e32 v119, 4, v113
	v_lshlrev_b32_e32 v121, 11, v113
	v_and_b32_e32 v117, 0xf0f0f0f, v130
	v_and_b32_e32 v119, 16, v119
	;; [unrolled: 1-line block ×3, first 2 shown]
	v_or3_b32 v119, v119, v117, v121
	v_lshlrev_b32_e32 v121, 18, v113
	v_lshlrev_b32_e32 v123, 25, v113
	v_and_b32_e32 v121, 0x100000, v121
	v_and_b32_e32 v123, 0x10000000, v123
	v_or3_b32 v117, v117, v121, v123
	v_and_b32_e32 v121, 0x1f00, v119
	v_lshlrev_b16_e32 v119, 8, v119
	v_add_u16_e32 v119, 0xf000, v119
	v_or_b32_sdwa v119, v121, v119 dst_sel:DWORD dst_unused:UNUSED_PAD src0_sel:DWORD src1_sel:BYTE_1
	v_and_b32_sdwa v121, v117, s1 dst_sel:DWORD dst_unused:UNUSED_PAD src0_sel:WORD_1 src1_sel:DWORD
	v_lshlrev_b16_sdwa v117, v109, v117 dst_sel:DWORD dst_unused:UNUSED_PAD src0_sel:DWORD src1_sel:WORD_1
	v_add_u16_e32 v117, 0xf000, v117
	v_or_b32_sdwa v117, v121, v117 dst_sel:DWORD dst_unused:UNUSED_PAD src0_sel:DWORD src1_sel:BYTE_1
	v_add_u16_e32 v119, 0xf000, v119
	v_add_u16_sdwa v117, v117, s9 dst_sel:WORD_1 dst_unused:UNUSED_PAD src0_sel:DWORD src1_sel:DWORD
	v_lshrrev_b32_e32 v121, 12, v113
	v_lshrrev_b32_e32 v123, 5, v113
	v_lshlrev_b32_e32 v124, 2, v113
	v_or_b32_e32 v117, v119, v117
	v_lshrrev_b32_e32 v119, 4, v130
	v_and_b32_e32 v121, 16, v121
	v_and_b32_e32 v123, 0x1000, v123
	;; [unrolled: 1-line block ×3, first 2 shown]
	v_lshlrev_b32_e32 v113, 9, v113
	v_and_b32_e32 v119, 0xf0f0f0f, v119
	v_and_b32_e32 v113, 0x10000000, v113
	v_or3_b32 v121, v123, v121, v124
	v_or3_b32 v113, v121, v113, v119
	v_lshlrev_b16_e32 v121, 8, v113
	v_and_b32_e32 v119, 0x1f00, v113
	v_add_i16 v121, v121, s9 clamp
	v_or_b32_sdwa v119, v119, v121 dst_sel:DWORD dst_unused:UNUSED_PAD src0_sel:DWORD src1_sel:BYTE_1
	v_and_b32_sdwa v121, v113, s16 dst_sel:DWORD dst_unused:UNUSED_PAD src0_sel:WORD_1 src1_sel:DWORD
	v_add_i16 v121, v121, s9 clamp
	v_lshlrev_b16_sdwa v113, v109, v113 dst_sel:DWORD dst_unused:UNUSED_PAD src0_sel:DWORD src1_sel:WORD_1
	v_and_b32_e32 v121, 0xffffff00, v121
	v_add_i16 v113, v113, s9 clamp
	v_add_u16_e32 v119, 0xf000, v119
	v_or_b32_sdwa v113, v113, v121 dst_sel:WORD_1 dst_unused:UNUSED_PAD src0_sel:BYTE_1 src1_sel:DWORD
	v_or_b32_e32 v113, v119, v113
	ds_write2_b32 v82, v117, v113 offset1:1
	s_waitcnt vmcnt(0)
	v_ashrrev_i32_e32 v113, v30, v116
	v_lshlrev_b32_e32 v117, 4, v113
	v_lshlrev_b32_e32 v119, 11, v113
	v_and_b32_e32 v116, 0xf0f0f0f, v118
	v_and_b32_e32 v117, 16, v117
	;; [unrolled: 1-line block ×3, first 2 shown]
	v_or3_b32 v117, v117, v116, v119
	v_lshlrev_b32_e32 v119, 18, v113
	v_lshlrev_b32_e32 v121, 25, v113
	v_and_b32_e32 v119, 0x100000, v119
	v_and_b32_e32 v121, 0x10000000, v121
	v_or3_b32 v116, v116, v119, v121
	v_and_b32_e32 v119, 0x1f00, v117
	v_lshlrev_b16_e32 v117, 8, v117
	v_add_u16_e32 v117, 0xf000, v117
	v_or_b32_sdwa v117, v119, v117 dst_sel:DWORD dst_unused:UNUSED_PAD src0_sel:DWORD src1_sel:BYTE_1
	v_and_b32_sdwa v119, v116, s1 dst_sel:DWORD dst_unused:UNUSED_PAD src0_sel:WORD_1 src1_sel:DWORD
	v_lshlrev_b16_sdwa v116, v109, v116 dst_sel:DWORD dst_unused:UNUSED_PAD src0_sel:DWORD src1_sel:WORD_1
	v_add_u16_e32 v116, 0xf000, v116
	v_or_b32_sdwa v116, v119, v116 dst_sel:DWORD dst_unused:UNUSED_PAD src0_sel:DWORD src1_sel:BYTE_1
	v_add_u16_e32 v117, 0xf000, v117
	v_add_u16_sdwa v116, v116, s9 dst_sel:WORD_1 dst_unused:UNUSED_PAD src0_sel:DWORD src1_sel:DWORD
	v_or_b32_e32 v116, v117, v116
	v_lshrrev_b32_e32 v117, 4, v118
	v_lshrrev_b32_e32 v118, 12, v113
	;; [unrolled: 1-line block ×3, first 2 shown]
	v_lshlrev_b32_e32 v121, 2, v113
	v_and_b32_e32 v118, 16, v118
	v_and_b32_e32 v119, 0x1000, v119
	;; [unrolled: 1-line block ×3, first 2 shown]
	v_lshlrev_b32_e32 v113, 9, v113
	v_and_b32_e32 v117, 0xf0f0f0f, v117
	v_and_b32_e32 v113, 0x10000000, v113
	v_or3_b32 v118, v119, v118, v121
	v_or3_b32 v113, v118, v113, v117
	v_lshlrev_b16_e32 v118, 8, v113
	v_and_b32_e32 v117, 0x1f00, v113
	v_add_i16 v118, v118, s9 clamp
	v_or_b32_sdwa v117, v117, v118 dst_sel:DWORD dst_unused:UNUSED_PAD src0_sel:DWORD src1_sel:BYTE_1
	v_and_b32_sdwa v118, v113, s16 dst_sel:DWORD dst_unused:UNUSED_PAD src0_sel:WORD_1 src1_sel:DWORD
	v_add_i16 v118, v118, s9 clamp
	v_lshlrev_b16_sdwa v113, v109, v113 dst_sel:DWORD dst_unused:UNUSED_PAD src0_sel:DWORD src1_sel:WORD_1
	v_and_b32_e32 v118, 0xffffff00, v118
	v_add_i16 v113, v113, s9 clamp
	v_add_u16_e32 v117, 0xf000, v117
	v_or_b32_sdwa v113, v113, v118 dst_sel:WORD_1 dst_unused:UNUSED_PAD src0_sel:BYTE_1 src1_sel:DWORD
	v_or_b32_e32 v113, v117, v113
	ds_write2_b32 v86, v116, v113 offset1:1
	v_ashrrev_i32_e32 v113, v30, v120
	v_lshlrev_b32_e32 v117, 4, v113
	v_lshlrev_b32_e32 v118, 11, v113
	v_and_b32_e32 v116, 0xf0f0f0f, v122
	v_and_b32_e32 v117, 16, v117
	;; [unrolled: 1-line block ×3, first 2 shown]
	v_or3_b32 v117, v117, v116, v118
	v_lshlrev_b32_e32 v118, 18, v113
	v_lshlrev_b32_e32 v119, 25, v113
	v_and_b32_e32 v118, 0x100000, v118
	v_and_b32_e32 v119, 0x10000000, v119
	v_or3_b32 v116, v116, v118, v119
	v_and_b32_e32 v118, 0x1f00, v117
	v_lshlrev_b16_e32 v117, 8, v117
	v_add_u16_e32 v117, 0xf000, v117
	v_or_b32_sdwa v117, v118, v117 dst_sel:DWORD dst_unused:UNUSED_PAD src0_sel:DWORD src1_sel:BYTE_1
	v_and_b32_sdwa v118, v116, s1 dst_sel:DWORD dst_unused:UNUSED_PAD src0_sel:WORD_1 src1_sel:DWORD
	v_lshlrev_b16_sdwa v116, v109, v116 dst_sel:DWORD dst_unused:UNUSED_PAD src0_sel:DWORD src1_sel:WORD_1
	v_add_u16_e32 v116, 0xf000, v116
	v_or_b32_sdwa v116, v118, v116 dst_sel:DWORD dst_unused:UNUSED_PAD src0_sel:DWORD src1_sel:BYTE_1
	v_add_u16_e32 v117, 0xf000, v117
	v_add_u16_sdwa v116, v116, s9 dst_sel:WORD_1 dst_unused:UNUSED_PAD src0_sel:DWORD src1_sel:DWORD
	v_lshrrev_b32_e32 v118, 12, v113
	v_lshrrev_b32_e32 v119, 5, v113
	v_lshlrev_b32_e32 v120, 2, v113
	v_or_b32_e32 v116, v117, v116
	v_lshrrev_b32_e32 v117, 4, v122
	v_and_b32_e32 v118, 16, v118
	v_and_b32_e32 v119, 0x1000, v119
	;; [unrolled: 1-line block ×3, first 2 shown]
	v_lshlrev_b32_e32 v113, 9, v113
	v_and_b32_e32 v117, 0xf0f0f0f, v117
	v_and_b32_e32 v113, 0x10000000, v113
	v_or3_b32 v118, v119, v118, v120
	v_or3_b32 v113, v118, v113, v117
	v_lshlrev_b16_e32 v118, 8, v113
	v_and_b32_e32 v117, 0x1f00, v113
	v_add_i16 v118, v118, s9 clamp
	v_or_b32_sdwa v117, v117, v118 dst_sel:DWORD dst_unused:UNUSED_PAD src0_sel:DWORD src1_sel:BYTE_1
	v_and_b32_sdwa v118, v113, s16 dst_sel:DWORD dst_unused:UNUSED_PAD src0_sel:WORD_1 src1_sel:DWORD
	v_add_i16 v118, v118, s9 clamp
	v_lshlrev_b16_sdwa v113, v109, v113 dst_sel:DWORD dst_unused:UNUSED_PAD src0_sel:DWORD src1_sel:WORD_1
	v_and_b32_e32 v118, 0xffffff00, v118
	v_add_i16 v113, v113, s9 clamp
	v_add_u16_e32 v117, 0xf000, v117
	v_or_b32_sdwa v113, v113, v118 dst_sel:WORD_1 dst_unused:UNUSED_PAD src0_sel:BYTE_1 src1_sel:DWORD
	v_or_b32_e32 v113, v117, v113
	ds_write2_b32 v90, v116, v113 offset1:1
	v_ashrrev_i32_e32 v113, v30, v115
	v_lshlrev_b32_e32 v116, 4, v113
	v_lshlrev_b32_e32 v117, 11, v113
	v_and_b32_e32 v115, 0xf0f0f0f, v114
	v_and_b32_e32 v116, 16, v116
	;; [unrolled: 1-line block ×3, first 2 shown]
	v_or3_b32 v116, v116, v115, v117
	v_lshlrev_b32_e32 v117, 18, v113
	v_lshlrev_b32_e32 v118, 25, v113
	v_and_b32_e32 v117, 0x100000, v117
	v_and_b32_e32 v118, 0x10000000, v118
	v_or3_b32 v115, v115, v117, v118
	v_and_b32_e32 v117, 0x1f00, v116
	v_lshlrev_b16_e32 v116, 8, v116
	v_add_u16_e32 v116, 0xf000, v116
	v_or_b32_sdwa v116, v117, v116 dst_sel:DWORD dst_unused:UNUSED_PAD src0_sel:DWORD src1_sel:BYTE_1
	v_and_b32_sdwa v117, v115, s1 dst_sel:DWORD dst_unused:UNUSED_PAD src0_sel:WORD_1 src1_sel:DWORD
	v_lshlrev_b16_sdwa v115, v109, v115 dst_sel:DWORD dst_unused:UNUSED_PAD src0_sel:DWORD src1_sel:WORD_1
	v_lshrrev_b32_e32 v114, 4, v114
	v_add_u16_e32 v115, 0xf000, v115
	v_and_b32_e32 v133, 0xf0f0f0f, v114
	v_lshrrev_b32_e32 v114, 12, v113
	v_or_b32_sdwa v115, v117, v115 dst_sel:DWORD dst_unused:UNUSED_PAD src0_sel:DWORD src1_sel:BYTE_1
	v_and_b32_e32 v134, 16, v114
	v_lshrrev_b32_e32 v114, 5, v113
	v_add_u16_e32 v116, 0xf000, v116
	v_add_u16_sdwa v115, v115, s9 dst_sel:WORD_1 dst_unused:UNUSED_PAD src0_sel:DWORD src1_sel:DWORD
	v_and_b32_e32 v137, 0x1000, v114
	v_lshlrev_b32_e32 v114, 2, v113
	v_or_b32_e32 v132, v116, v115
	v_and_b32_e32 v138, 0x100000, v114
	v_mad_u64_u32 v[114:115], s[4:5], v100, 22, s[4:5]
	v_mad_i64_i32 v[116:117], s[4:5], v102, 22, v[114:115]
	v_mad_i64_i32 v[118:119], s[4:5], v104, 22, v[114:115]
	;; [unrolled: 1-line block ×4, first 2 shown]
	v_add_u32_e32 v128, s0, v35
	v_lshlrev_b32_e32 v113, 9, v113
	global_load_ushort v140, v[116:117], off
	global_load_ushort v141, v[118:119], off
	;; [unrolled: 1-line block ×4, first 2 shown]
	v_add_u32_e32 v114, v128, v39
	v_add_u32_e32 v116, v128, v45
	;; [unrolled: 1-line block ×5, first 2 shown]
	v_and_b32_e32 v139, 0x10000000, v113
	v_add_u32_e32 v113, s0, v112
	v_mad_i64_i32 v[114:115], s[4:5], v114, 36, v[110:111]
	v_mad_i64_i32 v[116:117], s[4:5], v116, 36, v[110:111]
	;; [unrolled: 1-line block ×5, first 2 shown]
	v_add_u32_e32 v124, v128, v63
	v_add_u32_e32 v126, v128, v67
	v_add_u32_e32 v128, v128, v71
	v_mad_i64_i32 v[124:125], s[4:5], v124, 36, v[110:111]
	v_mad_i64_i32 v[126:127], s[4:5], v126, 36, v[110:111]
	;; [unrolled: 1-line block ×3, first 2 shown]
	v_mad_u64_u32 v[130:131], s[4:5], v113, 36, s[2:3]
	global_load_dword v114, v[114:115], off offset:4
	s_nop 0
	global_load_dword v115, v[116:117], off offset:4
	s_nop 0
	global_load_dword v116, v[118:119], off offset:4
	global_load_dword v117, v[120:121], off offset:4
	s_nop 0
	global_load_dword v118, v[122:123], off offset:4
	global_load_dword v119, v[130:131], off
	global_load_dword v120, v[124:125], off offset:4
	global_load_dword v121, v[126:127], off offset:4
	s_nop 0
	global_load_dword v122, v[128:129], off offset:4
	v_or3_b32 v123, v137, v134, v138
	v_or3_b32 v123, v123, v139, v133
	v_lshlrev_b16_e32 v125, 8, v123
	v_and_b32_e32 v124, 0x1f00, v123
	v_add_i16 v125, v125, s9 clamp
	v_or_b32_sdwa v124, v124, v125 dst_sel:DWORD dst_unused:UNUSED_PAD src0_sel:DWORD src1_sel:BYTE_1
	v_and_b32_sdwa v125, v123, s16 dst_sel:DWORD dst_unused:UNUSED_PAD src0_sel:WORD_1 src1_sel:DWORD
	v_add_i16 v125, v125, s9 clamp
	v_lshlrev_b16_sdwa v123, v109, v123 dst_sel:DWORD dst_unused:UNUSED_PAD src0_sel:DWORD src1_sel:WORD_1
	v_and_b32_e32 v125, 0xffffff00, v125
	v_add_i16 v123, v123, s9 clamp
	v_add_u16_e32 v124, 0xf000, v124
	v_or_b32_sdwa v123, v123, v125 dst_sel:WORD_1 dst_unused:UNUSED_PAD src0_sel:BYTE_1 src1_sel:DWORD
	v_or_b32_e32 v123, v124, v123
	ds_write2_b32 v94, v132, v123 offset1:1
	v_ashrrev_i32_e32 v123, v30, v136
	v_lshlrev_b32_e32 v125, 4, v123
	v_lshlrev_b32_e32 v126, 11, v123
	v_and_b32_e32 v124, 0xf0f0f0f, v135
	v_and_b32_e32 v125, 16, v125
	;; [unrolled: 1-line block ×3, first 2 shown]
	v_or3_b32 v125, v125, v124, v126
	v_lshlrev_b32_e32 v126, 18, v123
	v_lshlrev_b32_e32 v127, 25, v123
	v_and_b32_e32 v126, 0x100000, v126
	v_and_b32_e32 v127, 0x10000000, v127
	v_or3_b32 v124, v124, v126, v127
	v_and_b32_e32 v126, 0x1f00, v125
	v_lshlrev_b16_e32 v125, 8, v125
	v_add_u16_e32 v125, 0xf000, v125
	v_or_b32_sdwa v125, v126, v125 dst_sel:DWORD dst_unused:UNUSED_PAD src0_sel:DWORD src1_sel:BYTE_1
	v_and_b32_sdwa v126, v124, s1 dst_sel:DWORD dst_unused:UNUSED_PAD src0_sel:WORD_1 src1_sel:DWORD
	v_lshlrev_b16_sdwa v124, v109, v124 dst_sel:DWORD dst_unused:UNUSED_PAD src0_sel:DWORD src1_sel:WORD_1
	v_add_u16_e32 v124, 0xf000, v124
	v_or_b32_sdwa v124, v126, v124 dst_sel:DWORD dst_unused:UNUSED_PAD src0_sel:DWORD src1_sel:BYTE_1
	v_add_u16_e32 v125, 0xf000, v125
	v_add_u16_sdwa v124, v124, s9 dst_sel:WORD_1 dst_unused:UNUSED_PAD src0_sel:DWORD src1_sel:DWORD
	v_lshrrev_b32_e32 v126, 12, v123
	v_lshrrev_b32_e32 v127, 5, v123
	v_lshlrev_b32_e32 v128, 2, v123
	v_or_b32_e32 v124, v125, v124
	v_lshrrev_b32_e32 v125, 4, v135
	v_and_b32_e32 v126, 16, v126
	v_and_b32_e32 v127, 0x1000, v127
	;; [unrolled: 1-line block ×3, first 2 shown]
	v_lshlrev_b32_e32 v123, 9, v123
	v_and_b32_e32 v125, 0xf0f0f0f, v125
	v_and_b32_e32 v123, 0x10000000, v123
	v_or3_b32 v126, v127, v126, v128
	v_or3_b32 v123, v126, v123, v125
	v_lshlrev_b16_e32 v126, 8, v123
	v_and_b32_e32 v125, 0x1f00, v123
	v_add_i16 v126, v126, s9 clamp
	v_or_b32_sdwa v125, v125, v126 dst_sel:DWORD dst_unused:UNUSED_PAD src0_sel:DWORD src1_sel:BYTE_1
	v_and_b32_sdwa v126, v123, s16 dst_sel:DWORD dst_unused:UNUSED_PAD src0_sel:WORD_1 src1_sel:DWORD
	v_add_i16 v126, v126, s9 clamp
	v_lshlrev_b16_sdwa v123, v109, v123 dst_sel:DWORD dst_unused:UNUSED_PAD src0_sel:DWORD src1_sel:WORD_1
	v_and_b32_e32 v126, 0xffffff00, v126
	v_add_i16 v123, v123, s9 clamp
	v_add_u16_e32 v125, 0xf000, v125
	v_or_b32_sdwa v123, v123, v126 dst_sel:WORD_1 dst_unused:UNUSED_PAD src0_sel:BYTE_1 src1_sel:DWORD
	v_or_b32_e32 v123, v125, v123
	ds_write2_b32 v98, v124, v123 offset1:1
	s_waitcnt vmcnt(12)
	v_cvt_f32_f16_e32 v123, v140
	s_waitcnt vmcnt(11)
	v_cvt_f32_f16_e32 v124, v141
	;; [unrolled: 2-line block ×4, first 2 shown]
	ds_write_b32 v101, v123
	ds_write_b32 v103, v124
	;; [unrolled: 1-line block ×4, first 2 shown]
	s_waitcnt vmcnt(8)
	ds_write_b32 v41, v114
	s_waitcnt vmcnt(7)
	ds_write_b32 v47, v115
	;; [unrolled: 2-line block ×5, first 2 shown]
	s_waitcnt vmcnt(3)
	v_cvt_f32_f16_e32 v114, v119
	v_mov_b32_e32 v115, v89
	v_mov_b32_e32 v117, v87
	v_mov_b32_e32 v119, v75
	s_mov_b32 s4, -4
	v_mov_b32_e32 v123, v85
	s_waitcnt vmcnt(2)
	ds_write_b32 v65, v120
	s_waitcnt vmcnt(1)
	ds_write_b32 v69, v121
	;; [unrolled: 2-line block ×3, first 2 shown]
	ds_write_b32 v37, v114
	s_waitcnt lgkmcnt(0)
	s_barrier
.LBB162_7:                              ;   Parent Loop BB162_6 Depth=1
                                        ; =>  This Inner Loop Header: Depth=2
	v_add_u32_e32 v116, 0x2080, v119
	ds_read_b128 v[160:163], v117
	ds_read_b128 v[164:167], v117 offset:16
	ds_read2_b32 v[154:155], v115 offset1:32
	ds_read_b32 v118, v123
	ds_read2_b32 v[126:127], v119 offset1:1
	ds_read2_b32 v[134:135], v119 offset0:2 offset1:3
	ds_read2_b32 v[140:141], v119 offset0:4 offset1:5
	;; [unrolled: 1-line block ×3, first 2 shown]
	ds_read_b32 v114, v156
	ds_read2_b32 v[120:121], v116 offset1:1
	v_add_u32_e32 v116, 0x2088, v119
	ds_read2_b32 v[128:129], v116 offset1:1
	v_add_u32_e32 v116, 0x2090, v119
	;; [unrolled: 2-line block ×3, first 2 shown]
	v_add_u32_e32 v122, 0x4100, v119
	ds_read2_b32 v[146:147], v116 offset1:1
	ds_read_b32 v116, v157
	ds_read2_b32 v[124:125], v122 offset1:1
	v_add_u32_e32 v122, 0x4108, v119
	ds_read2_b32 v[132:133], v122 offset1:1
	v_add_u32_e32 v122, 0x4110, v119
	;; [unrolled: 2-line block ×3, first 2 shown]
	v_add_u32_e32 v130, 0x6180, v119
	ds_read2_b32 v[150:151], v122 offset1:1
	ds_read_b32 v122, v158
	ds_read2_b32 v[130:131], v130 offset1:1
	v_add_u32_e32 v138, 0x6188, v119
	ds_read2_b32 v[138:139], v138 offset1:1
	v_add_u32_e32 v148, 0x6190, v119
	ds_read2_b32 v[148:149], v148 offset1:1
	v_mov_b32_e32 v159, 0
	v_mov_b32_e32 v172, 0
	;; [unrolled: 1-line block ×4, first 2 shown]
	s_waitcnt lgkmcnt(14)
	v_dot4c_i32_i8_e32 v159, v126, v160
	s_waitcnt lgkmcnt(12)
	v_dot4c_i32_i8_e32 v172, v120, v160
	s_waitcnt lgkmcnt(7)
	v_dot4c_i32_i8_e32 v173, v124, v160
	s_waitcnt lgkmcnt(2)
	v_dot4c_i32_i8_e32 v174, v130, v160
	v_add_u32_e32 v152, 0x6198, v119
	ds_read2_b32 v[152:153], v152 offset1:1
	v_dot4c_i32_i8_e32 v159, v127, v164
	v_dot4c_i32_i8_e32 v172, v121, v164
	v_dot4c_i32_i8_e32 v173, v125, v164
	v_dot4c_i32_i8_e32 v174, v131, v164
	v_dot4c_i32_i8_e32 v159, v134, v161
	v_dot4c_i32_i8_e32 v172, v128, v161
	v_dot4c_i32_i8_e32 v173, v132, v161
	s_waitcnt lgkmcnt(2)
	v_dot4c_i32_i8_e32 v174, v138, v161
	v_dot4c_i32_i8_e32 v159, v135, v165
	v_dot4c_i32_i8_e32 v172, v129, v165
	v_dot4c_i32_i8_e32 v173, v133, v165
	v_dot4c_i32_i8_e32 v174, v139, v165
	v_dot4c_i32_i8_e32 v159, v140, v162
	v_dot4c_i32_i8_e32 v172, v136, v162
	v_dot4c_i32_i8_e32 v173, v142, v162
	s_waitcnt lgkmcnt(1)
	v_dot4c_i32_i8_e32 v174, v148, v162
	;; [unrolled: 9-line block ×3, first 2 shown]
	v_dot4c_i32_i8_e32 v159, v145, v167
	v_dot4c_i32_i8_e32 v172, v147, v167
	;; [unrolled: 1-line block ×4, first 2 shown]
	ds_read_b128 v[160:163], v117 offset:1024
	ds_read_b128 v[164:167], v117 offset:1040
	v_mov_b32_e32 v170, 0
	v_pk_mul_f32 v[168:169], v[118:119], v[154:155] op_sel_hi:[0,1]
	s_add_i32 s4, s4, 4
	s_waitcnt lgkmcnt(1)
	v_dot4c_i32_i8_e32 v170, v126, v160
	s_waitcnt lgkmcnt(0)
	v_dot4c_i32_i8_e32 v170, v127, v164
	v_dot4c_i32_i8_e32 v170, v134, v161
	;; [unrolled: 1-line block ×7, first 2 shown]
	v_add_u32_e32 v158, 4, v158
	v_add_u32_e32 v157, 4, v157
	;; [unrolled: 1-line block ×3, first 2 shown]
	v_cvt_f32_i32_e32 v171, v170
	v_cvt_f32_i32_e32 v170, v159
	v_mov_b32_e32 v159, 0
	v_dot4c_i32_i8_e32 v159, v120, v160
	v_dot4c_i32_i8_e32 v159, v121, v164
	;; [unrolled: 1-line block ×8, first 2 shown]
	v_pk_fma_f32 v[60:61], v[168:169], v[170:171], v[60:61]
	v_cvt_f32_i32_e32 v170, v172
	v_pk_mul_f32 v[168:169], v[114:115], v[154:155] op_sel_hi:[0,1]
	v_cvt_f32_i32_e32 v171, v159
	v_mov_b32_e32 v159, 0
	v_dot4c_i32_i8_e32 v159, v124, v160
	v_dot4c_i32_i8_e32 v159, v125, v164
	v_dot4c_i32_i8_e32 v159, v132, v161
	v_dot4c_i32_i8_e32 v159, v133, v165
	v_dot4c_i32_i8_e32 v159, v142, v162
	v_dot4c_i32_i8_e32 v159, v143, v166
	v_dot4c_i32_i8_e32 v159, v150, v163
	v_dot4c_i32_i8_e32 v159, v151, v167
	v_pk_fma_f32 v[42:43], v[168:169], v[170:171], v[42:43]
	v_pk_mul_f32 v[168:169], v[116:117], v[154:155] op_sel_hi:[0,1]
	v_pk_mul_f32 v[154:155], v[122:123], v[154:155] op_sel_hi:[0,1]
	v_cvt_f32_i32_e32 v171, v159
	v_mov_b32_e32 v159, 0
	v_dot4c_i32_i8_e32 v159, v130, v160
	v_dot4c_i32_i8_e32 v159, v131, v164
	;; [unrolled: 1-line block ×8, first 2 shown]
	v_cvt_f32_i32_e32 v160, v174
	v_cvt_f32_i32_e32 v170, v173
	v_mov_b32_e32 v172, 0
	v_cvt_f32_i32_e32 v161, v159
	v_mov_b32_e32 v159, 0
	v_mov_b32_e32 v173, 0
	;; [unrolled: 1-line block ×3, first 2 shown]
	v_pk_fma_f32 v[26:27], v[154:155], v[160:161], v[26:27]
	ds_read_b128 v[160:163], v117 offset:2048
	ds_read_b128 v[164:167], v117 offset:2064
	ds_read2_b32 v[154:155], v115 offset0:64 offset1:96
	v_pk_fma_f32 v[28:29], v[168:169], v[170:171], v[28:29]
	v_mov_b32_e32 v170, 0
	s_waitcnt lgkmcnt(2)
	v_dot4c_i32_i8_e32 v159, v126, v160
	v_dot4c_i32_i8_e32 v172, v120, v160
	;; [unrolled: 1-line block ×4, first 2 shown]
	s_waitcnt lgkmcnt(1)
	v_dot4c_i32_i8_e32 v159, v127, v164
	v_dot4c_i32_i8_e32 v172, v121, v164
	v_dot4c_i32_i8_e32 v173, v125, v164
	v_dot4c_i32_i8_e32 v174, v131, v164
	v_dot4c_i32_i8_e32 v159, v134, v161
	v_dot4c_i32_i8_e32 v172, v128, v161
	v_dot4c_i32_i8_e32 v173, v132, v161
	v_dot4c_i32_i8_e32 v174, v138, v161
	v_dot4c_i32_i8_e32 v159, v135, v165
	v_dot4c_i32_i8_e32 v172, v129, v165
	v_dot4c_i32_i8_e32 v173, v133, v165
	v_dot4c_i32_i8_e32 v174, v139, v165
	v_dot4c_i32_i8_e32 v159, v140, v162
	v_dot4c_i32_i8_e32 v172, v136, v162
	v_dot4c_i32_i8_e32 v173, v142, v162
	v_dot4c_i32_i8_e32 v174, v148, v162
	v_dot4c_i32_i8_e32 v159, v141, v166
	v_dot4c_i32_i8_e32 v172, v137, v166
	v_dot4c_i32_i8_e32 v173, v143, v166
	v_dot4c_i32_i8_e32 v174, v149, v166
	v_dot4c_i32_i8_e32 v159, v144, v163
	v_dot4c_i32_i8_e32 v172, v146, v163
	v_dot4c_i32_i8_e32 v173, v150, v163
	v_dot4c_i32_i8_e32 v174, v152, v163
	v_dot4c_i32_i8_e32 v159, v145, v167
	v_dot4c_i32_i8_e32 v172, v147, v167
	v_dot4c_i32_i8_e32 v173, v151, v167
	v_dot4c_i32_i8_e32 v174, v153, v167
	ds_read_b128 v[160:163], v117 offset:3072
	ds_read_b128 v[164:167], v117 offset:3088
	s_waitcnt lgkmcnt(2)
	v_pk_mul_f32 v[168:169], v[118:119], v[154:155] op_sel_hi:[0,1]
	s_cmp_lt_u32 s4, 12
	s_waitcnt lgkmcnt(1)
	v_dot4c_i32_i8_e32 v170, v126, v160
	s_waitcnt lgkmcnt(0)
	v_dot4c_i32_i8_e32 v170, v127, v164
	v_dot4c_i32_i8_e32 v170, v134, v161
	v_dot4c_i32_i8_e32 v170, v135, v165
	v_dot4c_i32_i8_e32 v170, v140, v162
	v_dot4c_i32_i8_e32 v170, v141, v166
	v_dot4c_i32_i8_e32 v170, v144, v163
	v_dot4c_i32_i8_e32 v170, v145, v167
	s_nop 2
	v_cvt_f32_i32_e32 v171, v170
	v_cvt_f32_i32_e32 v170, v159
	v_mov_b32_e32 v159, 0
	v_dot4c_i32_i8_e32 v159, v120, v160
	v_dot4c_i32_i8_e32 v159, v121, v164
	;; [unrolled: 1-line block ×8, first 2 shown]
	v_pk_fma_f32 v[24:25], v[168:169], v[170:171], v[24:25]
	v_cvt_f32_i32_e32 v170, v172
	v_pk_mul_f32 v[168:169], v[114:115], v[154:155] op_sel_hi:[0,1]
	v_cvt_f32_i32_e32 v171, v159
	v_mov_b32_e32 v159, 0
	v_dot4c_i32_i8_e32 v159, v124, v160
	v_dot4c_i32_i8_e32 v159, v125, v164
	;; [unrolled: 1-line block ×8, first 2 shown]
	v_pk_fma_f32 v[22:23], v[168:169], v[170:171], v[22:23]
	v_pk_mul_f32 v[168:169], v[116:117], v[154:155] op_sel_hi:[0,1]
	v_pk_mul_f32 v[154:155], v[122:123], v[154:155] op_sel_hi:[0,1]
	v_cvt_f32_i32_e32 v171, v159
	v_mov_b32_e32 v159, 0
	v_dot4c_i32_i8_e32 v159, v130, v160
	v_dot4c_i32_i8_e32 v159, v131, v164
	;; [unrolled: 1-line block ×8, first 2 shown]
	v_cvt_f32_i32_e32 v160, v174
	v_cvt_f32_i32_e32 v170, v173
	v_mov_b32_e32 v172, 0
	v_cvt_f32_i32_e32 v161, v159
	v_mov_b32_e32 v159, 0
	v_mov_b32_e32 v173, 0
	v_mov_b32_e32 v174, 0
	v_pk_fma_f32 v[18:19], v[154:155], v[160:161], v[18:19]
	ds_read_b128 v[160:163], v117 offset:4096
	ds_read_b128 v[164:167], v117 offset:4112
	ds_read2_b32 v[154:155], v115 offset0:128 offset1:160
	v_pk_fma_f32 v[20:21], v[168:169], v[170:171], v[20:21]
	v_mov_b32_e32 v170, 0
	s_waitcnt lgkmcnt(2)
	v_dot4c_i32_i8_e32 v159, v126, v160
	v_dot4c_i32_i8_e32 v172, v120, v160
	;; [unrolled: 1-line block ×4, first 2 shown]
	s_waitcnt lgkmcnt(1)
	v_dot4c_i32_i8_e32 v159, v127, v164
	v_dot4c_i32_i8_e32 v172, v121, v164
	;; [unrolled: 1-line block ×28, first 2 shown]
	ds_read_b128 v[160:163], v117 offset:5120
	ds_read_b128 v[164:167], v117 offset:5136
	s_waitcnt lgkmcnt(2)
	v_pk_mul_f32 v[168:169], v[118:119], v[154:155] op_sel_hi:[0,1]
	s_waitcnt lgkmcnt(1)
	v_dot4c_i32_i8_e32 v170, v126, v160
	s_waitcnt lgkmcnt(0)
	v_dot4c_i32_i8_e32 v170, v127, v164
	v_dot4c_i32_i8_e32 v170, v134, v161
	;; [unrolled: 1-line block ×7, first 2 shown]
	s_nop 2
	v_cvt_f32_i32_e32 v171, v170
	v_cvt_f32_i32_e32 v170, v159
	v_mov_b32_e32 v159, 0
	v_dot4c_i32_i8_e32 v159, v120, v160
	v_dot4c_i32_i8_e32 v159, v121, v164
	;; [unrolled: 1-line block ×8, first 2 shown]
	v_pk_fma_f32 v[16:17], v[168:169], v[170:171], v[16:17]
	v_cvt_f32_i32_e32 v170, v172
	v_pk_mul_f32 v[168:169], v[114:115], v[154:155] op_sel_hi:[0,1]
	v_cvt_f32_i32_e32 v171, v159
	v_mov_b32_e32 v159, 0
	v_dot4c_i32_i8_e32 v159, v124, v160
	v_dot4c_i32_i8_e32 v159, v125, v164
	v_dot4c_i32_i8_e32 v159, v132, v161
	v_dot4c_i32_i8_e32 v159, v133, v165
	v_dot4c_i32_i8_e32 v159, v142, v162
	v_dot4c_i32_i8_e32 v159, v143, v166
	v_dot4c_i32_i8_e32 v159, v150, v163
	v_dot4c_i32_i8_e32 v159, v151, v167
	v_pk_fma_f32 v[14:15], v[168:169], v[170:171], v[14:15]
	v_cvt_f32_i32_e32 v170, v173
	v_pk_mul_f32 v[168:169], v[116:117], v[154:155] op_sel_hi:[0,1]
	v_cvt_f32_i32_e32 v171, v159
	v_mov_b32_e32 v159, 0
	v_dot4c_i32_i8_e32 v159, v130, v160
	v_dot4c_i32_i8_e32 v159, v131, v164
	;; [unrolled: 1-line block ×8, first 2 shown]
	v_cvt_f32_i32_e32 v160, v174
	v_pk_mul_f32 v[154:155], v[122:123], v[154:155] op_sel_hi:[0,1]
	v_pk_fma_f32 v[12:13], v[168:169], v[170:171], v[12:13]
	v_cvt_f32_i32_e32 v161, v159
	v_mov_b32_e32 v159, 0
	v_mov_b32_e32 v168, 0
	;; [unrolled: 1-line block ×3, first 2 shown]
	v_pk_fma_f32 v[10:11], v[154:155], v[160:161], v[10:11]
	ds_read_b128 v[160:163], v117 offset:6144
	ds_read_b128 v[164:167], v117 offset:6160
	ds_read2_b32 v[154:155], v115 offset0:192 offset1:224
	v_mov_b32_e32 v170, 0
	v_mov_b32_e32 v171, 0
	s_waitcnt lgkmcnt(2)
	v_dot4c_i32_i8_e32 v159, v126, v160
	v_dot4c_i32_i8_e32 v168, v120, v160
	;; [unrolled: 1-line block ×4, first 2 shown]
	s_waitcnt lgkmcnt(1)
	v_dot4c_i32_i8_e32 v159, v127, v164
	v_dot4c_i32_i8_e32 v168, v121, v164
	;; [unrolled: 1-line block ×28, first 2 shown]
	ds_read_b128 v[160:163], v117 offset:7168
	ds_read_b128 v[164:167], v117 offset:7184
	s_waitcnt lgkmcnt(1)
	v_dot4c_i32_i8_e32 v171, v126, v160
	s_waitcnt lgkmcnt(0)
	v_dot4c_i32_i8_e32 v171, v127, v164
	v_pk_mul_f32 v[126:127], v[118:119], v[154:155] op_sel_hi:[0,1]
	v_mov_b32_e32 v118, 0
	v_dot4c_i32_i8_e32 v118, v120, v160
	v_dot4c_i32_i8_e32 v118, v121, v164
	v_pk_mul_f32 v[120:121], v[114:115], v[154:155] op_sel_hi:[0,1]
	v_mov_b32_e32 v114, 0
	v_dot4c_i32_i8_e32 v114, v124, v160
	v_dot4c_i32_i8_e32 v114, v125, v164
	;; [unrolled: 1-line block ×16, first 2 shown]
	v_cvt_f32_i32_e32 v134, v159
	v_cvt_f32_i32_e32 v135, v171
	v_dot4c_i32_i8_e32 v118, v136, v162
	v_cvt_f32_i32_e32 v125, v114
	v_mov_b32_e32 v114, 0
	v_dot4c_i32_i8_e32 v118, v137, v166
	v_dot4c_i32_i8_e32 v114, v130, v160
	;; [unrolled: 1-line block ×6, first 2 shown]
	v_pk_fma_f32 v[8:9], v[126:127], v[134:135], v[8:9]
	v_cvt_f32_i32_e32 v126, v168
	v_cvt_f32_i32_e32 v127, v118
	v_dot4c_i32_i8_e32 v114, v139, v165
	v_cvt_f32_i32_e32 v124, v169
	v_dot4c_i32_i8_e32 v114, v148, v162
	v_dot4c_i32_i8_e32 v114, v149, v166
	;; [unrolled: 1-line block ×3, first 2 shown]
	v_pk_fma_f32 v[6:7], v[120:121], v[126:127], v[6:7]
	v_pk_mul_f32 v[120:121], v[116:117], v[154:155] op_sel_hi:[0,1]
	v_dot4c_i32_i8_e32 v114, v153, v167
	v_pk_fma_f32 v[4:5], v[120:121], v[124:125], v[4:5]
	v_cvt_f32_i32_e32 v124, v170
	v_pk_mul_f32 v[120:121], v[122:123], v[154:155] op_sel_hi:[0,1]
	v_cvt_f32_i32_e32 v125, v114
	v_add_u32_e32 v123, 4, v123
	v_add_u32_e32 v119, 32, v119
	;; [unrolled: 1-line block ×3, first 2 shown]
	v_pk_fma_f32 v[2:3], v[120:121], v[124:125], v[2:3]
	v_add_u32_e32 v115, 4, v115
	s_cbranch_scc1 .LBB162_7
; %bb.8:                                ;   in Loop: Header=BB162_6 Depth=1
	s_or_b32 s4, s0, 4
	s_cmp_ge_i32 s4, s7
	s_barrier
	s_cbranch_scc1 .LBB162_5
; %bb.9:                                ;   in Loop: Header=BB162_6 Depth=1
	v_add_u32_e32 v128, s0, v77
	v_add_u32_e32 v114, v128, v39
	;; [unrolled: 1-line block ×8, first 2 shown]
	v_mad_i64_i32 v[114:115], s[4:5], v114, 36, v[110:111]
	v_mad_i64_i32 v[116:117], s[4:5], v116, 36, v[110:111]
	;; [unrolled: 1-line block ×6, first 2 shown]
	v_add_u32_e32 v126, v128, v67
	v_add_u32_e32 v128, v128, v71
	v_mad_u64_u32 v[130:131], s[4:5], v113, 36, s[2:3]
	v_mad_i64_i32 v[126:127], s[4:5], v126, 36, v[110:111]
	v_mad_i64_i32 v[128:129], s[4:5], v128, 36, v[110:111]
	global_load_dword v130, v[130:131], off
	s_nop 0
	global_load_dword v114, v[114:115], off offset:4
	s_nop 0
	global_load_dword v116, v[116:117], off offset:4
	;; [unrolled: 2-line block ×5, first 2 shown]
	global_load_dword v131, v[124:125], off offset:4
                                        ; kill: killed $vgpr124_vgpr125
                                        ; kill: killed $vgpr122_vgpr123
	s_nop 0
	global_load_dword v122, v[126:127], off offset:4
	global_load_dword v124, v[128:129], off offset:4
	s_mov_b32 s4, 12
	v_mov_b32_e32 v113, v89
	v_mov_b32_e32 v115, v87
	;; [unrolled: 1-line block ×7, first 2 shown]
	s_waitcnt vmcnt(8)
	v_cvt_f32_f16_e32 v125, v130
	s_waitcnt vmcnt(7)
	ds_write_b32 v41, v114
	s_waitcnt vmcnt(6)
	ds_write_b32 v47, v116
	;; [unrolled: 2-line block ×8, first 2 shown]
	ds_write_b32 v37, v125
	s_waitcnt lgkmcnt(0)
	s_barrier
.LBB162_10:                             ;   Parent Loop BB162_6 Depth=1
                                        ; =>  This Inner Loop Header: Depth=2
	v_add_u32_e32 v116, 0x2080, v117
	ds_read_b128 v[158:161], v115
	ds_read_b128 v[162:165], v115 offset:16
	ds_read2_b32 v[154:155], v113 offset1:32
	ds_read_b32 v118, v119
	ds_read2_b32 v[126:127], v117 offset1:1
	ds_read2_b32 v[134:135], v117 offset0:2 offset1:3
	ds_read2_b32 v[140:141], v117 offset0:4 offset1:5
	;; [unrolled: 1-line block ×3, first 2 shown]
	ds_read_b32 v114, v123
	ds_read2_b32 v[120:121], v116 offset1:1
	v_add_u32_e32 v116, 0x2088, v117
	ds_read2_b32 v[128:129], v116 offset1:1
	v_add_u32_e32 v116, 0x2090, v117
	;; [unrolled: 2-line block ×3, first 2 shown]
	v_add_u32_e32 v122, 0x4100, v117
	ds_read2_b32 v[146:147], v116 offset1:1
	ds_read_b32 v116, v156
	ds_read2_b32 v[124:125], v122 offset1:1
	v_add_u32_e32 v122, 0x4108, v117
	ds_read2_b32 v[132:133], v122 offset1:1
	v_add_u32_e32 v122, 0x4110, v117
	;; [unrolled: 2-line block ×3, first 2 shown]
	v_add_u32_e32 v130, 0x6180, v117
	ds_read2_b32 v[150:151], v122 offset1:1
	ds_read_b32 v122, v157
	ds_read2_b32 v[130:131], v130 offset1:1
	v_add_u32_e32 v138, 0x6188, v117
	ds_read2_b32 v[138:139], v138 offset1:1
	v_add_u32_e32 v148, 0x6190, v117
	ds_read2_b32 v[148:149], v148 offset1:1
	v_mov_b32_e32 v168, 0
	v_mov_b32_e32 v170, 0
	;; [unrolled: 1-line block ×4, first 2 shown]
	s_waitcnt lgkmcnt(14)
	v_dot4c_i32_i8_e32 v168, v126, v158
	s_waitcnt lgkmcnt(12)
	v_dot4c_i32_i8_e32 v170, v120, v158
	;; [unrolled: 2-line block ×4, first 2 shown]
	v_add_u32_e32 v152, 0x6198, v117
	ds_read2_b32 v[152:153], v152 offset1:1
	v_dot4c_i32_i8_e32 v168, v127, v162
	v_dot4c_i32_i8_e32 v170, v121, v162
	v_dot4c_i32_i8_e32 v171, v125, v162
	v_dot4c_i32_i8_e32 v172, v131, v162
	v_dot4c_i32_i8_e32 v168, v134, v159
	v_dot4c_i32_i8_e32 v170, v128, v159
	v_dot4c_i32_i8_e32 v171, v132, v159
	s_waitcnt lgkmcnt(2)
	v_dot4c_i32_i8_e32 v172, v138, v159
	v_dot4c_i32_i8_e32 v168, v135, v163
	v_dot4c_i32_i8_e32 v170, v129, v163
	v_dot4c_i32_i8_e32 v171, v133, v163
	v_dot4c_i32_i8_e32 v172, v139, v163
	v_dot4c_i32_i8_e32 v168, v140, v160
	v_dot4c_i32_i8_e32 v170, v136, v160
	v_dot4c_i32_i8_e32 v171, v142, v160
	s_waitcnt lgkmcnt(1)
	v_dot4c_i32_i8_e32 v172, v148, v160
	;; [unrolled: 9-line block ×3, first 2 shown]
	v_dot4c_i32_i8_e32 v168, v145, v165
	v_dot4c_i32_i8_e32 v170, v147, v165
	;; [unrolled: 1-line block ×4, first 2 shown]
	ds_read_b128 v[158:161], v115 offset:1024
	ds_read_b128 v[162:165], v115 offset:1040
	v_mov_b32_e32 v169, 0
	v_cvt_f32_i32_e32 v168, v168
	v_pk_mul_f32 v[166:167], v[118:119], v[154:155] op_sel_hi:[0,1]
	s_waitcnt lgkmcnt(1)
	v_dot4c_i32_i8_e32 v169, v126, v158
	s_waitcnt lgkmcnt(0)
	v_dot4c_i32_i8_e32 v169, v127, v162
	v_dot4c_i32_i8_e32 v169, v134, v159
	;; [unrolled: 1-line block ×7, first 2 shown]
	s_add_i32 s4, s4, 4
	v_add_u32_e32 v157, 4, v157
	v_add_u32_e32 v156, 4, v156
	v_cvt_f32_i32_e32 v169, v169
	s_cmp_lt_u32 s4, 28
	v_pk_fma_f32 v[60:61], v[166:167], v[168:169], v[60:61]
	v_mov_b32_e32 v168, 0
	v_dot4c_i32_i8_e32 v168, v120, v158
	v_dot4c_i32_i8_e32 v168, v121, v162
	;; [unrolled: 1-line block ×8, first 2 shown]
	v_pk_mul_f32 v[166:167], v[114:115], v[154:155] op_sel_hi:[0,1]
	s_nop 1
	v_cvt_f32_i32_e32 v169, v168
	v_cvt_f32_i32_e32 v168, v170
	v_mov_b32_e32 v170, 0
	v_pk_fma_f32 v[42:43], v[166:167], v[168:169], v[42:43]
	v_mov_b32_e32 v168, 0
	v_dot4c_i32_i8_e32 v168, v124, v158
	v_dot4c_i32_i8_e32 v168, v125, v162
	;; [unrolled: 1-line block ×8, first 2 shown]
	v_pk_mul_f32 v[166:167], v[116:117], v[154:155] op_sel_hi:[0,1]
	v_pk_mul_f32 v[154:155], v[122:123], v[154:155] op_sel_hi:[0,1]
	s_nop 0
	v_cvt_f32_i32_e32 v169, v168
	v_cvt_f32_i32_e32 v168, v171
	v_mov_b32_e32 v171, 0
	v_pk_fma_f32 v[28:29], v[166:167], v[168:169], v[28:29]
	v_mov_b32_e32 v166, 0
	v_dot4c_i32_i8_e32 v166, v130, v158
	v_dot4c_i32_i8_e32 v166, v131, v162
	;; [unrolled: 1-line block ×8, first 2 shown]
	v_cvt_f32_i32_e32 v158, v172
	v_mov_b32_e32 v168, 0
	v_mov_b32_e32 v172, 0
	v_cvt_f32_i32_e32 v159, v166
	v_mov_b32_e32 v169, 0
	v_pk_fma_f32 v[26:27], v[154:155], v[158:159], v[26:27]
	ds_read_b128 v[158:161], v115 offset:2048
	ds_read_b128 v[162:165], v115 offset:2064
	ds_read2_b32 v[154:155], v113 offset0:64 offset1:96
	s_waitcnt lgkmcnt(2)
	v_dot4c_i32_i8_e32 v168, v126, v158
	v_dot4c_i32_i8_e32 v170, v120, v158
	;; [unrolled: 1-line block ×4, first 2 shown]
	s_waitcnt lgkmcnt(1)
	v_dot4c_i32_i8_e32 v168, v127, v162
	v_dot4c_i32_i8_e32 v170, v121, v162
	;; [unrolled: 1-line block ×28, first 2 shown]
	ds_read_b128 v[158:161], v115 offset:3072
	ds_read_b128 v[162:165], v115 offset:3088
	v_cvt_f32_i32_e32 v168, v168
	s_waitcnt lgkmcnt(2)
	v_pk_mul_f32 v[166:167], v[118:119], v[154:155] op_sel_hi:[0,1]
	s_waitcnt lgkmcnt(1)
	v_dot4c_i32_i8_e32 v169, v126, v158
	s_waitcnt lgkmcnt(0)
	v_dot4c_i32_i8_e32 v169, v127, v162
	v_dot4c_i32_i8_e32 v169, v134, v159
	;; [unrolled: 1-line block ×7, first 2 shown]
	s_nop 2
	v_cvt_f32_i32_e32 v169, v169
	v_pk_fma_f32 v[24:25], v[166:167], v[168:169], v[24:25]
	v_mov_b32_e32 v168, 0
	v_dot4c_i32_i8_e32 v168, v120, v158
	v_dot4c_i32_i8_e32 v168, v121, v162
	;; [unrolled: 1-line block ×8, first 2 shown]
	v_pk_mul_f32 v[166:167], v[114:115], v[154:155] op_sel_hi:[0,1]
	s_nop 1
	v_cvt_f32_i32_e32 v169, v168
	v_cvt_f32_i32_e32 v168, v170
	v_mov_b32_e32 v170, 0
	v_pk_fma_f32 v[22:23], v[166:167], v[168:169], v[22:23]
	v_mov_b32_e32 v168, 0
	v_dot4c_i32_i8_e32 v168, v124, v158
	v_dot4c_i32_i8_e32 v168, v125, v162
	;; [unrolled: 1-line block ×8, first 2 shown]
	v_pk_mul_f32 v[166:167], v[116:117], v[154:155] op_sel_hi:[0,1]
	v_pk_mul_f32 v[154:155], v[122:123], v[154:155] op_sel_hi:[0,1]
	s_nop 0
	v_cvt_f32_i32_e32 v169, v168
	v_cvt_f32_i32_e32 v168, v171
	v_mov_b32_e32 v171, 0
	v_pk_fma_f32 v[20:21], v[166:167], v[168:169], v[20:21]
	v_mov_b32_e32 v166, 0
	v_dot4c_i32_i8_e32 v166, v130, v158
	v_dot4c_i32_i8_e32 v166, v131, v162
	;; [unrolled: 1-line block ×8, first 2 shown]
	v_cvt_f32_i32_e32 v158, v172
	v_mov_b32_e32 v168, 0
	v_mov_b32_e32 v172, 0
	v_cvt_f32_i32_e32 v159, v166
	v_mov_b32_e32 v169, 0
	v_pk_fma_f32 v[18:19], v[154:155], v[158:159], v[18:19]
	ds_read_b128 v[158:161], v115 offset:4096
	ds_read_b128 v[162:165], v115 offset:4112
	ds_read2_b32 v[154:155], v113 offset0:128 offset1:160
	s_waitcnt lgkmcnt(2)
	v_dot4c_i32_i8_e32 v168, v126, v158
	v_dot4c_i32_i8_e32 v170, v120, v158
	;; [unrolled: 1-line block ×4, first 2 shown]
	s_waitcnt lgkmcnt(1)
	v_dot4c_i32_i8_e32 v168, v127, v162
	v_dot4c_i32_i8_e32 v170, v121, v162
	;; [unrolled: 1-line block ×28, first 2 shown]
	ds_read_b128 v[158:161], v115 offset:5120
	ds_read_b128 v[162:165], v115 offset:5136
	v_cvt_f32_i32_e32 v168, v168
	s_waitcnt lgkmcnt(2)
	v_pk_mul_f32 v[166:167], v[118:119], v[154:155] op_sel_hi:[0,1]
	s_waitcnt lgkmcnt(1)
	v_dot4c_i32_i8_e32 v169, v126, v158
	s_waitcnt lgkmcnt(0)
	v_dot4c_i32_i8_e32 v169, v127, v162
	v_dot4c_i32_i8_e32 v169, v134, v159
	;; [unrolled: 1-line block ×7, first 2 shown]
	s_nop 2
	v_cvt_f32_i32_e32 v169, v169
	v_pk_fma_f32 v[16:17], v[166:167], v[168:169], v[16:17]
	v_mov_b32_e32 v168, 0
	v_dot4c_i32_i8_e32 v168, v120, v158
	v_dot4c_i32_i8_e32 v168, v121, v162
	;; [unrolled: 1-line block ×8, first 2 shown]
	v_pk_mul_f32 v[166:167], v[114:115], v[154:155] op_sel_hi:[0,1]
	s_nop 1
	v_cvt_f32_i32_e32 v169, v168
	v_cvt_f32_i32_e32 v168, v170
	v_mov_b32_e32 v170, 0
	v_pk_fma_f32 v[14:15], v[166:167], v[168:169], v[14:15]
	v_mov_b32_e32 v168, 0
	v_dot4c_i32_i8_e32 v168, v124, v158
	v_dot4c_i32_i8_e32 v168, v125, v162
	;; [unrolled: 1-line block ×8, first 2 shown]
	v_pk_mul_f32 v[166:167], v[116:117], v[154:155] op_sel_hi:[0,1]
	v_pk_mul_f32 v[154:155], v[122:123], v[154:155] op_sel_hi:[0,1]
	s_nop 0
	v_cvt_f32_i32_e32 v169, v168
	v_cvt_f32_i32_e32 v168, v171
	v_pk_fma_f32 v[12:13], v[166:167], v[168:169], v[12:13]
	v_mov_b32_e32 v166, 0
	v_dot4c_i32_i8_e32 v166, v130, v158
	v_dot4c_i32_i8_e32 v166, v131, v162
	;; [unrolled: 1-line block ×8, first 2 shown]
	v_cvt_f32_i32_e32 v158, v172
	v_mov_b32_e32 v167, 0
	v_mov_b32_e32 v168, 0
	v_cvt_f32_i32_e32 v159, v166
	v_mov_b32_e32 v166, 0
	v_mov_b32_e32 v169, 0
	v_pk_fma_f32 v[10:11], v[154:155], v[158:159], v[10:11]
	ds_read_b128 v[158:161], v115 offset:6144
	ds_read_b128 v[162:165], v115 offset:6160
	ds_read2_b32 v[154:155], v113 offset0:192 offset1:224
	v_add_u32_e32 v113, 4, v113
	s_waitcnt lgkmcnt(2)
	v_dot4c_i32_i8_e32 v166, v126, v158
	v_dot4c_i32_i8_e32 v167, v120, v158
	;; [unrolled: 1-line block ×4, first 2 shown]
	s_waitcnt lgkmcnt(1)
	v_dot4c_i32_i8_e32 v166, v127, v162
	v_dot4c_i32_i8_e32 v167, v121, v162
	;; [unrolled: 1-line block ×28, first 2 shown]
	ds_read_b128 v[158:161], v115 offset:7168
	ds_read_b128 v[162:165], v115 offset:7184
	s_waitcnt lgkmcnt(1)
	v_dot4c_i32_i8_e32 v170, v126, v158
	s_waitcnt lgkmcnt(0)
	v_dot4c_i32_i8_e32 v170, v127, v162
	v_pk_mul_f32 v[126:127], v[118:119], v[154:155] op_sel_hi:[0,1]
	v_mov_b32_e32 v118, 0
	v_dot4c_i32_i8_e32 v118, v120, v158
	v_dot4c_i32_i8_e32 v118, v121, v162
	v_pk_mul_f32 v[120:121], v[114:115], v[154:155] op_sel_hi:[0,1]
	v_mov_b32_e32 v114, 0
	v_dot4c_i32_i8_e32 v114, v124, v158
	v_dot4c_i32_i8_e32 v114, v125, v162
	;; [unrolled: 1-line block ×16, first 2 shown]
	v_cvt_f32_i32_e32 v134, v166
	v_cvt_f32_i32_e32 v135, v170
	v_dot4c_i32_i8_e32 v118, v136, v160
	v_cvt_f32_i32_e32 v125, v114
	v_mov_b32_e32 v114, 0
	v_dot4c_i32_i8_e32 v118, v137, v164
	v_dot4c_i32_i8_e32 v114, v130, v158
	;; [unrolled: 1-line block ×6, first 2 shown]
	v_pk_fma_f32 v[8:9], v[126:127], v[134:135], v[8:9]
	v_cvt_f32_i32_e32 v126, v167
	v_cvt_f32_i32_e32 v127, v118
	v_dot4c_i32_i8_e32 v114, v139, v163
	v_cvt_f32_i32_e32 v124, v168
	v_dot4c_i32_i8_e32 v114, v148, v160
	v_dot4c_i32_i8_e32 v114, v149, v164
	;; [unrolled: 1-line block ×3, first 2 shown]
	v_pk_fma_f32 v[6:7], v[120:121], v[126:127], v[6:7]
	v_pk_mul_f32 v[120:121], v[116:117], v[154:155] op_sel_hi:[0,1]
	v_dot4c_i32_i8_e32 v114, v153, v165
	v_pk_fma_f32 v[4:5], v[120:121], v[124:125], v[4:5]
	v_cvt_f32_i32_e32 v124, v169
	v_pk_mul_f32 v[120:121], v[122:123], v[154:155] op_sel_hi:[0,1]
	v_cvt_f32_i32_e32 v125, v114
	v_add_u32_e32 v123, 4, v123
	v_add_u32_e32 v119, 4, v119
	;; [unrolled: 1-line block ×3, first 2 shown]
	v_pk_fma_f32 v[2:3], v[120:121], v[124:125], v[2:3]
	v_add_u32_e32 v115, 32, v115
	s_cbranch_scc1 .LBB162_10
; %bb.11:                               ;   in Loop: Header=BB162_6 Depth=1
	s_barrier
	s_branch .LBB162_5
.LBB162_12:
	v_mov_b32_e32 v30, v31
.LBB162_13:
	v_cmp_gt_u32_e32 vcc, s10, v33
	s_and_saveexec_b64 s[0:1], vcc
	s_cbranch_execz .LBB162_64
; %bb.14:
	v_add_u32_e32 v0, s6, v1
	v_mul_lo_u32 v32, v33, s14
	v_cmp_gt_u32_e32 vcc, s14, v0
	s_and_saveexec_b64 s[2:3], vcc
	s_cbranch_execz .LBB162_16
; %bb.15:
	v_bfe_u32 v1, v60, 16, 1
	s_movk_i32 s0, 0x7fff
	v_add3_u32 v1, v60, v1, s0
	v_add_u32_e32 v34, v0, v32
	v_mov_b32_e32 v35, 0
	v_lshrrev_b32_e32 v1, 16, v1
	v_mov_b32_e32 v31, 0x7fc0
	v_cmp_o_f32_e64 s[0:1], v60, v60
	v_lshlrev_b64 v[34:35], 1, v[34:35]
	v_cndmask_b32_e64 v1, v31, v1, s[0:1]
	s_waitcnt lgkmcnt(0)
	v_mov_b32_e32 v31, s13
	v_add_co_u32_e64 v34, s[0:1], s12, v34
	v_addc_co_u32_e64 v35, s[0:1], v31, v35, s[0:1]
	global_store_short v[34:35], v1, off
.LBB162_16:
	s_or_b64 exec, exec, s[2:3]
	v_add_u32_e32 v1, 32, v0
	v_cmp_gt_u32_e64 s[0:1], s14, v1
	s_and_saveexec_b64 s[4:5], s[0:1]
	s_cbranch_execz .LBB162_18
; %bb.17:
	v_bfe_u32 v31, v42, 16, 1
	s_movk_i32 s2, 0x7fff
	v_add3_u32 v31, v42, v31, s2
	v_add_u32_e32 v34, v1, v32
	v_mov_b32_e32 v35, 0
	v_lshrrev_b32_e32 v31, 16, v31
	v_mov_b32_e32 v33, 0x7fc0
	v_cmp_o_f32_e64 s[2:3], v42, v42
	v_lshlrev_b64 v[34:35], 1, v[34:35]
	v_cndmask_b32_e64 v31, v33, v31, s[2:3]
	s_waitcnt lgkmcnt(0)
	v_mov_b32_e32 v33, s13
	v_add_co_u32_e64 v34, s[2:3], s12, v34
	v_addc_co_u32_e64 v35, s[2:3], v33, v35, s[2:3]
	global_store_short v[34:35], v31, off
.LBB162_18:
	s_or_b64 exec, exec, s[4:5]
	v_add_u32_e32 v31, 64, v0
	v_cmp_gt_u32_e64 s[2:3], s14, v31
	s_and_saveexec_b64 s[6:7], s[2:3]
	s_cbranch_execz .LBB162_20
; %bb.19:
	v_bfe_u32 v33, v28, 16, 1
	s_movk_i32 s4, 0x7fff
	v_add3_u32 v33, v28, v33, s4
	v_lshrrev_b32_e32 v33, 16, v33
	v_mov_b32_e32 v34, 0x7fc0
	v_cmp_o_f32_e64 s[4:5], v28, v28
	v_cndmask_b32_e64 v28, v34, v33, s[4:5]
	v_add_u32_e32 v34, v31, v32
	v_mov_b32_e32 v35, 0
	v_lshlrev_b64 v[34:35], 1, v[34:35]
	s_waitcnt lgkmcnt(0)
	v_mov_b32_e32 v33, s13
	v_add_co_u32_e64 v34, s[4:5], s12, v34
	v_addc_co_u32_e64 v35, s[4:5], v33, v35, s[4:5]
	global_store_short v[34:35], v28, off
.LBB162_20:
	s_or_b64 exec, exec, s[6:7]
	v_add_u32_e32 v28, 0x60, v0
	v_cmp_gt_u32_e64 s[4:5], s14, v28
	s_and_saveexec_b64 s[8:9], s[4:5]
	s_cbranch_execz .LBB162_22
; %bb.21:
	v_bfe_u32 v33, v26, 16, 1
	s_movk_i32 s6, 0x7fff
	v_add3_u32 v33, v26, v33, s6
	v_lshrrev_b32_e32 v33, 16, v33
	v_mov_b32_e32 v34, 0x7fc0
	v_cmp_o_f32_e64 s[6:7], v26, v26
	v_cndmask_b32_e64 v26, v34, v33, s[6:7]
	v_add_u32_e32 v32, v28, v32
	v_mov_b32_e32 v33, 0
	v_lshlrev_b64 v[32:33], 1, v[32:33]
	s_waitcnt lgkmcnt(0)
	v_mov_b32_e32 v34, s13
	v_add_co_u32_e64 v32, s[6:7], s12, v32
	v_addc_co_u32_e64 v33, s[6:7], v34, v33, s[6:7]
	global_store_short v[32:33], v26, off
.LBB162_22:
	s_or_b64 exec, exec, s[8:9]
	v_add3_u32 v26, v30, s15, 8
	v_cmp_gt_u32_e64 s[6:7], s10, v26
	s_and_b64 exec, exec, s[6:7]
	s_cbranch_execz .LBB162_64
; %bb.23:
	v_mul_lo_u32 v26, v26, s14
	s_and_saveexec_b64 s[8:9], vcc
	s_cbranch_execnz .LBB162_65
; %bb.24:
	s_or_b64 exec, exec, s[8:9]
	s_and_saveexec_b64 s[8:9], s[0:1]
	s_cbranch_execnz .LBB162_66
.LBB162_25:
	s_or_b64 exec, exec, s[8:9]
	s_and_saveexec_b64 s[8:9], s[2:3]
	s_cbranch_execnz .LBB162_67
.LBB162_26:
	s_or_b64 exec, exec, s[8:9]
	s_and_saveexec_b64 s[8:9], s[4:5]
	s_cbranch_execz .LBB162_28
.LBB162_27:
	v_bfe_u32 v29, v27, 16, 1
	s_movk_i32 s6, 0x7fff
	v_add3_u32 v29, v27, v29, s6
	v_cmp_o_f32_e64 s[6:7], v27, v27
	v_add_u32_e32 v26, v26, v28
	v_mov_b32_e32 v27, 0
	v_lshrrev_b32_e32 v29, 16, v29
	v_mov_b32_e32 v32, 0x7fc0
	v_lshlrev_b64 v[26:27], 1, v[26:27]
	v_cndmask_b32_e64 v29, v32, v29, s[6:7]
	s_waitcnt lgkmcnt(0)
	v_mov_b32_e32 v32, s13
	v_add_co_u32_e64 v26, s[6:7], s12, v26
	v_addc_co_u32_e64 v27, s[6:7], v32, v27, s[6:7]
	global_store_short v[26:27], v29, off
.LBB162_28:
	s_or_b64 exec, exec, s[8:9]
	v_add3_u32 v26, v30, s15, 16
	v_cmp_gt_u32_e64 s[6:7], s10, v26
	s_and_b64 exec, exec, s[6:7]
	s_cbranch_execz .LBB162_64
; %bb.29:
	v_mul_lo_u32 v26, v26, s14
	s_and_saveexec_b64 s[8:9], vcc
	s_cbranch_execnz .LBB162_68
; %bb.30:
	s_or_b64 exec, exec, s[8:9]
	s_and_saveexec_b64 s[8:9], s[0:1]
	s_cbranch_execnz .LBB162_69
.LBB162_31:
	s_or_b64 exec, exec, s[8:9]
	s_and_saveexec_b64 s[8:9], s[2:3]
	s_cbranch_execnz .LBB162_70
.LBB162_32:
	s_or_b64 exec, exec, s[8:9]
	s_and_saveexec_b64 s[8:9], s[4:5]
	s_cbranch_execz .LBB162_34
.LBB162_33:
	v_bfe_u32 v20, v18, 16, 1
	s_movk_i32 s6, 0x7fff
	v_add3_u32 v20, v18, v20, s6
	v_add_u32_e32 v26, v26, v28
	v_mov_b32_e32 v27, 0
	v_lshrrev_b32_e32 v20, 16, v20
	v_mov_b32_e32 v22, 0x7fc0
	v_cmp_o_f32_e64 s[6:7], v18, v18
	v_lshlrev_b64 v[26:27], 1, v[26:27]
	v_cndmask_b32_e64 v18, v22, v20, s[6:7]
	s_waitcnt lgkmcnt(0)
	v_mov_b32_e32 v20, s13
	v_add_co_u32_e64 v26, s[6:7], s12, v26
	v_addc_co_u32_e64 v27, s[6:7], v20, v27, s[6:7]
	global_store_short v[26:27], v18, off
.LBB162_34:
	s_or_b64 exec, exec, s[8:9]
	v_add3_u32 v18, v30, s15, 24
	v_cmp_gt_u32_e64 s[6:7], s10, v18
	s_and_b64 exec, exec, s[6:7]
	s_cbranch_execz .LBB162_64
; %bb.35:
	v_mul_lo_u32 v18, v18, s14
	s_and_saveexec_b64 s[8:9], vcc
	s_cbranch_execnz .LBB162_71
; %bb.36:
	s_or_b64 exec, exec, s[8:9]
	s_and_saveexec_b64 s[8:9], s[0:1]
	s_cbranch_execnz .LBB162_72
.LBB162_37:
	s_or_b64 exec, exec, s[8:9]
	s_and_saveexec_b64 s[8:9], s[2:3]
	s_cbranch_execnz .LBB162_73
.LBB162_38:
	s_or_b64 exec, exec, s[8:9]
	s_and_saveexec_b64 s[8:9], s[4:5]
	s_cbranch_execz .LBB162_40
.LBB162_39:
	v_bfe_u32 v20, v19, 16, 1
	s_movk_i32 s6, 0x7fff
	v_add3_u32 v20, v19, v20, s6
	v_cmp_o_f32_e64 s[6:7], v19, v19
	v_add_u32_e32 v18, v18, v28
	v_mov_b32_e32 v19, 0
	v_lshrrev_b32_e32 v20, 16, v20
	v_mov_b32_e32 v21, 0x7fc0
	v_lshlrev_b64 v[18:19], 1, v[18:19]
	v_cndmask_b32_e64 v20, v21, v20, s[6:7]
	s_waitcnt lgkmcnt(0)
	v_mov_b32_e32 v21, s13
	v_add_co_u32_e64 v18, s[6:7], s12, v18
	v_addc_co_u32_e64 v19, s[6:7], v21, v19, s[6:7]
	global_store_short v[18:19], v20, off
.LBB162_40:
	s_or_b64 exec, exec, s[8:9]
	v_add3_u32 v18, v30, s15, 32
	v_cmp_gt_u32_e64 s[6:7], s10, v18
	s_and_b64 exec, exec, s[6:7]
	s_cbranch_execz .LBB162_64
; %bb.41:
	v_mul_lo_u32 v18, v18, s14
	s_and_saveexec_b64 s[8:9], vcc
	s_cbranch_execnz .LBB162_74
; %bb.42:
	s_or_b64 exec, exec, s[8:9]
	s_and_saveexec_b64 s[8:9], s[0:1]
	s_cbranch_execnz .LBB162_75
.LBB162_43:
	s_or_b64 exec, exec, s[8:9]
	s_and_saveexec_b64 s[8:9], s[2:3]
	s_cbranch_execnz .LBB162_76
.LBB162_44:
	s_or_b64 exec, exec, s[8:9]
	s_and_saveexec_b64 s[8:9], s[4:5]
	s_cbranch_execz .LBB162_46
.LBB162_45:
	v_bfe_u32 v12, v10, 16, 1
	s_movk_i32 s6, 0x7fff
	v_add3_u32 v12, v10, v12, s6
	v_add_u32_e32 v18, v18, v28
	v_mov_b32_e32 v19, 0
	v_lshrrev_b32_e32 v12, 16, v12
	v_mov_b32_e32 v14, 0x7fc0
	v_cmp_o_f32_e64 s[6:7], v10, v10
	v_lshlrev_b64 v[18:19], 1, v[18:19]
	v_cndmask_b32_e64 v10, v14, v12, s[6:7]
	s_waitcnt lgkmcnt(0)
	v_mov_b32_e32 v12, s13
	v_add_co_u32_e64 v18, s[6:7], s12, v18
	v_addc_co_u32_e64 v19, s[6:7], v12, v19, s[6:7]
	global_store_short v[18:19], v10, off
.LBB162_46:
	s_or_b64 exec, exec, s[8:9]
	v_add3_u32 v10, v30, s15, 40
	v_cmp_gt_u32_e64 s[6:7], s10, v10
	s_and_b64 exec, exec, s[6:7]
	s_cbranch_execz .LBB162_64
; %bb.47:
	v_mul_lo_u32 v10, v10, s14
	s_and_saveexec_b64 s[8:9], vcc
	s_cbranch_execnz .LBB162_77
; %bb.48:
	s_or_b64 exec, exec, s[8:9]
	s_and_saveexec_b64 s[8:9], s[0:1]
	s_cbranch_execnz .LBB162_78
.LBB162_49:
	s_or_b64 exec, exec, s[8:9]
	s_and_saveexec_b64 s[8:9], s[2:3]
	s_cbranch_execnz .LBB162_79
.LBB162_50:
	s_or_b64 exec, exec, s[8:9]
	s_and_saveexec_b64 s[8:9], s[4:5]
	s_cbranch_execz .LBB162_52
.LBB162_51:
	v_bfe_u32 v12, v11, 16, 1
	s_movk_i32 s6, 0x7fff
	v_add3_u32 v12, v11, v12, s6
	v_cmp_o_f32_e64 s[6:7], v11, v11
	v_add_u32_e32 v10, v10, v28
	v_mov_b32_e32 v11, 0
	v_lshrrev_b32_e32 v12, 16, v12
	v_mov_b32_e32 v13, 0x7fc0
	v_lshlrev_b64 v[10:11], 1, v[10:11]
	v_cndmask_b32_e64 v12, v13, v12, s[6:7]
	s_waitcnt lgkmcnt(0)
	v_mov_b32_e32 v13, s13
	v_add_co_u32_e64 v10, s[6:7], s12, v10
	v_addc_co_u32_e64 v11, s[6:7], v13, v11, s[6:7]
	global_store_short v[10:11], v12, off
.LBB162_52:
	s_or_b64 exec, exec, s[8:9]
	v_add3_u32 v10, v30, s15, 48
	v_cmp_gt_u32_e64 s[6:7], s10, v10
	s_and_b64 exec, exec, s[6:7]
	s_cbranch_execz .LBB162_64
; %bb.53:
	v_mul_lo_u32 v10, v10, s14
	s_and_saveexec_b64 s[8:9], vcc
	s_cbranch_execnz .LBB162_80
; %bb.54:
	s_or_b64 exec, exec, s[8:9]
	s_and_saveexec_b64 s[8:9], s[0:1]
	s_cbranch_execnz .LBB162_81
.LBB162_55:
	s_or_b64 exec, exec, s[8:9]
	s_and_saveexec_b64 s[8:9], s[2:3]
	s_cbranch_execnz .LBB162_82
.LBB162_56:
	s_or_b64 exec, exec, s[8:9]
	s_and_saveexec_b64 s[8:9], s[4:5]
	s_cbranch_execz .LBB162_58
.LBB162_57:
	v_bfe_u32 v4, v2, 16, 1
	s_movk_i32 s6, 0x7fff
	v_add3_u32 v4, v2, v4, s6
	v_add_u32_e32 v10, v10, v28
	v_mov_b32_e32 v11, 0
	v_lshrrev_b32_e32 v4, 16, v4
	v_mov_b32_e32 v6, 0x7fc0
	v_cmp_o_f32_e64 s[6:7], v2, v2
	v_lshlrev_b64 v[10:11], 1, v[10:11]
	v_cndmask_b32_e64 v2, v6, v4, s[6:7]
	s_waitcnt lgkmcnt(0)
	v_mov_b32_e32 v4, s13
	v_add_co_u32_e64 v10, s[6:7], s12, v10
	v_addc_co_u32_e64 v11, s[6:7], v4, v11, s[6:7]
	global_store_short v[10:11], v2, off
.LBB162_58:
	s_or_b64 exec, exec, s[8:9]
	v_add3_u32 v2, v30, s15, 56
	v_cmp_gt_u32_e64 s[6:7], s10, v2
	s_and_b64 exec, exec, s[6:7]
	s_cbranch_execz .LBB162_64
; %bb.59:
	v_mul_lo_u32 v2, v2, s14
	s_and_saveexec_b64 s[6:7], vcc
	s_cbranch_execnz .LBB162_83
; %bb.60:
	s_or_b64 exec, exec, s[6:7]
	s_and_saveexec_b64 s[6:7], s[0:1]
	s_cbranch_execnz .LBB162_84
.LBB162_61:
	s_or_b64 exec, exec, s[6:7]
	s_and_saveexec_b64 s[0:1], s[2:3]
	s_cbranch_execnz .LBB162_85
.LBB162_62:
	s_or_b64 exec, exec, s[0:1]
	s_and_b64 exec, exec, s[4:5]
	s_cbranch_execz .LBB162_64
.LBB162_63:
	v_bfe_u32 v0, v3, 16, 1
	s_movk_i32 s0, 0x7fff
	v_add3_u32 v0, v3, v0, s0
	v_lshrrev_b32_e32 v0, 16, v0
	v_mov_b32_e32 v1, 0x7fc0
	v_cmp_o_f32_e32 vcc, v3, v3
	v_cndmask_b32_e32 v3, v1, v0, vcc
	v_add_u32_e32 v0, v2, v28
	v_mov_b32_e32 v1, 0
	v_lshlrev_b64 v[0:1], 1, v[0:1]
	s_waitcnt lgkmcnt(0)
	v_mov_b32_e32 v2, s13
	v_add_co_u32_e32 v0, vcc, s12, v0
	v_addc_co_u32_e32 v1, vcc, v2, v1, vcc
	global_store_short v[0:1], v3, off
.LBB162_64:
	s_endpgm
.LBB162_65:
	v_bfe_u32 v32, v61, 16, 1
	s_movk_i32 s6, 0x7fff
	v_add3_u32 v32, v61, v32, s6
	v_lshrrev_b32_e32 v32, 16, v32
	v_mov_b32_e32 v33, 0x7fc0
	v_cmp_o_f32_e64 s[6:7], v61, v61
	v_cndmask_b32_e64 v34, v33, v32, s[6:7]
	v_add_u32_e32 v32, v26, v0
	v_mov_b32_e32 v33, 0
	v_lshlrev_b64 v[32:33], 1, v[32:33]
	s_waitcnt lgkmcnt(0)
	v_mov_b32_e32 v35, s13
	v_add_co_u32_e64 v32, s[6:7], s12, v32
	v_addc_co_u32_e64 v33, s[6:7], v35, v33, s[6:7]
	global_store_short v[32:33], v34, off
	s_or_b64 exec, exec, s[8:9]
	s_and_saveexec_b64 s[8:9], s[0:1]
	s_cbranch_execz .LBB162_25
.LBB162_66:
	v_bfe_u32 v32, v43, 16, 1
	s_movk_i32 s6, 0x7fff
	v_add3_u32 v32, v43, v32, s6
	v_lshrrev_b32_e32 v32, 16, v32
	v_mov_b32_e32 v33, 0x7fc0
	v_cmp_o_f32_e64 s[6:7], v43, v43
	v_cndmask_b32_e64 v34, v33, v32, s[6:7]
	v_add_u32_e32 v32, v26, v1
	v_mov_b32_e32 v33, 0
	v_lshlrev_b64 v[32:33], 1, v[32:33]
	s_waitcnt lgkmcnt(0)
	v_mov_b32_e32 v35, s13
	v_add_co_u32_e64 v32, s[6:7], s12, v32
	v_addc_co_u32_e64 v33, s[6:7], v35, v33, s[6:7]
	global_store_short v[32:33], v34, off
	s_or_b64 exec, exec, s[8:9]
	s_and_saveexec_b64 s[8:9], s[2:3]
	s_cbranch_execz .LBB162_26
.LBB162_67:
	v_bfe_u32 v32, v29, 16, 1
	s_movk_i32 s6, 0x7fff
	v_add3_u32 v32, v29, v32, s6
	v_lshrrev_b32_e32 v32, 16, v32
	v_mov_b32_e32 v33, 0x7fc0
	v_cmp_o_f32_e64 s[6:7], v29, v29
	v_cndmask_b32_e64 v29, v33, v32, s[6:7]
	v_add_u32_e32 v32, v26, v31
	v_mov_b32_e32 v33, 0
	v_lshlrev_b64 v[32:33], 1, v[32:33]
	s_waitcnt lgkmcnt(0)
	v_mov_b32_e32 v34, s13
	v_add_co_u32_e64 v32, s[6:7], s12, v32
	v_addc_co_u32_e64 v33, s[6:7], v34, v33, s[6:7]
	global_store_short v[32:33], v29, off
	s_or_b64 exec, exec, s[8:9]
	s_and_saveexec_b64 s[8:9], s[4:5]
	s_cbranch_execnz .LBB162_27
	s_branch .LBB162_28
.LBB162_68:
	v_bfe_u32 v27, v24, 16, 1
	s_movk_i32 s6, 0x7fff
	v_add3_u32 v27, v24, v27, s6
	v_add_u32_e32 v32, v26, v0
	v_mov_b32_e32 v33, 0
	v_lshrrev_b32_e32 v27, 16, v27
	v_mov_b32_e32 v29, 0x7fc0
	v_cmp_o_f32_e64 s[6:7], v24, v24
	v_lshlrev_b64 v[32:33], 1, v[32:33]
	v_cndmask_b32_e64 v24, v29, v27, s[6:7]
	s_waitcnt lgkmcnt(0)
	v_mov_b32_e32 v27, s13
	v_add_co_u32_e64 v32, s[6:7], s12, v32
	v_addc_co_u32_e64 v33, s[6:7], v27, v33, s[6:7]
	global_store_short v[32:33], v24, off
	s_or_b64 exec, exec, s[8:9]
	s_and_saveexec_b64 s[8:9], s[0:1]
	s_cbranch_execz .LBB162_31
.LBB162_69:
	v_bfe_u32 v24, v22, 16, 1
	s_movk_i32 s6, 0x7fff
	v_add3_u32 v24, v22, v24, s6
	v_add_u32_e32 v32, v26, v1
	v_mov_b32_e32 v33, 0
	v_lshrrev_b32_e32 v24, 16, v24
	v_mov_b32_e32 v27, 0x7fc0
	v_cmp_o_f32_e64 s[6:7], v22, v22
	v_lshlrev_b64 v[32:33], 1, v[32:33]
	v_cndmask_b32_e64 v22, v27, v24, s[6:7]
	s_waitcnt lgkmcnt(0)
	v_mov_b32_e32 v24, s13
	v_add_co_u32_e64 v32, s[6:7], s12, v32
	v_addc_co_u32_e64 v33, s[6:7], v24, v33, s[6:7]
	global_store_short v[32:33], v22, off
	s_or_b64 exec, exec, s[8:9]
	s_and_saveexec_b64 s[8:9], s[2:3]
	s_cbranch_execz .LBB162_32
.LBB162_70:
	v_bfe_u32 v22, v20, 16, 1
	s_movk_i32 s6, 0x7fff
	v_add3_u32 v22, v20, v22, s6
	v_add_u32_e32 v32, v26, v31
	v_mov_b32_e32 v33, 0
	v_lshrrev_b32_e32 v22, 16, v22
	v_mov_b32_e32 v24, 0x7fc0
	v_cmp_o_f32_e64 s[6:7], v20, v20
	v_lshlrev_b64 v[32:33], 1, v[32:33]
	v_cndmask_b32_e64 v20, v24, v22, s[6:7]
	s_waitcnt lgkmcnt(0)
	v_mov_b32_e32 v22, s13
	v_add_co_u32_e64 v32, s[6:7], s12, v32
	v_addc_co_u32_e64 v33, s[6:7], v22, v33, s[6:7]
	global_store_short v[32:33], v20, off
	s_or_b64 exec, exec, s[8:9]
	s_and_saveexec_b64 s[8:9], s[4:5]
	s_cbranch_execnz .LBB162_33
	s_branch .LBB162_34
.LBB162_71:
	v_bfe_u32 v20, v25, 16, 1
	s_movk_i32 s6, 0x7fff
	v_add3_u32 v20, v25, v20, s6
	v_cmp_o_f32_e64 s[6:7], v25, v25
	v_add_u32_e32 v24, v18, v0
	v_mov_b32_e32 v25, 0
	v_lshrrev_b32_e32 v20, 16, v20
	v_mov_b32_e32 v22, 0x7fc0
	v_lshlrev_b64 v[24:25], 1, v[24:25]
	v_cndmask_b32_e64 v20, v22, v20, s[6:7]
	s_waitcnt lgkmcnt(0)
	v_mov_b32_e32 v22, s13
	v_add_co_u32_e64 v24, s[6:7], s12, v24
	v_addc_co_u32_e64 v25, s[6:7], v22, v25, s[6:7]
	global_store_short v[24:25], v20, off
	s_or_b64 exec, exec, s[8:9]
	s_and_saveexec_b64 s[8:9], s[0:1]
	s_cbranch_execz .LBB162_37
.LBB162_72:
	v_bfe_u32 v20, v23, 16, 1
	s_movk_i32 s6, 0x7fff
	v_add3_u32 v20, v23, v20, s6
	v_lshrrev_b32_e32 v20, 16, v20
	v_mov_b32_e32 v22, 0x7fc0
	v_cmp_o_f32_e64 s[6:7], v23, v23
	v_cndmask_b32_e64 v20, v22, v20, s[6:7]
	v_add_u32_e32 v22, v18, v1
	v_mov_b32_e32 v23, 0
	v_lshlrev_b64 v[22:23], 1, v[22:23]
	s_waitcnt lgkmcnt(0)
	v_mov_b32_e32 v24, s13
	v_add_co_u32_e64 v22, s[6:7], s12, v22
	v_addc_co_u32_e64 v23, s[6:7], v24, v23, s[6:7]
	global_store_short v[22:23], v20, off
	s_or_b64 exec, exec, s[8:9]
	s_and_saveexec_b64 s[8:9], s[2:3]
	s_cbranch_execz .LBB162_38
.LBB162_73:
	v_bfe_u32 v20, v21, 16, 1
	s_movk_i32 s6, 0x7fff
	v_add3_u32 v20, v21, v20, s6
	v_lshrrev_b32_e32 v20, 16, v20
	v_mov_b32_e32 v22, 0x7fc0
	v_cmp_o_f32_e64 s[6:7], v21, v21
	v_cndmask_b32_e64 v22, v22, v20, s[6:7]
	v_add_u32_e32 v20, v18, v31
	v_mov_b32_e32 v21, 0
	v_lshlrev_b64 v[20:21], 1, v[20:21]
	s_waitcnt lgkmcnt(0)
	v_mov_b32_e32 v23, s13
	v_add_co_u32_e64 v20, s[6:7], s12, v20
	v_addc_co_u32_e64 v21, s[6:7], v23, v21, s[6:7]
	global_store_short v[20:21], v22, off
	s_or_b64 exec, exec, s[8:9]
	s_and_saveexec_b64 s[8:9], s[4:5]
	s_cbranch_execnz .LBB162_39
	s_branch .LBB162_40
.LBB162_74:
	v_bfe_u32 v19, v16, 16, 1
	s_movk_i32 s6, 0x7fff
	v_add3_u32 v19, v16, v19, s6
	v_lshrrev_b32_e32 v19, 16, v19
	v_mov_b32_e32 v20, 0x7fc0
	v_cmp_o_f32_e64 s[6:7], v16, v16
	v_cndmask_b32_e64 v16, v20, v19, s[6:7]
	v_add_u32_e32 v20, v18, v0
	v_mov_b32_e32 v21, 0
	v_lshlrev_b64 v[20:21], 1, v[20:21]
	s_waitcnt lgkmcnt(0)
	v_mov_b32_e32 v19, s13
	v_add_co_u32_e64 v20, s[6:7], s12, v20
	v_addc_co_u32_e64 v21, s[6:7], v19, v21, s[6:7]
	global_store_short v[20:21], v16, off
	s_or_b64 exec, exec, s[8:9]
	s_and_saveexec_b64 s[8:9], s[0:1]
	s_cbranch_execz .LBB162_43
.LBB162_75:
	v_bfe_u32 v16, v14, 16, 1
	s_movk_i32 s6, 0x7fff
	v_add3_u32 v16, v14, v16, s6
	v_add_u32_e32 v20, v18, v1
	v_mov_b32_e32 v21, 0
	v_lshrrev_b32_e32 v16, 16, v16
	v_mov_b32_e32 v19, 0x7fc0
	v_cmp_o_f32_e64 s[6:7], v14, v14
	v_lshlrev_b64 v[20:21], 1, v[20:21]
	v_cndmask_b32_e64 v14, v19, v16, s[6:7]
	s_waitcnt lgkmcnt(0)
	v_mov_b32_e32 v16, s13
	v_add_co_u32_e64 v20, s[6:7], s12, v20
	v_addc_co_u32_e64 v21, s[6:7], v16, v21, s[6:7]
	global_store_short v[20:21], v14, off
	s_or_b64 exec, exec, s[8:9]
	s_and_saveexec_b64 s[8:9], s[2:3]
	s_cbranch_execz .LBB162_44
.LBB162_76:
	v_bfe_u32 v14, v12, 16, 1
	s_movk_i32 s6, 0x7fff
	v_add3_u32 v14, v12, v14, s6
	v_add_u32_e32 v20, v18, v31
	v_mov_b32_e32 v21, 0
	v_lshrrev_b32_e32 v14, 16, v14
	v_mov_b32_e32 v16, 0x7fc0
	v_cmp_o_f32_e64 s[6:7], v12, v12
	v_lshlrev_b64 v[20:21], 1, v[20:21]
	v_cndmask_b32_e64 v12, v16, v14, s[6:7]
	s_waitcnt lgkmcnt(0)
	v_mov_b32_e32 v14, s13
	v_add_co_u32_e64 v20, s[6:7], s12, v20
	v_addc_co_u32_e64 v21, s[6:7], v14, v21, s[6:7]
	global_store_short v[20:21], v12, off
	s_or_b64 exec, exec, s[8:9]
	s_and_saveexec_b64 s[8:9], s[4:5]
	s_cbranch_execnz .LBB162_45
	s_branch .LBB162_46
.LBB162_77:
	v_bfe_u32 v12, v17, 16, 1
	s_movk_i32 s6, 0x7fff
	v_add3_u32 v12, v17, v12, s6
	v_cmp_o_f32_e64 s[6:7], v17, v17
	v_add_u32_e32 v16, v10, v0
	v_mov_b32_e32 v17, 0
	v_lshrrev_b32_e32 v12, 16, v12
	v_mov_b32_e32 v14, 0x7fc0
	v_lshlrev_b64 v[16:17], 1, v[16:17]
	v_cndmask_b32_e64 v12, v14, v12, s[6:7]
	s_waitcnt lgkmcnt(0)
	v_mov_b32_e32 v14, s13
	v_add_co_u32_e64 v16, s[6:7], s12, v16
	v_addc_co_u32_e64 v17, s[6:7], v14, v17, s[6:7]
	global_store_short v[16:17], v12, off
	s_or_b64 exec, exec, s[8:9]
	s_and_saveexec_b64 s[8:9], s[0:1]
	s_cbranch_execz .LBB162_49
.LBB162_78:
	v_bfe_u32 v12, v15, 16, 1
	s_movk_i32 s6, 0x7fff
	v_add3_u32 v12, v15, v12, s6
	v_lshrrev_b32_e32 v12, 16, v12
	v_mov_b32_e32 v14, 0x7fc0
	v_cmp_o_f32_e64 s[6:7], v15, v15
	v_cndmask_b32_e64 v12, v14, v12, s[6:7]
	v_add_u32_e32 v14, v10, v1
	v_mov_b32_e32 v15, 0
	v_lshlrev_b64 v[14:15], 1, v[14:15]
	s_waitcnt lgkmcnt(0)
	v_mov_b32_e32 v16, s13
	v_add_co_u32_e64 v14, s[6:7], s12, v14
	v_addc_co_u32_e64 v15, s[6:7], v16, v15, s[6:7]
	global_store_short v[14:15], v12, off
	s_or_b64 exec, exec, s[8:9]
	s_and_saveexec_b64 s[8:9], s[2:3]
	s_cbranch_execz .LBB162_50
.LBB162_79:
	v_bfe_u32 v12, v13, 16, 1
	s_movk_i32 s6, 0x7fff
	v_add3_u32 v12, v13, v12, s6
	v_lshrrev_b32_e32 v12, 16, v12
	v_mov_b32_e32 v14, 0x7fc0
	v_cmp_o_f32_e64 s[6:7], v13, v13
	v_cndmask_b32_e64 v14, v14, v12, s[6:7]
	v_add_u32_e32 v12, v10, v31
	v_mov_b32_e32 v13, 0
	v_lshlrev_b64 v[12:13], 1, v[12:13]
	s_waitcnt lgkmcnt(0)
	v_mov_b32_e32 v15, s13
	v_add_co_u32_e64 v12, s[6:7], s12, v12
	v_addc_co_u32_e64 v13, s[6:7], v15, v13, s[6:7]
	global_store_short v[12:13], v14, off
	s_or_b64 exec, exec, s[8:9]
	s_and_saveexec_b64 s[8:9], s[4:5]
	s_cbranch_execnz .LBB162_51
	s_branch .LBB162_52
.LBB162_80:
	v_bfe_u32 v11, v8, 16, 1
	s_movk_i32 s6, 0x7fff
	v_add3_u32 v11, v8, v11, s6
	v_lshrrev_b32_e32 v11, 16, v11
	v_mov_b32_e32 v12, 0x7fc0
	v_cmp_o_f32_e64 s[6:7], v8, v8
	v_cndmask_b32_e64 v8, v12, v11, s[6:7]
	v_add_u32_e32 v12, v10, v0
	v_mov_b32_e32 v13, 0
	v_lshlrev_b64 v[12:13], 1, v[12:13]
	s_waitcnt lgkmcnt(0)
	v_mov_b32_e32 v11, s13
	v_add_co_u32_e64 v12, s[6:7], s12, v12
	v_addc_co_u32_e64 v13, s[6:7], v11, v13, s[6:7]
	global_store_short v[12:13], v8, off
	s_or_b64 exec, exec, s[8:9]
	s_and_saveexec_b64 s[8:9], s[0:1]
	s_cbranch_execz .LBB162_55
.LBB162_81:
	v_bfe_u32 v8, v6, 16, 1
	s_movk_i32 s6, 0x7fff
	v_add3_u32 v8, v6, v8, s6
	v_add_u32_e32 v12, v10, v1
	v_mov_b32_e32 v13, 0
	v_lshrrev_b32_e32 v8, 16, v8
	v_mov_b32_e32 v11, 0x7fc0
	v_cmp_o_f32_e64 s[6:7], v6, v6
	v_lshlrev_b64 v[12:13], 1, v[12:13]
	v_cndmask_b32_e64 v6, v11, v8, s[6:7]
	s_waitcnt lgkmcnt(0)
	v_mov_b32_e32 v8, s13
	v_add_co_u32_e64 v12, s[6:7], s12, v12
	v_addc_co_u32_e64 v13, s[6:7], v8, v13, s[6:7]
	global_store_short v[12:13], v6, off
	s_or_b64 exec, exec, s[8:9]
	s_and_saveexec_b64 s[8:9], s[2:3]
	s_cbranch_execz .LBB162_56
.LBB162_82:
	v_bfe_u32 v6, v4, 16, 1
	s_movk_i32 s6, 0x7fff
	v_add3_u32 v6, v4, v6, s6
	v_add_u32_e32 v12, v10, v31
	v_mov_b32_e32 v13, 0
	v_lshrrev_b32_e32 v6, 16, v6
	v_mov_b32_e32 v8, 0x7fc0
	v_cmp_o_f32_e64 s[6:7], v4, v4
	v_lshlrev_b64 v[12:13], 1, v[12:13]
	v_cndmask_b32_e64 v4, v8, v6, s[6:7]
	s_waitcnt lgkmcnt(0)
	v_mov_b32_e32 v6, s13
	v_add_co_u32_e64 v12, s[6:7], s12, v12
	v_addc_co_u32_e64 v13, s[6:7], v6, v13, s[6:7]
	global_store_short v[12:13], v4, off
	s_or_b64 exec, exec, s[8:9]
	s_and_saveexec_b64 s[8:9], s[4:5]
	s_cbranch_execnz .LBB162_57
	s_branch .LBB162_58
.LBB162_83:
	v_bfe_u32 v4, v9, 16, 1
	s_movk_i32 s8, 0x7fff
	v_add3_u32 v4, v9, v4, s8
	v_cmp_o_f32_e32 vcc, v9, v9
	v_add_u32_e32 v8, v2, v0
	v_mov_b32_e32 v9, 0
	v_lshrrev_b32_e32 v4, 16, v4
	v_mov_b32_e32 v6, 0x7fc0
	v_lshlrev_b64 v[8:9], 1, v[8:9]
	v_cndmask_b32_e32 v4, v6, v4, vcc
	s_waitcnt lgkmcnt(0)
	v_mov_b32_e32 v0, s13
	v_add_co_u32_e32 v8, vcc, s12, v8
	v_addc_co_u32_e32 v9, vcc, v0, v9, vcc
	global_store_short v[8:9], v4, off
	s_or_b64 exec, exec, s[6:7]
	s_and_saveexec_b64 s[6:7], s[0:1]
	s_cbranch_execz .LBB162_61
.LBB162_84:
	v_bfe_u32 v0, v7, 16, 1
	s_movk_i32 s0, 0x7fff
	v_add3_u32 v0, v7, v0, s0
	v_lshrrev_b32_e32 v0, 16, v0
	v_mov_b32_e32 v4, 0x7fc0
	v_cmp_o_f32_e32 vcc, v7, v7
	v_cndmask_b32_e32 v4, v4, v0, vcc
	v_add_u32_e32 v0, v2, v1
	v_mov_b32_e32 v1, 0
	v_lshlrev_b64 v[0:1], 1, v[0:1]
	s_waitcnt lgkmcnt(0)
	v_mov_b32_e32 v6, s13
	v_add_co_u32_e32 v0, vcc, s12, v0
	v_addc_co_u32_e32 v1, vcc, v6, v1, vcc
	global_store_short v[0:1], v4, off
	s_or_b64 exec, exec, s[6:7]
	s_and_saveexec_b64 s[0:1], s[2:3]
	s_cbranch_execz .LBB162_62
.LBB162_85:
	v_bfe_u32 v0, v5, 16, 1
	s_movk_i32 s2, 0x7fff
	v_add3_u32 v0, v5, v0, s2
	v_lshrrev_b32_e32 v0, 16, v0
	v_mov_b32_e32 v1, 0x7fc0
	v_cmp_o_f32_e32 vcc, v5, v5
	v_cndmask_b32_e32 v4, v1, v0, vcc
	v_add_u32_e32 v0, v2, v31
	v_mov_b32_e32 v1, 0
	v_lshlrev_b64 v[0:1], 1, v[0:1]
	s_waitcnt lgkmcnt(0)
	v_mov_b32_e32 v5, s13
	v_add_co_u32_e32 v0, vcc, s12, v0
	v_addc_co_u32_e32 v1, vcc, v5, v1, vcc
	global_store_short v[0:1], v4, off
	s_or_b64 exec, exec, s[0:1]
	s_and_b64 exec, exec, s[4:5]
	s_cbranch_execnz .LBB162_63
	s_branch .LBB162_64
	.section	.rodata,"a",@progbits
	.p2align	6, 0x0
	.amdhsa_kernel _ZL12mul_mat_q5_0IN3c108BFloat16ELb1EEvPKvS3_PT_iiiii
		.amdhsa_group_segment_fixed_size 46720
		.amdhsa_private_segment_fixed_size 0
		.amdhsa_kernarg_size 44
		.amdhsa_user_sgpr_count 6
		.amdhsa_user_sgpr_private_segment_buffer 1
		.amdhsa_user_sgpr_dispatch_ptr 0
		.amdhsa_user_sgpr_queue_ptr 0
		.amdhsa_user_sgpr_kernarg_segment_ptr 1
		.amdhsa_user_sgpr_dispatch_id 0
		.amdhsa_user_sgpr_flat_scratch_init 0
		.amdhsa_user_sgpr_kernarg_preload_length 0
		.amdhsa_user_sgpr_kernarg_preload_offset 0
		.amdhsa_user_sgpr_private_segment_size 0
		.amdhsa_uses_dynamic_stack 0
		.amdhsa_system_sgpr_private_segment_wavefront_offset 0
		.amdhsa_system_sgpr_workgroup_id_x 1
		.amdhsa_system_sgpr_workgroup_id_y 1
		.amdhsa_system_sgpr_workgroup_id_z 0
		.amdhsa_system_sgpr_workgroup_info 0
		.amdhsa_system_vgpr_workitem_id 1
		.amdhsa_next_free_vgpr 175
		.amdhsa_next_free_sgpr 20
		.amdhsa_accum_offset 176
		.amdhsa_reserve_vcc 1
		.amdhsa_reserve_flat_scratch 0
		.amdhsa_float_round_mode_32 0
		.amdhsa_float_round_mode_16_64 0
		.amdhsa_float_denorm_mode_32 3
		.amdhsa_float_denorm_mode_16_64 3
		.amdhsa_dx10_clamp 1
		.amdhsa_ieee_mode 1
		.amdhsa_fp16_overflow 0
		.amdhsa_tg_split 0
		.amdhsa_exception_fp_ieee_invalid_op 0
		.amdhsa_exception_fp_denorm_src 0
		.amdhsa_exception_fp_ieee_div_zero 0
		.amdhsa_exception_fp_ieee_overflow 0
		.amdhsa_exception_fp_ieee_underflow 0
		.amdhsa_exception_fp_ieee_inexact 0
		.amdhsa_exception_int_div_zero 0
	.end_amdhsa_kernel
	.section	.text._ZL12mul_mat_q5_0IN3c108BFloat16ELb1EEvPKvS3_PT_iiiii,"axG",@progbits,_ZL12mul_mat_q5_0IN3c108BFloat16ELb1EEvPKvS3_PT_iiiii,comdat
.Lfunc_end162:
	.size	_ZL12mul_mat_q5_0IN3c108BFloat16ELb1EEvPKvS3_PT_iiiii, .Lfunc_end162-_ZL12mul_mat_q5_0IN3c108BFloat16ELb1EEvPKvS3_PT_iiiii
                                        ; -- End function
	.section	.AMDGPU.csdata,"",@progbits
; Kernel info:
; codeLenInByte = 16552
; NumSgprs: 24
; NumVgprs: 175
; NumAgprs: 0
; TotalNumVgprs: 175
; ScratchSize: 0
; MemoryBound: 0
; FloatMode: 240
; IeeeMode: 1
; LDSByteSize: 46720 bytes/workgroup (compile time only)
; SGPRBlocks: 2
; VGPRBlocks: 21
; NumSGPRsForWavesPerEU: 24
; NumVGPRsForWavesPerEU: 175
; AccumOffset: 176
; Occupancy: 1
; WaveLimiterHint : 0
; COMPUTE_PGM_RSRC2:SCRATCH_EN: 0
; COMPUTE_PGM_RSRC2:USER_SGPR: 6
; COMPUTE_PGM_RSRC2:TRAP_HANDLER: 0
; COMPUTE_PGM_RSRC2:TGID_X_EN: 1
; COMPUTE_PGM_RSRC2:TGID_Y_EN: 1
; COMPUTE_PGM_RSRC2:TGID_Z_EN: 0
; COMPUTE_PGM_RSRC2:TIDIG_COMP_CNT: 1
; COMPUTE_PGM_RSRC3_GFX90A:ACCUM_OFFSET: 43
; COMPUTE_PGM_RSRC3_GFX90A:TG_SPLIT: 0
	.section	.text._ZL12mul_mat_q5_1IN3c108BFloat16ELb0EEvPKvS3_PT_iiiii,"axG",@progbits,_ZL12mul_mat_q5_1IN3c108BFloat16ELb0EEvPKvS3_PT_iiiii,comdat
	.globl	_ZL12mul_mat_q5_1IN3c108BFloat16ELb0EEvPKvS3_PT_iiiii ; -- Begin function _ZL12mul_mat_q5_1IN3c108BFloat16ELb0EEvPKvS3_PT_iiiii
	.p2align	8
	.type	_ZL12mul_mat_q5_1IN3c108BFloat16ELb0EEvPKvS3_PT_iiiii,@function
_ZL12mul_mat_q5_1IN3c108BFloat16ELb0EEvPKvS3_PT_iiiii: ; @_ZL12mul_mat_q5_1IN3c108BFloat16ELb0EEvPKvS3_PT_iiiii
; %bb.0:
	s_load_dword s14, s[4:5], 0x18
	s_load_dwordx4 s[8:11], s[4:5], 0x20
	s_waitcnt lgkmcnt(0)
	s_lshl_b32 s11, s7, 6
	v_bfe_u32 v86, v0, 10, 10
	s_cmp_gt_i32 s14, 31
	s_cbranch_scc1 .LBB163_2
; %bb.1:
	v_bfe_u32 v2, v0, 10, 10
	v_and_b32_e32 v84, 0x3ff, v0
	v_add_u32_e32 v90, s11, v2
	s_mov_b64 s[0:1], 0
	s_mov_b32 s2, 0
	s_branch .LBB163_3
.LBB163_2:
	s_mov_b64 s[0:1], -1
                                        ; implicit-def: $sgpr2
                                        ; implicit-def: $vgpr2
                                        ; implicit-def: $vgpr84
                                        ; implicit-def: $vgpr90
.LBB163_3:
	s_load_dwordx2 s[12:13], s[4:5], 0x10
	s_lshl_b32 s6, s6, 7
	s_andn2_b64 vcc, exec, s[0:1]
	v_mov_b32_e32 v1, s2
	v_mov_b32_e32 v9, s2
	;; [unrolled: 1-line block ×32, first 2 shown]
	s_cbranch_vccnz .LBB163_13
; %bb.4:
	s_load_dwordx4 s[0:3], s[4:5], 0x0
	s_ashr_i32 s4, s14, 31
	s_lshr_b32 s4, s4, 27
	s_ashr_i32 s5, s9, 31
	s_add_i32 s14, s14, s4
	s_lshr_b32 s5, s5, 27
	s_ashr_i32 s4, s14, 5
	s_add_i32 s5, s9, s5
	s_ashr_i32 s15, s5, 5
	s_mul_i32 s5, s4, s6
	s_mul_hi_i32 s7, s5, 24
	s_mul_i32 s5, s5, 24
	s_waitcnt lgkmcnt(0)
	s_add_u32 s5, s0, s5
	s_addc_u32 s7, s1, s7
	v_mul_lo_u32 v4, s4, v86
	s_lshl_b32 s0, s4, 3
	v_add_u32_e32 v6, s0, v4
	v_add_u32_e32 v8, s0, v6
	;; [unrolled: 1-line block ×10, first 2 shown]
	v_and_b32_e32 v84, 0x3ff, v0
	v_add_u32_e32 v26, s0, v24
	v_lshlrev_b32_e32 v1, 3, v84
	s_movk_i32 s16, 0x104
	v_add_u32_e32 v28, s0, v26
	v_lshrrev_b32_e32 v111, 3, v84
	v_lshlrev_b32_e32 v19, 2, v84
	v_lshrrev_b32_e32 v0, 2, v84
	v_mad_u32_u24 v93, v86, s16, v1
	v_add_u32_e32 v30, s0, v28
	v_lshl_add_u32 v1, v86, 2, v111
	v_and_b32_e32 v19, 28, v19
	v_add_u32_e32 v32, s0, v30
	v_and_b32_e32 v36, 7, v84
	v_mul_lo_u32 v38, s4, v1
	v_and_b32_e32 v3, 0x7fc, v1
	v_lshlrev_b32_e32 v7, 5, v1
	v_add_u32_e32 v9, 32, v1
	v_add_u32_e32 v13, 64, v1
	;; [unrolled: 1-line block ×3, first 2 shown]
	v_add_co_u32_e32 v46, vcc, s2, v19
	v_lshl_add_u32 v19, v86, 3, v0
	v_add_u32_e32 v34, s0, v32
	v_lshlrev_b32_e32 v5, 2, v36
	s_mov_b32 s0, 0xa200
	v_and_b32_e32 v11, 0xffc, v9
	v_and_b32_e32 v15, 0xffc, v13
	;; [unrolled: 1-line block ×3, first 2 shown]
	v_mov_b32_e32 v21, s3
	v_and_b32_e32 v19, 63, v19
	v_and_b32_e32 v48, 3, v84
	v_add3_u32 v3, v3, v5, s0
	v_add3_u32 v11, v11, v5, s0
	;; [unrolled: 1-line block ×4, first 2 shown]
	v_add_u32_e32 v90, s11, v86
	s_add_i32 s0, s8, -1
	v_addc_co_u32_e32 v47, vcc, 0, v21, vcc
	v_or_b32_e32 v21, s11, v19
	v_lshlrev_b32_e32 v2, 2, v48
	v_cvt_f64_i32_e32 v[50:51], s0
	v_min_i32_e32 v21, s0, v21
	v_cvt_f64_u32_e32 v[52:53], v90
	v_mad_u64_u32 v[48:49], s[0:1], v21, s15, v[48:49]
	v_lshl_or_b32 v19, v19, 4, v2
	v_min_f64 v[52:53], v[52:53], v[50:51]
	v_add_u32_e32 v21, 8, v90
	v_add_u32_e32 v112, 0xb280, v19
	v_cvt_i32_f64_e32 v19, v[52:53]
	v_cvt_f64_u32_e32 v[52:53], v21
	v_min_f64 v[52:53], v[52:53], v[50:51]
	v_cvt_i32_f64_e32 v21, v[52:53]
	v_mul_lo_u32 v115, s15, v21
	v_add_u32_e32 v21, 16, v90
	v_cvt_f64_u32_e32 v[52:53], v21
	v_min_f64 v[52:53], v[52:53], v[50:51]
	v_cvt_i32_f64_e32 v21, v[52:53]
	v_mul_lo_u32 v117, s15, v21
	v_add_u32_e32 v21, 24, v90
	;; [unrolled: 5-line block ×6, first 2 shown]
	v_and_b32_e32 v17, 31, v84
	v_mul_lo_u32 v113, s15, v19
	v_lshlrev_b32_e32 v19, 7, v86
	v_cvt_f64_u32_e32 v[52:53], v21
	v_lshl_or_b32 v17, v17, 2, v19
	v_min_f64 v[50:51], v[52:53], v[50:51]
	v_add_u32_e32 v114, 0x8200, v17
	v_add_u32_e32 v116, 0x8600, v17
	;; [unrolled: 1-line block ×7, first 2 shown]
	v_cvt_i32_f64_e32 v21, v[50:51]
	v_add_u32_e32 v128, 0x9e00, v17
	v_add_u32_e32 v17, 32, v84
	s_andn2_b32 s14, s14, 31
	v_mul_lo_u32 v127, s15, v21
	v_add_u32_e32 v21, 64, v84
	v_add_u32_e32 v23, 0x60, v84
	v_lshlrev_b32_e32 v25, 5, v84
	v_lshrrev_b32_e32 v130, 3, v17
	v_and_b32_e32 v17, 0x1fc, v17
	v_add_u32_e32 v40, s14, v38
	v_and_b32_e32 v23, 0x1fc, v23
	v_and_b32_e32 v21, 0x1fc, v21
	v_add_u32_e32 v17, v25, v17
	v_and_b32_e32 v27, 0xfc, v84
	v_lshlrev_b32_e32 v9, 5, v9
	v_add_u32_e32 v42, s14, v40
	v_lshlrev_b32_e32 v13, 5, v13
	v_lshlrev_b32_e32 v1, 5, v1
	v_add_u32_e32 v23, v25, v23
	v_add_u32_e32 v21, v25, v21
	;; [unrolled: 1-line block ×5, first 2 shown]
	v_mov_b32_e32 v19, 0xb280
	v_add_u32_e32 v139, 0xa610, v17
	v_mov_b32_e32 v17, 0x80
	s_mov_b32 s9, 0
	v_mov_b32_e32 v87, 0
	v_add_u32_e32 v94, 0x820, v93
	v_add_u32_e32 v95, 0x1040, v93
	;; [unrolled: 1-line block ×16, first 2 shown]
	v_mul_u32_u24_e32 v129, 0x104, v84
	v_add_u32_e32 v131, 0xae00, v23
	v_add_u32_e32 v132, 0xaa00, v21
	;; [unrolled: 1-line block ×3, first 2 shown]
	v_lshl_add_u32 v136, v86, 4, v19
	v_add_u32_e32 v137, 0xae10, v23
	v_add_u32_e32 v138, 0xaa10, v21
	;; [unrolled: 1-line block ×3, first 2 shown]
	v_mad_u32_u24 v141, v84, s16, v17
	v_add_u32_e32 v142, v3, v7
	v_add_u32_e32 v143, v11, v9
	;; [unrolled: 1-line block ×4, first 2 shown]
	v_mov_b32_e32 v91, 0
	v_mov_b32_e32 v49, 0
	;; [unrolled: 1-line block ×31, first 2 shown]
	s_branch .LBB163_6
.LBB163_5:                              ;   in Loop: Header=BB163_6 Depth=1
	s_add_i32 s9, s9, 8
	s_cmp_ge_i32 s9, s4
	s_cbranch_scc1 .LBB163_12
.LBB163_6:                              ; =>This Loop Header: Depth=1
                                        ;     Child Loop BB163_7 Depth 2
                                        ;     Child Loop BB163_10 Depth 2
	s_mul_i32 s0, s9, 24
	s_mul_hi_u32 s1, s9, 24
	s_add_u32 s0, s5, s0
	s_addc_u32 s1, s7, s1
	v_mad_u64_u32 v[50:51], s[14:15], v0, 24, s[0:1]
	v_mad_u64_u32 v[52:53], s[14:15], v4, 24, v[50:51]
	v_add_co_u32_e32 v54, vcc, v52, v2
	v_mad_u64_u32 v[60:61], s[14:15], v10, 24, v[50:51]
	v_addc_co_u32_e32 v55, vcc, 0, v53, vcc
	v_mad_u64_u32 v[56:57], s[14:15], v6, 24, v[50:51]
	v_mad_u64_u32 v[58:59], s[14:15], v8, 24, v[50:51]
	global_load_dword v68, v[60:61], off offset:4
	global_load_dword v69, v[58:59], off offset:4
	;; [unrolled: 1-line block ×4, first 2 shown]
                                        ; kill: killed $vgpr52 killed $vgpr53
	global_load_dword v72, v[54:55], off offset:8
	v_add_co_u32_e32 v52, vcc, v56, v2
	v_addc_co_u32_e32 v53, vcc, 0, v57, vcc
	global_load_dword v73, v[52:53], off offset:8
	v_add_co_u32_e32 v52, vcc, v58, v2
	v_addc_co_u32_e32 v53, vcc, 0, v59, vcc
	;; [unrolled: 3-line block ×3, first 2 shown]
	global_load_dword v75, v[52:53], off offset:8
	v_mad_u64_u32 v[52:53], s[14:15], v12, 24, v[50:51]
	v_add_co_u32_e32 v60, vcc, v52, v2
	v_mad_u64_u32 v[54:55], s[14:15], v14, 24, v[50:51]
	v_addc_co_u32_e32 v61, vcc, 0, v53, vcc
	v_add_co_u32_e32 v62, vcc, v54, v2
	v_mad_u64_u32 v[56:57], s[14:15], v16, 24, v[50:51]
	v_addc_co_u32_e32 v63, vcc, 0, v55, vcc
	v_add_co_u32_e32 v64, vcc, v56, v2
	v_mad_u64_u32 v[58:59], s[14:15], v18, 24, v[50:51]
	v_addc_co_u32_e32 v65, vcc, 0, v57, vcc
	v_add_co_u32_e32 v66, vcc, v58, v2
	v_addc_co_u32_e32 v67, vcc, 0, v59, vcc
	global_load_dword v76, v[66:67], off offset:8
	global_load_dword v77, v[58:59], off offset:4
	;; [unrolled: 1-line block ×6, first 2 shown]
	v_add_u32_e32 v146, s9, v48
	v_mov_b32_e32 v147, v136
	v_mov_b32_e32 v148, v135
	;; [unrolled: 1-line block ×7, first 2 shown]
	s_waitcnt vmcnt(10)
	v_ashrrev_i32_e32 v54, v2, v71
	v_lshlrev_b32_e32 v57, 4, v54
	v_lshlrev_b32_e32 v58, 11, v54
	s_waitcnt vmcnt(9)
	v_and_b32_e32 v56, 0xf0f0f0f, v72
	v_and_b32_e32 v57, 16, v57
	;; [unrolled: 1-line block ×3, first 2 shown]
	v_or3_b32 v56, v57, v56, v58
	global_load_dword v57, v[60:61], off offset:8
	s_nop 0
	global_load_dword v52, v[52:53], off offset:4
	v_lshrrev_b32_e32 v55, 4, v72
	v_lshrrev_b32_e32 v59, 12, v54
	;; [unrolled: 1-line block ×3, first 2 shown]
	v_and_b32_e32 v55, 0xf0f0f0f, v55
	v_lshlrev_b32_e32 v63, 2, v54
	v_lshlrev_b32_e32 v64, 18, v54
	;; [unrolled: 1-line block ×4, first 2 shown]
	v_and_b32_e32 v59, 16, v59
	v_and_b32_e32 v62, 0x1000, v62
	v_and_b32_e32 v64, 0x100000, v64
	v_and_b32_e32 v63, 0x100000, v63
	v_and_b32_e32 v54, 0x10000000, v54
	v_or3_b32 v55, v59, v55, v62
	v_and_b32_e32 v53, 0x10000000, v65
	v_or3_b32 v53, v55, v63, v53
	v_or3_b32 v54, v56, v64, v54
	ds_write2_b32 v93, v54, v53 offset1:1
	v_ashrrev_i32_e32 v53, v2, v70
	v_lshlrev_b32_e32 v54, 4, v53
	v_lshlrev_b32_e32 v55, 11, v53
	s_waitcnt vmcnt(10)
	v_lshrrev_b32_e32 v56, 4, v73
	v_lshrrev_b32_e32 v58, 12, v53
	v_lshrrev_b32_e32 v59, 5, v53
	v_and_b32_e32 v56, 0xf0f0f0f, v56
	v_and_b32_e32 v60, 0xf0f0f0f, v73
	v_and_b32_e32 v58, 16, v58
	v_and_b32_e32 v54, 16, v54
	v_and_b32_e32 v59, 0x1000, v59
	v_and_b32_e32 v55, 0x1000, v55
	v_or3_b32 v54, v54, v60, v55
	v_or3_b32 v55, v58, v56, v59
	v_lshlrev_b32_e32 v56, 2, v53
	v_lshlrev_b32_e32 v58, 18, v53
	v_lshlrev_b32_e32 v59, 9, v53
	v_lshlrev_b32_e32 v53, 25, v53
	v_and_b32_e32 v58, 0x100000, v58
	v_and_b32_e32 v56, 0x100000, v56
	v_and_b32_e32 v53, 0x10000000, v53
	v_and_b32_e32 v59, 0x10000000, v59
	v_or3_b32 v55, v55, v56, v59
	v_or3_b32 v53, v54, v58, v53
	ds_write2_b32 v94, v53, v55 offset1:1
	v_ashrrev_i32_e32 v53, v2, v69
	v_lshlrev_b32_e32 v54, 4, v53
	v_lshlrev_b32_e32 v55, 11, v53
	s_waitcnt vmcnt(9)
	v_lshrrev_b32_e32 v56, 4, v74
	v_lshrrev_b32_e32 v58, 12, v53
	v_lshrrev_b32_e32 v59, 5, v53
	v_and_b32_e32 v56, 0xf0f0f0f, v56
	v_and_b32_e32 v60, 0xf0f0f0f, v74
	v_and_b32_e32 v58, 16, v58
	v_and_b32_e32 v54, 16, v54
	v_and_b32_e32 v59, 0x1000, v59
	v_and_b32_e32 v55, 0x1000, v55
	v_or3_b32 v54, v54, v60, v55
	v_or3_b32 v55, v58, v56, v59
	v_lshlrev_b32_e32 v56, 2, v53
	v_lshlrev_b32_e32 v58, 18, v53
	v_lshlrev_b32_e32 v59, 9, v53
	v_lshlrev_b32_e32 v53, 25, v53
	v_and_b32_e32 v58, 0x100000, v58
	v_and_b32_e32 v56, 0x100000, v56
	v_and_b32_e32 v53, 0x10000000, v53
	;; [unrolled: 26-line block ×3, first 2 shown]
	v_and_b32_e32 v59, 0x10000000, v59
	v_or3_b32 v55, v55, v56, v59
	v_or3_b32 v53, v54, v58, v53
	s_waitcnt vmcnt(0)
	v_ashrrev_i32_e32 v52, v2, v52
	ds_write2_b32 v96, v53, v55 offset1:1
	v_lshlrev_b32_e32 v53, 4, v52
	v_lshlrev_b32_e32 v54, 11, v52
	v_lshrrev_b32_e32 v55, 4, v57
	v_and_b32_e32 v57, 0xf0f0f0f, v57
	v_and_b32_e32 v53, 16, v53
	;; [unrolled: 1-line block ×3, first 2 shown]
	v_lshrrev_b32_e32 v56, 12, v52
	v_lshrrev_b32_e32 v58, 5, v52
	v_or3_b32 v68, v53, v57, v54
	v_lshlrev_b32_e32 v53, 2, v52
	v_lshlrev_b32_e32 v54, 18, v52
	;; [unrolled: 1-line block ×4, first 2 shown]
	v_and_b32_e32 v71, 0x100000, v53
	v_and_b32_e32 v73, 0x10000000, v52
	v_mad_u64_u32 v[52:53], s[14:15], v20, 24, v[50:51]
	v_and_b32_e32 v55, 0xf0f0f0f, v55
	v_and_b32_e32 v56, 16, v56
	;; [unrolled: 1-line block ×4, first 2 shown]
	v_add_co_u32_e32 v54, vcc, v52, v2
	v_or3_b32 v69, v56, v55, v58
	v_addc_co_u32_e32 v55, vcc, 0, v53, vcc
	v_mad_u64_u32 v[56:57], s[14:15], v22, 24, v[50:51]
	v_add_co_u32_e32 v58, vcc, v56, v2
	v_addc_co_u32_e32 v59, vcc, 0, v57, vcc
	v_mad_u64_u32 v[60:61], s[14:15], v24, 24, v[50:51]
	v_add_co_u32_e32 v62, vcc, v60, v2
	;; [unrolled: 3-line block ×3, first 2 shown]
	v_addc_co_u32_e32 v67, vcc, 0, v65, vcc
	global_load_dword v66, v[66:67], off offset:8
	s_nop 0
	global_load_dword v67, v[64:65], off offset:4
	global_load_dword v74, v[62:63], off offset:8
	;; [unrolled: 1-line block ×5, first 2 shown]
	s_nop 0
	global_load_dword v54, v[54:55], off offset:8
	s_nop 0
	global_load_dword v52, v[52:53], off offset:4
	v_and_b32_e32 v53, 0x10000000, v72
	v_or3_b32 v53, v69, v71, v53
	v_or3_b32 v55, v68, v70, v73
	ds_write2_b32 v98, v55, v53 offset1:1
	v_ashrrev_i32_e32 v53, v2, v81
	v_lshlrev_b32_e32 v55, 4, v53
	v_lshlrev_b32_e32 v56, 11, v53
	v_lshrrev_b32_e32 v57, 4, v80
	v_lshrrev_b32_e32 v58, 12, v53
	v_lshrrev_b32_e32 v59, 5, v53
	v_and_b32_e32 v57, 0xf0f0f0f, v57
	v_and_b32_e32 v60, 0xf0f0f0f, v80
	v_and_b32_e32 v58, 16, v58
	v_and_b32_e32 v55, 16, v55
	v_and_b32_e32 v59, 0x1000, v59
	v_and_b32_e32 v56, 0x1000, v56
	v_or3_b32 v55, v55, v60, v56
	v_or3_b32 v56, v58, v57, v59
	v_lshlrev_b32_e32 v57, 2, v53
	v_lshlrev_b32_e32 v58, 18, v53
	v_lshlrev_b32_e32 v59, 9, v53
	v_lshlrev_b32_e32 v53, 25, v53
	v_and_b32_e32 v58, 0x100000, v58
	v_and_b32_e32 v57, 0x100000, v57
	v_and_b32_e32 v53, 0x10000000, v53
	v_and_b32_e32 v59, 0x10000000, v59
	v_or3_b32 v56, v56, v57, v59
	v_or3_b32 v53, v55, v58, v53
	ds_write2_b32 v99, v53, v56 offset1:1
	v_ashrrev_i32_e32 v53, v2, v79
	v_lshlrev_b32_e32 v55, 4, v53
	v_lshlrev_b32_e32 v56, 11, v53
	v_lshrrev_b32_e32 v57, 4, v78
	v_lshrrev_b32_e32 v58, 12, v53
	v_lshrrev_b32_e32 v59, 5, v53
	v_and_b32_e32 v57, 0xf0f0f0f, v57
	v_and_b32_e32 v60, 0xf0f0f0f, v78
	v_and_b32_e32 v58, 16, v58
	v_and_b32_e32 v55, 16, v55
	v_and_b32_e32 v59, 0x1000, v59
	v_and_b32_e32 v56, 0x1000, v56
	v_or3_b32 v55, v55, v60, v56
	v_or3_b32 v56, v58, v57, v59
	v_lshlrev_b32_e32 v57, 2, v53
	v_lshlrev_b32_e32 v58, 18, v53
	v_lshlrev_b32_e32 v59, 9, v53
	v_lshlrev_b32_e32 v53, 25, v53
	v_and_b32_e32 v58, 0x100000, v58
	v_and_b32_e32 v57, 0x100000, v57
	v_and_b32_e32 v53, 0x10000000, v53
	v_and_b32_e32 v59, 0x10000000, v59
	v_or3_b32 v56, v56, v57, v59
	v_or3_b32 v53, v55, v58, v53
	ds_write2_b32 v100, v53, v56 offset1:1
	v_ashrrev_i32_e32 v53, v2, v77
	v_lshlrev_b32_e32 v55, 4, v53
	v_lshlrev_b32_e32 v56, 11, v53
	v_lshrrev_b32_e32 v57, 4, v76
	v_lshrrev_b32_e32 v58, 12, v53
	v_lshrrev_b32_e32 v59, 5, v53
	v_and_b32_e32 v57, 0xf0f0f0f, v57
	v_and_b32_e32 v60, 0xf0f0f0f, v76
	v_and_b32_e32 v58, 16, v58
	v_and_b32_e32 v55, 16, v55
	v_and_b32_e32 v59, 0x1000, v59
	v_and_b32_e32 v56, 0x1000, v56
	v_or3_b32 v55, v55, v60, v56
	v_or3_b32 v56, v58, v57, v59
	v_lshlrev_b32_e32 v57, 2, v53
	v_lshlrev_b32_e32 v58, 18, v53
	v_lshlrev_b32_e32 v59, 9, v53
	v_lshlrev_b32_e32 v53, 25, v53
	v_and_b32_e32 v58, 0x100000, v58
	v_and_b32_e32 v57, 0x100000, v57
	v_and_b32_e32 v53, 0x10000000, v53
	v_and_b32_e32 v59, 0x10000000, v59
	v_or3_b32 v56, v56, v57, v59
	v_or3_b32 v53, v55, v58, v53
	ds_write2_b32 v101, v53, v56 offset1:1
	s_waitcnt vmcnt(0)
	v_ashrrev_i32_e32 v52, v2, v52
	v_lshlrev_b32_e32 v53, 4, v52
	v_lshlrev_b32_e32 v55, 11, v52
	v_lshrrev_b32_e32 v56, 4, v54
	v_and_b32_e32 v54, 0xf0f0f0f, v54
	v_and_b32_e32 v53, 16, v53
	;; [unrolled: 1-line block ×3, first 2 shown]
	v_lshrrev_b32_e32 v57, 12, v52
	v_lshrrev_b32_e32 v58, 5, v52
	v_or3_b32 v68, v53, v54, v55
	v_lshlrev_b32_e32 v53, 2, v52
	v_lshlrev_b32_e32 v54, 18, v52
	;; [unrolled: 1-line block ×4, first 2 shown]
	v_and_b32_e32 v71, 0x100000, v53
	v_and_b32_e32 v73, 0x10000000, v52
	v_mad_u64_u32 v[52:53], s[14:15], v28, 24, v[50:51]
	v_and_b32_e32 v56, 0xf0f0f0f, v56
	v_and_b32_e32 v57, 16, v57
	;; [unrolled: 1-line block ×4, first 2 shown]
	v_add_co_u32_e32 v54, vcc, v52, v2
	v_or3_b32 v69, v57, v56, v58
	v_addc_co_u32_e32 v55, vcc, 0, v53, vcc
	v_mad_u64_u32 v[56:57], s[14:15], v30, 24, v[50:51]
	v_add_co_u32_e32 v58, vcc, v56, v2
	v_addc_co_u32_e32 v59, vcc, 0, v57, vcc
	v_mad_u64_u32 v[60:61], s[14:15], v32, 24, v[50:51]
	v_add_co_u32_e32 v62, vcc, v60, v2
	;; [unrolled: 3-line block ×3, first 2 shown]
	v_addc_co_u32_e32 v65, vcc, 0, v51, vcc
	global_load_dword v76, v[64:65], off offset:8
	global_load_dword v77, v[50:51], off offset:4
	;; [unrolled: 1-line block ×4, first 2 shown]
	s_nop 0
	global_load_dword v50, v[58:59], off offset:8
	global_load_dword v51, v[56:57], off offset:4
	s_nop 0
	global_load_dword v54, v[54:55], off offset:8
	s_nop 0
	global_load_dword v52, v[52:53], off offset:4
	v_and_b32_e32 v53, 0x10000000, v72
	v_or3_b32 v53, v69, v71, v53
	v_or3_b32 v55, v68, v70, v73
	ds_write2_b32 v102, v55, v53 offset1:1
	v_ashrrev_i32_e32 v53, v2, v83
	v_lshlrev_b32_e32 v55, 4, v53
	v_lshlrev_b32_e32 v56, 11, v53
	v_lshrrev_b32_e32 v57, 4, v82
	v_lshrrev_b32_e32 v58, 12, v53
	v_lshrrev_b32_e32 v59, 5, v53
	v_and_b32_e32 v57, 0xf0f0f0f, v57
	v_and_b32_e32 v60, 0xf0f0f0f, v82
	v_and_b32_e32 v58, 16, v58
	v_and_b32_e32 v55, 16, v55
	v_and_b32_e32 v59, 0x1000, v59
	v_and_b32_e32 v56, 0x1000, v56
	v_or3_b32 v55, v55, v60, v56
	v_or3_b32 v56, v58, v57, v59
	v_lshlrev_b32_e32 v57, 2, v53
	v_lshlrev_b32_e32 v58, 18, v53
	v_lshlrev_b32_e32 v59, 9, v53
	v_lshlrev_b32_e32 v53, 25, v53
	v_and_b32_e32 v58, 0x100000, v58
	v_and_b32_e32 v57, 0x100000, v57
	v_and_b32_e32 v53, 0x10000000, v53
	v_and_b32_e32 v59, 0x10000000, v59
	v_or3_b32 v56, v56, v57, v59
	v_or3_b32 v53, v55, v58, v53
	ds_write2_b32 v103, v53, v56 offset1:1
	v_ashrrev_i32_e32 v53, v2, v75
	v_lshlrev_b32_e32 v55, 4, v53
	v_lshlrev_b32_e32 v56, 11, v53
	v_lshrrev_b32_e32 v57, 4, v74
	v_lshrrev_b32_e32 v58, 12, v53
	v_lshrrev_b32_e32 v59, 5, v53
	v_and_b32_e32 v57, 0xf0f0f0f, v57
	v_and_b32_e32 v60, 0xf0f0f0f, v74
	v_and_b32_e32 v58, 16, v58
	v_and_b32_e32 v55, 16, v55
	v_and_b32_e32 v59, 0x1000, v59
	v_and_b32_e32 v56, 0x1000, v56
	v_or3_b32 v55, v55, v60, v56
	v_or3_b32 v56, v58, v57, v59
	v_lshlrev_b32_e32 v57, 2, v53
	v_lshlrev_b32_e32 v58, 18, v53
	v_lshlrev_b32_e32 v59, 9, v53
	v_lshlrev_b32_e32 v53, 25, v53
	v_and_b32_e32 v58, 0x100000, v58
	v_and_b32_e32 v57, 0x100000, v57
	v_and_b32_e32 v53, 0x10000000, v53
	;; [unrolled: 25-line block ×3, first 2 shown]
	v_and_b32_e32 v59, 0x10000000, v59
	v_or3_b32 v56, v56, v57, v59
	v_or3_b32 v53, v55, v58, v53
	ds_write2_b32 v105, v53, v56 offset1:1
	s_waitcnt vmcnt(0)
	v_ashrrev_i32_e32 v52, v2, v52
	v_lshlrev_b32_e32 v53, 4, v52
	v_lshlrev_b32_e32 v55, 11, v52
	v_lshrrev_b32_e32 v56, 4, v54
	v_lshrrev_b32_e32 v57, 12, v52
	;; [unrolled: 1-line block ×3, first 2 shown]
	v_and_b32_e32 v56, 0xf0f0f0f, v56
	v_and_b32_e32 v54, 0xf0f0f0f, v54
	;; [unrolled: 1-line block ×6, first 2 shown]
	v_or3_b32 v53, v53, v54, v55
	v_or3_b32 v54, v57, v56, v58
	v_lshlrev_b32_e32 v55, 2, v52
	v_lshlrev_b32_e32 v56, 18, v52
	v_lshlrev_b32_e32 v57, 9, v52
	v_lshlrev_b32_e32 v52, 25, v52
	v_and_b32_e32 v56, 0x100000, v56
	v_and_b32_e32 v55, 0x100000, v55
	;; [unrolled: 1-line block ×4, first 2 shown]
	v_ashrrev_i32_e32 v66, v2, v51
	v_lshrrev_b32_e32 v51, 4, v50
	v_or3_b32 v54, v54, v55, v57
	v_or3_b32 v52, v53, v56, v52
	v_and_b32_e32 v71, 0xf0f0f0f, v51
	v_and_b32_e32 v72, 0xf0f0f0f, v50
	v_mad_u64_u32 v[50:51], s[0:1], v36, 24, s[0:1]
	ds_write2_b32 v106, v52, v54 offset1:1
	v_mad_u64_u32 v[52:53], s[0:1], v38, 24, v[50:51]
	v_mad_u64_u32 v[54:55], s[0:1], v40, 24, v[50:51]
	;; [unrolled: 1-line block ×4, first 2 shown]
	v_add_u32_e32 v64, s9, v111
	global_load_dword v73, v[52:53], off
	global_load_dword v74, v[54:55], off
	;; [unrolled: 1-line block ×4, first 2 shown]
	v_add_u32_e32 v50, v64, v113
	v_add_u32_e32 v52, v64, v115
	v_add_u32_e32 v54, v64, v117
	v_add_u32_e32 v56, v64, v119
	v_add_u32_e32 v58, v64, v121
	v_mad_i64_i32 v[50:51], s[0:1], v50, 36, v[46:47]
	v_mad_i64_i32 v[52:53], s[0:1], v52, 36, v[46:47]
	;; [unrolled: 1-line block ×5, first 2 shown]
	v_add_u32_e32 v60, v64, v123
	v_add_u32_e32 v62, v64, v125
	;; [unrolled: 1-line block ×3, first 2 shown]
	v_mad_i64_i32 v[60:61], s[0:1], v60, 36, v[46:47]
	v_mad_i64_i32 v[62:63], s[0:1], v62, 36, v[46:47]
	;; [unrolled: 1-line block ×3, first 2 shown]
	global_load_dword v81, v[50:51], off offset:4
	s_nop 0
	global_load_dword v52, v[52:53], off offset:4
	s_nop 0
	;; [unrolled: 2-line block ×3, first 2 shown]
	global_load_dword v54, v[56:57], off offset:4
	global_load_dword v55, v[58:59], off offset:4
	s_nop 0
	global_load_dword v56, v[60:61], off offset:4
	global_load_dword v57, v[62:63], off offset:4
	global_load_dword v58, v[64:65], off offset:4
	v_mad_u64_u32 v[50:51], s[0:1], v146, 36, s[2:3]
	global_load_dword v50, v[50:51], off
	v_lshlrev_b32_e32 v67, 4, v66
	v_lshlrev_b32_e32 v68, 11, v66
	v_lshrrev_b32_e32 v69, 12, v66
	v_lshrrev_b32_e32 v70, 5, v66
	v_and_b32_e32 v51, 16, v69
	v_and_b32_e32 v59, 16, v67
	;; [unrolled: 1-line block ×4, first 2 shown]
	v_or3_b32 v59, v59, v72, v61
	v_or3_b32 v51, v51, v71, v60
	v_lshlrev_b32_e32 v60, 2, v66
	v_lshlrev_b32_e32 v61, 18, v66
	;; [unrolled: 1-line block ×4, first 2 shown]
	v_and_b32_e32 v61, 0x100000, v61
	v_and_b32_e32 v60, 0x100000, v60
	v_and_b32_e32 v63, 0x10000000, v63
	v_and_b32_e32 v62, 0x10000000, v62
	v_or3_b32 v51, v51, v60, v62
	v_or3_b32 v59, v59, v61, v63
	ds_write2_b32 v107, v59, v51 offset1:1
	v_ashrrev_i32_e32 v51, v2, v79
	v_lshlrev_b32_e32 v59, 4, v51
	v_lshlrev_b32_e32 v60, 11, v51
	v_lshrrev_b32_e32 v61, 4, v78
	v_lshrrev_b32_e32 v62, 12, v51
	;; [unrolled: 1-line block ×3, first 2 shown]
	v_and_b32_e32 v61, 0xf0f0f0f, v61
	v_and_b32_e32 v64, 0xf0f0f0f, v78
	;; [unrolled: 1-line block ×6, first 2 shown]
	v_or3_b32 v59, v59, v64, v60
	v_or3_b32 v60, v62, v61, v63
	v_lshlrev_b32_e32 v61, 2, v51
	v_lshlrev_b32_e32 v62, 18, v51
	;; [unrolled: 1-line block ×4, first 2 shown]
	v_and_b32_e32 v62, 0x100000, v62
	v_and_b32_e32 v61, 0x100000, v61
	;; [unrolled: 1-line block ×4, first 2 shown]
	v_or3_b32 v60, v60, v61, v63
	v_or3_b32 v51, v59, v62, v51
	ds_write2_b32 v109, v51, v60 offset1:1
	v_ashrrev_i32_e32 v51, v2, v77
	v_lshlrev_b32_e32 v59, 4, v51
	v_lshlrev_b32_e32 v60, 11, v51
	v_lshrrev_b32_e32 v61, 4, v76
	v_lshrrev_b32_e32 v62, 12, v51
	;; [unrolled: 1-line block ×3, first 2 shown]
	v_and_b32_e32 v61, 0xf0f0f0f, v61
	v_and_b32_e32 v64, 0xf0f0f0f, v76
	;; [unrolled: 1-line block ×6, first 2 shown]
	v_or3_b32 v59, v59, v64, v60
	v_or3_b32 v60, v62, v61, v63
	v_lshlrev_b32_e32 v61, 2, v51
	v_lshlrev_b32_e32 v62, 18, v51
	;; [unrolled: 1-line block ×4, first 2 shown]
	v_and_b32_e32 v62, 0x100000, v62
	v_and_b32_e32 v61, 0x100000, v61
	;; [unrolled: 1-line block ×4, first 2 shown]
	v_or3_b32 v60, v60, v61, v63
	v_or3_b32 v51, v59, v62, v51
	s_mov_b32 s0, -4
	ds_write2_b32 v110, v51, v60 offset1:1
	s_waitcnt vmcnt(12)
	ds_write_b32 v142, v73
	s_waitcnt vmcnt(11)
	ds_write_b32 v143, v74
	;; [unrolled: 2-line block ×13, first 2 shown]
	s_waitcnt lgkmcnt(0)
	s_barrier
.LBB163_7:                              ;   Parent Loop BB163_6 Depth=1
                                        ; =>  This Inner Loop Header: Depth=2
	ds_read_b128 v[158:161], v148
	ds_read_b128 v[162:165], v148 offset:16
	ds_read2_b32 v[82:83], v147 offset1:32
	ds_read_b32 v154, v150
	ds_read2_b32 v[50:51], v149 offset1:1
	ds_read2_b32 v[54:55], v149 offset0:2 offset1:3
	ds_read2_b32 v[56:57], v149 offset0:4 offset1:5
	;; [unrolled: 1-line block ×3, first 2 shown]
	v_mov_b32_e32 v52, 0
	s_waitcnt lgkmcnt(3)
	v_dot4c_i32_i8_e32 v52, v50, v158
	v_dot4c_i32_i8_e32 v52, v51, v162
	s_waitcnt lgkmcnt(2)
	v_dot4c_i32_i8_e32 v52, v54, v159
	v_dot4c_i32_i8_e32 v52, v55, v163
	;; [unrolled: 3-line block ×4, first 2 shown]
	v_pk_mul_f16 v53, v82, v154
	v_add_u32_e32 v58, 0x2088, v149
	v_add_u32_e32 v63, 0x2090, v149
	v_cvt_f32_i32_e32 v52, v52
	v_mov_b32_e32 v62, 0
	v_add_u32_e32 v66, 0x4108, v149
	v_add_u32_e32 v70, 0x4110, v149
	v_fma_mix_f32 v52, v53, v52, v53 op_sel:[0,0,1] op_sel_hi:[1,0,1]
	v_add_f32_e32 v87, v87, v52
	v_add_u32_e32 v52, 0x2080, v149
	ds_read_b32 v155, v151
	ds_read2_b32 v[52:53], v52 offset1:1
	ds_read2_b32 v[58:59], v58 offset1:1
	;; [unrolled: 1-line block ×3, first 2 shown]
	v_add_u32_e32 v63, 0x2098, v149
	ds_read2_b32 v[68:69], v63 offset1:1
	s_waitcnt lgkmcnt(3)
	v_dot4c_i32_i8_e32 v62, v52, v158
	v_dot4c_i32_i8_e32 v62, v53, v162
	s_waitcnt lgkmcnt(2)
	v_dot4c_i32_i8_e32 v62, v58, v159
	v_dot4c_i32_i8_e32 v62, v59, v163
	s_waitcnt lgkmcnt(1)
	v_dot4c_i32_i8_e32 v62, v64, v160
	v_dot4c_i32_i8_e32 v62, v65, v164
	s_waitcnt lgkmcnt(0)
	v_dot4c_i32_i8_e32 v62, v68, v161
	v_dot4c_i32_i8_e32 v62, v69, v165
	v_pk_mul_f16 v63, v82, v155
	v_mov_b32_e32 v72, 0
	v_add_u32_e32 v73, 0x4118, v149
	v_cvt_f32_i32_e32 v62, v62
	v_add_u32_e32 v76, 0x6188, v149
	v_add_u32_e32 v78, 0x6190, v149
	v_mov_b32_e32 v166, 0
	v_fma_mix_f32 v62, v63, v62, v63 op_sel:[0,0,1] op_sel_hi:[1,0,1]
	v_add_f32_e32 v108, v108, v62
	v_add_u32_e32 v62, 0x4100, v149
	ds_read_b32 v156, v152
	ds_read2_b32 v[62:63], v62 offset1:1
	ds_read2_b32 v[66:67], v66 offset1:1
	;; [unrolled: 1-line block ×4, first 2 shown]
	s_waitcnt lgkmcnt(4)
	v_pk_mul_f16 v73, v82, v156
	s_waitcnt lgkmcnt(3)
	v_dot4c_i32_i8_e32 v72, v62, v158
	v_dot4c_i32_i8_e32 v72, v63, v162
	s_waitcnt lgkmcnt(2)
	v_dot4c_i32_i8_e32 v72, v66, v159
	v_dot4c_i32_i8_e32 v72, v67, v163
	;; [unrolled: 3-line block ×4, first 2 shown]
	v_add_u32_e32 v80, 0x6198, v149
	s_add_i32 s0, s0, 4
	v_add_u32_e32 v152, 4, v152
	v_cvt_f32_i32_e32 v72, v72
	v_add_u32_e32 v151, 4, v151
	v_add_u32_e32 v150, 4, v150
	s_cmp_lt_u32 s0, 12
	v_fma_mix_f32 v72, v73, v72, v73 op_sel:[0,0,1] op_sel_hi:[1,0,1]
	v_add_f32_e32 v97, v97, v72
	v_add_u32_e32 v72, 0x6180, v149
	ds_read_b32 v157, v153
	ds_read2_b32 v[72:73], v72 offset1:1
	ds_read2_b32 v[76:77], v76 offset1:1
	ds_read2_b32 v[78:79], v78 offset1:1
	ds_read2_b32 v[80:81], v80 offset1:1
	s_waitcnt lgkmcnt(4)
	v_pk_mul_f16 v82, v82, v157
	s_waitcnt lgkmcnt(3)
	v_dot4c_i32_i8_e32 v166, v72, v158
	v_dot4c_i32_i8_e32 v166, v73, v162
	s_waitcnt lgkmcnt(2)
	v_dot4c_i32_i8_e32 v166, v76, v159
	v_dot4c_i32_i8_e32 v166, v77, v163
	;; [unrolled: 3-line block ×4, first 2 shown]
	v_add_u32_e32 v153, 4, v153
	v_add_u32_e32 v149, 32, v149
	s_nop 0
	v_cvt_f32_i32_e32 v158, v166
	v_pk_mul_f16 v166, v154, v83
	v_fma_mix_f32 v82, v82, v158, v82 op_sel:[0,0,1] op_sel_hi:[1,0,1]
	ds_read_b128 v[158:161], v148 offset:1024
	ds_read_b128 v[162:165], v148 offset:1040
	v_add_f32_e32 v92, v92, v82
	v_mov_b32_e32 v82, 0
	s_waitcnt lgkmcnt(1)
	v_dot4c_i32_i8_e32 v82, v50, v158
	s_waitcnt lgkmcnt(0)
	v_dot4c_i32_i8_e32 v82, v51, v162
	v_dot4c_i32_i8_e32 v82, v54, v159
	;; [unrolled: 1-line block ×7, first 2 shown]
	s_nop 2
	v_cvt_f32_i32_e32 v82, v82
	v_fma_mix_f32 v82, v82, v166, v166 op_sel:[0,0,1] op_sel_hi:[0,1,1]
	v_add_f32_e32 v91, v91, v82
	v_mov_b32_e32 v82, 0
	v_dot4c_i32_i8_e32 v82, v52, v158
	v_dot4c_i32_i8_e32 v82, v53, v162
	;; [unrolled: 1-line block ×8, first 2 shown]
	v_pk_mul_f16 v166, v155, v83
	s_nop 1
	v_cvt_f32_i32_e32 v82, v82
	v_fma_mix_f32 v82, v82, v166, v166 op_sel:[0,0,1] op_sel_hi:[0,1,1]
	v_add_f32_e32 v89, v89, v82
	v_mov_b32_e32 v82, 0
	v_dot4c_i32_i8_e32 v82, v62, v158
	v_dot4c_i32_i8_e32 v82, v63, v162
	;; [unrolled: 1-line block ×8, first 2 shown]
	v_pk_mul_f16 v166, v156, v83
	v_pk_mul_f16 v83, v157, v83
	s_nop 0
	v_cvt_f32_i32_e32 v82, v82
	v_fma_mix_f32 v82, v82, v166, v166 op_sel:[0,0,1] op_sel_hi:[0,1,1]
	v_add_f32_e32 v88, v88, v82
	v_mov_b32_e32 v82, 0
	v_dot4c_i32_i8_e32 v82, v72, v158
	v_dot4c_i32_i8_e32 v82, v73, v162
	;; [unrolled: 1-line block ×8, first 2 shown]
	v_mov_b32_e32 v166, 0
	s_nop 1
	v_cvt_f32_i32_e32 v82, v82
	v_fma_mix_f32 v82, v82, v83, v83 op_sel:[0,0,1] op_sel_hi:[0,1,1]
	v_add_f32_e32 v85, v85, v82
	ds_read_b128 v[158:161], v148 offset:2048
	ds_read_b128 v[162:165], v148 offset:2064
	ds_read2_b32 v[82:83], v147 offset0:64 offset1:96
	s_waitcnt lgkmcnt(2)
	v_dot4c_i32_i8_e32 v166, v50, v158
	s_waitcnt lgkmcnt(1)
	v_dot4c_i32_i8_e32 v166, v51, v162
	v_dot4c_i32_i8_e32 v166, v54, v159
	;; [unrolled: 1-line block ×7, first 2 shown]
	s_waitcnt lgkmcnt(0)
	v_pk_mul_f16 v167, v154, v82
	s_nop 0
	v_cvt_f32_i32_e32 v166, v166
	v_fma_mix_f32 v166, v166, v167, v167 op_sel:[0,0,1] op_sel_hi:[0,1,1]
	v_add_f32_e32 v49, v49, v166
	v_mov_b32_e32 v166, 0
	v_dot4c_i32_i8_e32 v166, v52, v158
	v_dot4c_i32_i8_e32 v166, v53, v162
	v_dot4c_i32_i8_e32 v166, v58, v159
	v_dot4c_i32_i8_e32 v166, v59, v163
	v_dot4c_i32_i8_e32 v166, v64, v160
	v_dot4c_i32_i8_e32 v166, v65, v164
	v_dot4c_i32_i8_e32 v166, v68, v161
	v_dot4c_i32_i8_e32 v166, v69, v165
	v_pk_mul_f16 v167, v155, v82
	s_nop 1
	v_cvt_f32_i32_e32 v166, v166
	v_fma_mix_f32 v166, v166, v167, v167 op_sel:[0,0,1] op_sel_hi:[0,1,1]
	v_add_f32_e32 v45, v45, v166
	v_mov_b32_e32 v166, 0
	v_dot4c_i32_i8_e32 v166, v62, v158
	v_dot4c_i32_i8_e32 v166, v63, v162
	;; [unrolled: 1-line block ×8, first 2 shown]
	v_pk_mul_f16 v167, v156, v82
	v_pk_mul_f16 v82, v157, v82
	s_nop 0
	v_cvt_f32_i32_e32 v166, v166
	v_fma_mix_f32 v166, v166, v167, v167 op_sel:[0,0,1] op_sel_hi:[0,1,1]
	v_add_f32_e32 v43, v43, v166
	v_mov_b32_e32 v166, 0
	v_dot4c_i32_i8_e32 v166, v72, v158
	v_dot4c_i32_i8_e32 v166, v73, v162
	;; [unrolled: 1-line block ×8, first 2 shown]
	s_nop 2
	v_cvt_f32_i32_e32 v158, v166
	v_pk_mul_f16 v166, v154, v83
	v_fma_mix_f32 v82, v158, v82, v82 op_sel:[0,0,1] op_sel_hi:[0,1,1]
	ds_read_b128 v[158:161], v148 offset:3072
	ds_read_b128 v[162:165], v148 offset:3088
	v_add_f32_e32 v41, v41, v82
	v_mov_b32_e32 v82, 0
	s_waitcnt lgkmcnt(1)
	v_dot4c_i32_i8_e32 v82, v50, v158
	s_waitcnt lgkmcnt(0)
	v_dot4c_i32_i8_e32 v82, v51, v162
	v_dot4c_i32_i8_e32 v82, v54, v159
	;; [unrolled: 1-line block ×7, first 2 shown]
	s_nop 2
	v_cvt_f32_i32_e32 v82, v82
	v_fma_mix_f32 v82, v82, v166, v166 op_sel:[0,0,1] op_sel_hi:[0,1,1]
	v_add_f32_e32 v39, v39, v82
	v_mov_b32_e32 v82, 0
	v_dot4c_i32_i8_e32 v82, v52, v158
	v_dot4c_i32_i8_e32 v82, v53, v162
	;; [unrolled: 1-line block ×8, first 2 shown]
	v_pk_mul_f16 v166, v155, v83
	s_nop 1
	v_cvt_f32_i32_e32 v82, v82
	v_fma_mix_f32 v82, v82, v166, v166 op_sel:[0,0,1] op_sel_hi:[0,1,1]
	v_add_f32_e32 v37, v37, v82
	v_mov_b32_e32 v82, 0
	v_dot4c_i32_i8_e32 v82, v62, v158
	v_dot4c_i32_i8_e32 v82, v63, v162
	;; [unrolled: 1-line block ×8, first 2 shown]
	v_pk_mul_f16 v166, v156, v83
	v_pk_mul_f16 v83, v157, v83
	s_nop 0
	v_cvt_f32_i32_e32 v82, v82
	v_fma_mix_f32 v82, v82, v166, v166 op_sel:[0,0,1] op_sel_hi:[0,1,1]
	v_add_f32_e32 v35, v35, v82
	v_mov_b32_e32 v82, 0
	v_dot4c_i32_i8_e32 v82, v72, v158
	v_dot4c_i32_i8_e32 v82, v73, v162
	;; [unrolled: 1-line block ×8, first 2 shown]
	v_mov_b32_e32 v166, 0
	s_nop 1
	v_cvt_f32_i32_e32 v82, v82
	v_fma_mix_f32 v82, v82, v83, v83 op_sel:[0,0,1] op_sel_hi:[0,1,1]
	v_add_f32_e32 v33, v33, v82
	ds_read_b128 v[158:161], v148 offset:4096
	ds_read_b128 v[162:165], v148 offset:4112
	ds_read2_b32 v[82:83], v147 offset0:128 offset1:160
	s_waitcnt lgkmcnt(2)
	v_dot4c_i32_i8_e32 v166, v50, v158
	s_waitcnt lgkmcnt(1)
	v_dot4c_i32_i8_e32 v166, v51, v162
	v_dot4c_i32_i8_e32 v166, v54, v159
	;; [unrolled: 1-line block ×7, first 2 shown]
	s_waitcnt lgkmcnt(0)
	v_pk_mul_f16 v167, v154, v82
	s_nop 0
	v_cvt_f32_i32_e32 v166, v166
	v_fma_mix_f32 v166, v166, v167, v167 op_sel:[0,0,1] op_sel_hi:[0,1,1]
	v_add_f32_e32 v31, v31, v166
	v_mov_b32_e32 v166, 0
	v_dot4c_i32_i8_e32 v166, v52, v158
	v_dot4c_i32_i8_e32 v166, v53, v162
	;; [unrolled: 1-line block ×8, first 2 shown]
	v_pk_mul_f16 v167, v155, v82
	s_nop 1
	v_cvt_f32_i32_e32 v166, v166
	v_fma_mix_f32 v166, v166, v167, v167 op_sel:[0,0,1] op_sel_hi:[0,1,1]
	v_add_f32_e32 v29, v29, v166
	v_mov_b32_e32 v166, 0
	v_dot4c_i32_i8_e32 v166, v62, v158
	v_dot4c_i32_i8_e32 v166, v63, v162
	v_dot4c_i32_i8_e32 v166, v66, v159
	v_dot4c_i32_i8_e32 v166, v67, v163
	v_dot4c_i32_i8_e32 v166, v70, v160
	v_dot4c_i32_i8_e32 v166, v71, v164
	v_dot4c_i32_i8_e32 v166, v74, v161
	v_dot4c_i32_i8_e32 v166, v75, v165
	v_pk_mul_f16 v167, v156, v82
	v_pk_mul_f16 v82, v157, v82
	s_nop 0
	v_cvt_f32_i32_e32 v166, v166
	v_fma_mix_f32 v166, v166, v167, v167 op_sel:[0,0,1] op_sel_hi:[0,1,1]
	v_add_f32_e32 v27, v27, v166
	v_mov_b32_e32 v166, 0
	v_dot4c_i32_i8_e32 v166, v72, v158
	v_dot4c_i32_i8_e32 v166, v73, v162
	v_dot4c_i32_i8_e32 v166, v76, v159
	v_dot4c_i32_i8_e32 v166, v77, v163
	v_dot4c_i32_i8_e32 v166, v78, v160
	v_dot4c_i32_i8_e32 v166, v79, v164
	v_dot4c_i32_i8_e32 v166, v80, v161
	v_dot4c_i32_i8_e32 v166, v81, v165
	s_nop 2
	v_cvt_f32_i32_e32 v158, v166
	v_pk_mul_f16 v166, v154, v83
	v_fma_mix_f32 v82, v158, v82, v82 op_sel:[0,0,1] op_sel_hi:[0,1,1]
	ds_read_b128 v[158:161], v148 offset:5120
	ds_read_b128 v[162:165], v148 offset:5136
	v_add_f32_e32 v25, v25, v82
	v_mov_b32_e32 v82, 0
	s_waitcnt lgkmcnt(1)
	v_dot4c_i32_i8_e32 v82, v50, v158
	s_waitcnt lgkmcnt(0)
	v_dot4c_i32_i8_e32 v82, v51, v162
	v_dot4c_i32_i8_e32 v82, v54, v159
	;; [unrolled: 1-line block ×7, first 2 shown]
	s_nop 2
	v_cvt_f32_i32_e32 v82, v82
	v_fma_mix_f32 v82, v82, v166, v166 op_sel:[0,0,1] op_sel_hi:[0,1,1]
	v_add_f32_e32 v23, v23, v82
	v_mov_b32_e32 v82, 0
	v_dot4c_i32_i8_e32 v82, v52, v158
	v_dot4c_i32_i8_e32 v82, v53, v162
	;; [unrolled: 1-line block ×8, first 2 shown]
	v_pk_mul_f16 v166, v155, v83
	s_nop 1
	v_cvt_f32_i32_e32 v82, v82
	v_fma_mix_f32 v82, v82, v166, v166 op_sel:[0,0,1] op_sel_hi:[0,1,1]
	v_add_f32_e32 v21, v21, v82
	v_mov_b32_e32 v82, 0
	v_dot4c_i32_i8_e32 v82, v62, v158
	v_dot4c_i32_i8_e32 v82, v63, v162
	v_dot4c_i32_i8_e32 v82, v66, v159
	v_dot4c_i32_i8_e32 v82, v67, v163
	v_dot4c_i32_i8_e32 v82, v70, v160
	v_dot4c_i32_i8_e32 v82, v71, v164
	v_dot4c_i32_i8_e32 v82, v74, v161
	v_dot4c_i32_i8_e32 v82, v75, v165
	v_pk_mul_f16 v166, v156, v83
	v_pk_mul_f16 v83, v157, v83
	s_nop 0
	v_cvt_f32_i32_e32 v82, v82
	v_fma_mix_f32 v82, v82, v166, v166 op_sel:[0,0,1] op_sel_hi:[0,1,1]
	v_add_f32_e32 v19, v19, v82
	v_mov_b32_e32 v82, 0
	v_dot4c_i32_i8_e32 v82, v72, v158
	v_dot4c_i32_i8_e32 v82, v73, v162
	;; [unrolled: 1-line block ×8, first 2 shown]
	v_mov_b32_e32 v166, 0
	s_nop 1
	v_cvt_f32_i32_e32 v82, v82
	v_fma_mix_f32 v82, v82, v83, v83 op_sel:[0,0,1] op_sel_hi:[0,1,1]
	v_add_f32_e32 v17, v17, v82
	ds_read_b128 v[158:161], v148 offset:6144
	ds_read_b128 v[162:165], v148 offset:6160
	ds_read2_b32 v[82:83], v147 offset0:192 offset1:224
	v_add_u32_e32 v147, 4, v147
	s_waitcnt lgkmcnt(2)
	v_dot4c_i32_i8_e32 v166, v50, v158
	s_waitcnt lgkmcnt(1)
	v_dot4c_i32_i8_e32 v166, v51, v162
	v_dot4c_i32_i8_e32 v166, v54, v159
	;; [unrolled: 1-line block ×7, first 2 shown]
	s_waitcnt lgkmcnt(0)
	v_pk_mul_f16 v167, v154, v82
	s_nop 0
	v_cvt_f32_i32_e32 v166, v166
	v_fma_mix_f32 v166, v166, v167, v167 op_sel:[0,0,1] op_sel_hi:[0,1,1]
	v_add_f32_e32 v15, v15, v166
	v_mov_b32_e32 v166, 0
	v_dot4c_i32_i8_e32 v166, v52, v158
	v_dot4c_i32_i8_e32 v166, v53, v162
	;; [unrolled: 1-line block ×8, first 2 shown]
	v_pk_mul_f16 v167, v155, v82
	s_nop 1
	v_cvt_f32_i32_e32 v166, v166
	v_fma_mix_f32 v166, v166, v167, v167 op_sel:[0,0,1] op_sel_hi:[0,1,1]
	v_add_f32_e32 v13, v13, v166
	v_mov_b32_e32 v166, 0
	v_dot4c_i32_i8_e32 v166, v62, v158
	v_dot4c_i32_i8_e32 v166, v63, v162
	;; [unrolled: 1-line block ×8, first 2 shown]
	v_pk_mul_f16 v167, v156, v82
	v_pk_mul_f16 v82, v157, v82
	s_nop 0
	v_cvt_f32_i32_e32 v166, v166
	v_fma_mix_f32 v166, v166, v167, v167 op_sel:[0,0,1] op_sel_hi:[0,1,1]
	v_add_f32_e32 v11, v11, v166
	v_mov_b32_e32 v166, 0
	v_dot4c_i32_i8_e32 v166, v72, v158
	v_dot4c_i32_i8_e32 v166, v73, v162
	;; [unrolled: 1-line block ×8, first 2 shown]
	s_nop 2
	v_cvt_f32_i32_e32 v158, v166
	v_fma_mix_f32 v82, v158, v82, v82 op_sel:[0,0,1] op_sel_hi:[0,1,1]
	ds_read_b128 v[158:161], v148 offset:7168
	ds_read_b128 v[162:165], v148 offset:7184
	v_add_f32_e32 v9, v9, v82
	v_mov_b32_e32 v82, 0
	v_add_u32_e32 v148, 32, v148
	s_waitcnt lgkmcnt(1)
	v_dot4c_i32_i8_e32 v82, v50, v158
	s_waitcnt lgkmcnt(0)
	v_dot4c_i32_i8_e32 v82, v51, v162
	v_dot4c_i32_i8_e32 v82, v54, v159
	v_dot4c_i32_i8_e32 v82, v55, v163
	v_dot4c_i32_i8_e32 v82, v56, v160
	v_dot4c_i32_i8_e32 v82, v57, v164
	v_dot4c_i32_i8_e32 v82, v60, v161
	v_dot4c_i32_i8_e32 v82, v61, v165
	v_pk_mul_f16 v50, v154, v83
	s_nop 1
	v_cvt_f32_i32_e32 v51, v82
	v_fma_mix_f32 v50, v51, v50, v50 op_sel:[0,0,1] op_sel_hi:[0,1,1]
	v_add_f32_e32 v7, v7, v50
	v_mov_b32_e32 v50, 0
	v_dot4c_i32_i8_e32 v50, v52, v158
	v_dot4c_i32_i8_e32 v50, v53, v162
	v_dot4c_i32_i8_e32 v50, v58, v159
	v_dot4c_i32_i8_e32 v50, v59, v163
	v_dot4c_i32_i8_e32 v50, v64, v160
	v_dot4c_i32_i8_e32 v50, v65, v164
	v_dot4c_i32_i8_e32 v50, v68, v161
	v_dot4c_i32_i8_e32 v50, v69, v165
	v_pk_mul_f16 v51, v155, v83
	s_nop 1
	v_cvt_f32_i32_e32 v50, v50
	v_fma_mix_f32 v50, v50, v51, v51 op_sel:[0,0,1] op_sel_hi:[0,1,1]
	v_add_f32_e32 v5, v5, v50
	v_mov_b32_e32 v50, 0
	v_dot4c_i32_i8_e32 v50, v62, v158
	;; [unrolled: 14-line block ×3, first 2 shown]
	v_dot4c_i32_i8_e32 v50, v73, v162
	v_dot4c_i32_i8_e32 v50, v76, v159
	;; [unrolled: 1-line block ×7, first 2 shown]
	v_pk_mul_f16 v51, v157, v83
	s_nop 1
	v_cvt_f32_i32_e32 v50, v50
	v_fma_mix_f32 v50, v50, v51, v51 op_sel:[0,0,1] op_sel_hi:[0,1,1]
	v_add_f32_e32 v1, v1, v50
	s_cbranch_scc1 .LBB163_7
; %bb.8:                                ;   in Loop: Header=BB163_6 Depth=1
	s_or_b32 s0, s9, 4
	s_cmp_ge_i32 s0, s4
	s_barrier
	s_cbranch_scc1 .LBB163_5
; %bb.9:                                ;   in Loop: Header=BB163_6 Depth=1
	v_add_u32_e32 v64, s9, v130
	v_add_u32_e32 v50, v64, v113
	v_add_u32_e32 v52, v64, v115
	v_add_u32_e32 v54, v64, v117
	v_add_u32_e32 v56, v64, v119
	v_add_u32_e32 v58, v64, v121
	v_mad_i64_i32 v[50:51], s[0:1], v50, 36, v[46:47]
	v_mad_i64_i32 v[52:53], s[0:1], v52, 36, v[46:47]
	;; [unrolled: 1-line block ×5, first 2 shown]
	v_add_u32_e32 v60, v64, v123
	v_add_u32_e32 v62, v64, v125
	v_add_u32_e32 v64, v64, v127
	v_mad_i64_i32 v[60:61], s[0:1], v60, 36, v[46:47]
	v_mad_i64_i32 v[62:63], s[0:1], v62, 36, v[46:47]
	;; [unrolled: 1-line block ×3, first 2 shown]
	global_load_dword v66, v[50:51], off offset:4
	s_nop 0
	global_load_dword v52, v[52:53], off offset:4
	s_nop 0
	;; [unrolled: 2-line block ×3, first 2 shown]
	global_load_dword v54, v[56:57], off offset:4
	global_load_dword v55, v[58:59], off offset:4
                                        ; kill: killed $vgpr56_vgpr57
                                        ; kill: killed $vgpr58_vgpr59
	s_nop 0
	global_load_dword v56, v[60:61], off offset:4
	global_load_dword v57, v[62:63], off offset:4
	global_load_dword v58, v[64:65], off offset:4
	v_add_u32_e32 v50, 4, v146
	v_mad_u64_u32 v[50:51], s[0:1], v50, 36, s[2:3]
	global_load_dword v50, v[50:51], off
	s_mov_b32 s0, 12
	v_mov_b32_e32 v146, v136
	v_mov_b32_e32 v147, v135
	;; [unrolled: 1-line block ×7, first 2 shown]
	s_waitcnt vmcnt(8)
	ds_write_b32 v114, v66
	s_waitcnt vmcnt(7)
	ds_write_b32 v116, v52
	;; [unrolled: 2-line block ×9, first 2 shown]
	s_waitcnt lgkmcnt(0)
	s_barrier
.LBB163_10:                             ;   Parent Loop BB163_6 Depth=1
                                        ; =>  This Inner Loop Header: Depth=2
	ds_read_b128 v[158:161], v147
	ds_read_b128 v[162:165], v147 offset:16
	ds_read2_b32 v[82:83], v146 offset1:32
	ds_read_b32 v153, v149
	ds_read2_b32 v[50:51], v148 offset1:1
	ds_read2_b32 v[54:55], v148 offset0:2 offset1:3
	ds_read2_b32 v[56:57], v148 offset0:4 offset1:5
	;; [unrolled: 1-line block ×3, first 2 shown]
	v_mov_b32_e32 v52, 0
	s_waitcnt lgkmcnt(3)
	v_dot4c_i32_i8_e32 v52, v50, v158
	v_dot4c_i32_i8_e32 v52, v51, v162
	s_waitcnt lgkmcnt(2)
	v_dot4c_i32_i8_e32 v52, v54, v159
	v_dot4c_i32_i8_e32 v52, v55, v163
	;; [unrolled: 3-line block ×4, first 2 shown]
	v_pk_mul_f16 v53, v82, v153
	v_add_u32_e32 v58, 0x2088, v148
	v_add_u32_e32 v63, 0x2090, v148
	v_cvt_f32_i32_e32 v52, v52
	v_mov_b32_e32 v62, 0
	v_add_u32_e32 v66, 0x4108, v148
	v_add_u32_e32 v70, 0x4110, v148
	v_fma_mix_f32 v52, v53, v52, v53 op_sel:[0,0,1] op_sel_hi:[1,0,1]
	v_add_f32_e32 v87, v87, v52
	v_add_u32_e32 v52, 0x2080, v148
	ds_read_b32 v154, v150
	ds_read2_b32 v[52:53], v52 offset1:1
	ds_read2_b32 v[58:59], v58 offset1:1
	;; [unrolled: 1-line block ×3, first 2 shown]
	v_add_u32_e32 v63, 0x2098, v148
	ds_read2_b32 v[68:69], v63 offset1:1
	s_waitcnt lgkmcnt(3)
	v_dot4c_i32_i8_e32 v62, v52, v158
	v_dot4c_i32_i8_e32 v62, v53, v162
	s_waitcnt lgkmcnt(2)
	v_dot4c_i32_i8_e32 v62, v58, v159
	v_dot4c_i32_i8_e32 v62, v59, v163
	;; [unrolled: 3-line block ×4, first 2 shown]
	v_pk_mul_f16 v63, v82, v154
	v_mov_b32_e32 v72, 0
	v_add_u32_e32 v73, 0x4118, v148
	v_cvt_f32_i32_e32 v62, v62
	v_add_u32_e32 v76, 0x6188, v148
	v_add_u32_e32 v78, 0x6190, v148
	v_mov_b32_e32 v157, 0
	v_fma_mix_f32 v62, v63, v62, v63 op_sel:[0,0,1] op_sel_hi:[1,0,1]
	v_add_f32_e32 v108, v108, v62
	v_add_u32_e32 v62, 0x4100, v148
	ds_read_b32 v155, v151
	ds_read2_b32 v[62:63], v62 offset1:1
	ds_read2_b32 v[66:67], v66 offset1:1
	;; [unrolled: 1-line block ×4, first 2 shown]
	s_waitcnt lgkmcnt(4)
	v_pk_mul_f16 v73, v82, v155
	s_waitcnt lgkmcnt(3)
	v_dot4c_i32_i8_e32 v72, v62, v158
	v_dot4c_i32_i8_e32 v72, v63, v162
	s_waitcnt lgkmcnt(2)
	v_dot4c_i32_i8_e32 v72, v66, v159
	v_dot4c_i32_i8_e32 v72, v67, v163
	;; [unrolled: 3-line block ×4, first 2 shown]
	v_add_u32_e32 v80, 0x6198, v148
	s_add_i32 s0, s0, 4
	v_add_u32_e32 v151, 4, v151
	v_cvt_f32_i32_e32 v72, v72
	v_add_u32_e32 v150, 4, v150
	v_add_u32_e32 v149, 4, v149
	s_cmp_lt_u32 s0, 28
	v_fma_mix_f32 v72, v73, v72, v73 op_sel:[0,0,1] op_sel_hi:[1,0,1]
	v_add_f32_e32 v97, v97, v72
	v_add_u32_e32 v72, 0x6180, v148
	ds_read_b32 v156, v152
	ds_read2_b32 v[72:73], v72 offset1:1
	ds_read2_b32 v[76:77], v76 offset1:1
	;; [unrolled: 1-line block ×4, first 2 shown]
	s_waitcnt lgkmcnt(4)
	v_pk_mul_f16 v82, v82, v156
	s_waitcnt lgkmcnt(3)
	v_dot4c_i32_i8_e32 v157, v72, v158
	v_dot4c_i32_i8_e32 v157, v73, v162
	s_waitcnt lgkmcnt(2)
	v_dot4c_i32_i8_e32 v157, v76, v159
	v_dot4c_i32_i8_e32 v157, v77, v163
	;; [unrolled: 3-line block ×4, first 2 shown]
	ds_read_b128 v[158:161], v147 offset:1024
	ds_read_b128 v[162:165], v147 offset:1040
	v_add_u32_e32 v152, 4, v152
	v_cvt_f32_i32_e32 v157, v157
	v_add_u32_e32 v148, 32, v148
	v_fma_mix_f32 v82, v82, v157, v82 op_sel:[0,0,1] op_sel_hi:[1,0,1]
	v_add_f32_e32 v92, v92, v82
	v_mov_b32_e32 v82, 0
	s_waitcnt lgkmcnt(1)
	v_dot4c_i32_i8_e32 v82, v50, v158
	s_waitcnt lgkmcnt(0)
	v_dot4c_i32_i8_e32 v82, v51, v162
	v_dot4c_i32_i8_e32 v82, v54, v159
	;; [unrolled: 1-line block ×7, first 2 shown]
	v_pk_mul_f16 v157, v153, v83
	s_nop 1
	v_cvt_f32_i32_e32 v82, v82
	v_fma_mix_f32 v82, v82, v157, v157 op_sel:[0,0,1] op_sel_hi:[0,1,1]
	v_add_f32_e32 v91, v91, v82
	v_mov_b32_e32 v82, 0
	v_dot4c_i32_i8_e32 v82, v52, v158
	v_dot4c_i32_i8_e32 v82, v53, v162
	;; [unrolled: 1-line block ×8, first 2 shown]
	v_pk_mul_f16 v157, v154, v83
	s_nop 1
	v_cvt_f32_i32_e32 v82, v82
	v_fma_mix_f32 v82, v82, v157, v157 op_sel:[0,0,1] op_sel_hi:[0,1,1]
	v_add_f32_e32 v89, v89, v82
	v_mov_b32_e32 v82, 0
	v_dot4c_i32_i8_e32 v82, v62, v158
	v_dot4c_i32_i8_e32 v82, v63, v162
	v_dot4c_i32_i8_e32 v82, v66, v159
	v_dot4c_i32_i8_e32 v82, v67, v163
	v_dot4c_i32_i8_e32 v82, v70, v160
	v_dot4c_i32_i8_e32 v82, v71, v164
	v_dot4c_i32_i8_e32 v82, v74, v161
	v_dot4c_i32_i8_e32 v82, v75, v165
	v_pk_mul_f16 v157, v155, v83
	v_pk_mul_f16 v83, v156, v83
	s_nop 0
	v_cvt_f32_i32_e32 v82, v82
	v_fma_mix_f32 v82, v82, v157, v157 op_sel:[0,0,1] op_sel_hi:[0,1,1]
	v_add_f32_e32 v88, v88, v82
	v_mov_b32_e32 v82, 0
	v_dot4c_i32_i8_e32 v82, v72, v158
	v_dot4c_i32_i8_e32 v82, v73, v162
	;; [unrolled: 1-line block ×8, first 2 shown]
	v_mov_b32_e32 v157, 0
	s_nop 1
	v_cvt_f32_i32_e32 v82, v82
	v_fma_mix_f32 v82, v82, v83, v83 op_sel:[0,0,1] op_sel_hi:[0,1,1]
	v_add_f32_e32 v85, v85, v82
	ds_read_b128 v[158:161], v147 offset:2048
	ds_read_b128 v[162:165], v147 offset:2064
	ds_read2_b32 v[82:83], v146 offset0:64 offset1:96
	s_waitcnt lgkmcnt(2)
	v_dot4c_i32_i8_e32 v157, v50, v158
	s_waitcnt lgkmcnt(1)
	v_dot4c_i32_i8_e32 v157, v51, v162
	v_dot4c_i32_i8_e32 v157, v54, v159
	;; [unrolled: 1-line block ×7, first 2 shown]
	s_waitcnt lgkmcnt(0)
	v_pk_mul_f16 v166, v153, v82
	s_nop 0
	v_cvt_f32_i32_e32 v157, v157
	v_fma_mix_f32 v157, v157, v166, v166 op_sel:[0,0,1] op_sel_hi:[0,1,1]
	v_add_f32_e32 v49, v49, v157
	v_mov_b32_e32 v157, 0
	v_dot4c_i32_i8_e32 v157, v52, v158
	v_dot4c_i32_i8_e32 v157, v53, v162
	;; [unrolled: 1-line block ×8, first 2 shown]
	v_pk_mul_f16 v166, v154, v82
	s_nop 1
	v_cvt_f32_i32_e32 v157, v157
	v_fma_mix_f32 v157, v157, v166, v166 op_sel:[0,0,1] op_sel_hi:[0,1,1]
	v_add_f32_e32 v45, v45, v157
	v_mov_b32_e32 v157, 0
	v_dot4c_i32_i8_e32 v157, v62, v158
	v_dot4c_i32_i8_e32 v157, v63, v162
	;; [unrolled: 1-line block ×8, first 2 shown]
	v_pk_mul_f16 v166, v155, v82
	v_pk_mul_f16 v82, v156, v82
	s_nop 0
	v_cvt_f32_i32_e32 v157, v157
	v_fma_mix_f32 v157, v157, v166, v166 op_sel:[0,0,1] op_sel_hi:[0,1,1]
	v_add_f32_e32 v43, v43, v157
	v_mov_b32_e32 v157, 0
	v_dot4c_i32_i8_e32 v157, v72, v158
	v_dot4c_i32_i8_e32 v157, v73, v162
	;; [unrolled: 1-line block ×8, first 2 shown]
	ds_read_b128 v[158:161], v147 offset:3072
	ds_read_b128 v[162:165], v147 offset:3088
	s_nop 0
	v_cvt_f32_i32_e32 v157, v157
	v_fma_mix_f32 v82, v157, v82, v82 op_sel:[0,0,1] op_sel_hi:[0,1,1]
	v_add_f32_e32 v41, v41, v82
	v_mov_b32_e32 v82, 0
	s_waitcnt lgkmcnt(1)
	v_dot4c_i32_i8_e32 v82, v50, v158
	s_waitcnt lgkmcnt(0)
	v_dot4c_i32_i8_e32 v82, v51, v162
	v_dot4c_i32_i8_e32 v82, v54, v159
	;; [unrolled: 1-line block ×7, first 2 shown]
	v_pk_mul_f16 v157, v153, v83
	s_nop 1
	v_cvt_f32_i32_e32 v82, v82
	v_fma_mix_f32 v82, v82, v157, v157 op_sel:[0,0,1] op_sel_hi:[0,1,1]
	v_add_f32_e32 v39, v39, v82
	v_mov_b32_e32 v82, 0
	v_dot4c_i32_i8_e32 v82, v52, v158
	v_dot4c_i32_i8_e32 v82, v53, v162
	;; [unrolled: 1-line block ×8, first 2 shown]
	v_pk_mul_f16 v157, v154, v83
	s_nop 1
	v_cvt_f32_i32_e32 v82, v82
	v_fma_mix_f32 v82, v82, v157, v157 op_sel:[0,0,1] op_sel_hi:[0,1,1]
	v_add_f32_e32 v37, v37, v82
	v_mov_b32_e32 v82, 0
	v_dot4c_i32_i8_e32 v82, v62, v158
	v_dot4c_i32_i8_e32 v82, v63, v162
	v_dot4c_i32_i8_e32 v82, v66, v159
	v_dot4c_i32_i8_e32 v82, v67, v163
	v_dot4c_i32_i8_e32 v82, v70, v160
	v_dot4c_i32_i8_e32 v82, v71, v164
	v_dot4c_i32_i8_e32 v82, v74, v161
	v_dot4c_i32_i8_e32 v82, v75, v165
	v_pk_mul_f16 v157, v155, v83
	v_pk_mul_f16 v83, v156, v83
	s_nop 0
	v_cvt_f32_i32_e32 v82, v82
	v_fma_mix_f32 v82, v82, v157, v157 op_sel:[0,0,1] op_sel_hi:[0,1,1]
	v_add_f32_e32 v35, v35, v82
	v_mov_b32_e32 v82, 0
	v_dot4c_i32_i8_e32 v82, v72, v158
	v_dot4c_i32_i8_e32 v82, v73, v162
	;; [unrolled: 1-line block ×8, first 2 shown]
	v_mov_b32_e32 v157, 0
	s_nop 1
	v_cvt_f32_i32_e32 v82, v82
	v_fma_mix_f32 v82, v82, v83, v83 op_sel:[0,0,1] op_sel_hi:[0,1,1]
	v_add_f32_e32 v33, v33, v82
	ds_read_b128 v[158:161], v147 offset:4096
	ds_read_b128 v[162:165], v147 offset:4112
	ds_read2_b32 v[82:83], v146 offset0:128 offset1:160
	s_waitcnt lgkmcnt(2)
	v_dot4c_i32_i8_e32 v157, v50, v158
	s_waitcnt lgkmcnt(1)
	v_dot4c_i32_i8_e32 v157, v51, v162
	v_dot4c_i32_i8_e32 v157, v54, v159
	;; [unrolled: 1-line block ×7, first 2 shown]
	s_waitcnt lgkmcnt(0)
	v_pk_mul_f16 v166, v153, v82
	s_nop 0
	v_cvt_f32_i32_e32 v157, v157
	v_fma_mix_f32 v157, v157, v166, v166 op_sel:[0,0,1] op_sel_hi:[0,1,1]
	v_add_f32_e32 v31, v31, v157
	v_mov_b32_e32 v157, 0
	v_dot4c_i32_i8_e32 v157, v52, v158
	v_dot4c_i32_i8_e32 v157, v53, v162
	v_dot4c_i32_i8_e32 v157, v58, v159
	v_dot4c_i32_i8_e32 v157, v59, v163
	v_dot4c_i32_i8_e32 v157, v64, v160
	v_dot4c_i32_i8_e32 v157, v65, v164
	v_dot4c_i32_i8_e32 v157, v68, v161
	v_dot4c_i32_i8_e32 v157, v69, v165
	v_pk_mul_f16 v166, v154, v82
	s_nop 1
	v_cvt_f32_i32_e32 v157, v157
	v_fma_mix_f32 v157, v157, v166, v166 op_sel:[0,0,1] op_sel_hi:[0,1,1]
	v_add_f32_e32 v29, v29, v157
	v_mov_b32_e32 v157, 0
	v_dot4c_i32_i8_e32 v157, v62, v158
	v_dot4c_i32_i8_e32 v157, v63, v162
	;; [unrolled: 1-line block ×8, first 2 shown]
	v_pk_mul_f16 v166, v155, v82
	v_pk_mul_f16 v82, v156, v82
	s_nop 0
	v_cvt_f32_i32_e32 v157, v157
	v_fma_mix_f32 v157, v157, v166, v166 op_sel:[0,0,1] op_sel_hi:[0,1,1]
	v_add_f32_e32 v27, v27, v157
	v_mov_b32_e32 v157, 0
	v_dot4c_i32_i8_e32 v157, v72, v158
	v_dot4c_i32_i8_e32 v157, v73, v162
	;; [unrolled: 1-line block ×8, first 2 shown]
	ds_read_b128 v[158:161], v147 offset:5120
	ds_read_b128 v[162:165], v147 offset:5136
	s_nop 0
	v_cvt_f32_i32_e32 v157, v157
	v_fma_mix_f32 v82, v157, v82, v82 op_sel:[0,0,1] op_sel_hi:[0,1,1]
	v_add_f32_e32 v25, v25, v82
	v_mov_b32_e32 v82, 0
	s_waitcnt lgkmcnt(1)
	v_dot4c_i32_i8_e32 v82, v50, v158
	s_waitcnt lgkmcnt(0)
	v_dot4c_i32_i8_e32 v82, v51, v162
	v_dot4c_i32_i8_e32 v82, v54, v159
	;; [unrolled: 1-line block ×7, first 2 shown]
	v_pk_mul_f16 v157, v153, v83
	s_nop 1
	v_cvt_f32_i32_e32 v82, v82
	v_fma_mix_f32 v82, v82, v157, v157 op_sel:[0,0,1] op_sel_hi:[0,1,1]
	v_add_f32_e32 v23, v23, v82
	v_mov_b32_e32 v82, 0
	v_dot4c_i32_i8_e32 v82, v52, v158
	v_dot4c_i32_i8_e32 v82, v53, v162
	;; [unrolled: 1-line block ×8, first 2 shown]
	v_pk_mul_f16 v157, v154, v83
	s_nop 1
	v_cvt_f32_i32_e32 v82, v82
	v_fma_mix_f32 v82, v82, v157, v157 op_sel:[0,0,1] op_sel_hi:[0,1,1]
	v_add_f32_e32 v21, v21, v82
	v_mov_b32_e32 v82, 0
	v_dot4c_i32_i8_e32 v82, v62, v158
	v_dot4c_i32_i8_e32 v82, v63, v162
	;; [unrolled: 1-line block ×8, first 2 shown]
	v_pk_mul_f16 v157, v155, v83
	v_pk_mul_f16 v83, v156, v83
	s_nop 0
	v_cvt_f32_i32_e32 v82, v82
	v_fma_mix_f32 v82, v82, v157, v157 op_sel:[0,0,1] op_sel_hi:[0,1,1]
	v_add_f32_e32 v19, v19, v82
	v_mov_b32_e32 v82, 0
	v_dot4c_i32_i8_e32 v82, v72, v158
	v_dot4c_i32_i8_e32 v82, v73, v162
	v_dot4c_i32_i8_e32 v82, v76, v159
	v_dot4c_i32_i8_e32 v82, v77, v163
	v_dot4c_i32_i8_e32 v82, v78, v160
	v_dot4c_i32_i8_e32 v82, v79, v164
	v_dot4c_i32_i8_e32 v82, v80, v161
	v_dot4c_i32_i8_e32 v82, v81, v165
	v_mov_b32_e32 v157, 0
	s_nop 1
	v_cvt_f32_i32_e32 v82, v82
	v_fma_mix_f32 v82, v82, v83, v83 op_sel:[0,0,1] op_sel_hi:[0,1,1]
	v_add_f32_e32 v17, v17, v82
	ds_read_b128 v[158:161], v147 offset:6144
	ds_read_b128 v[162:165], v147 offset:6160
	ds_read2_b32 v[82:83], v146 offset0:192 offset1:224
	v_add_u32_e32 v146, 4, v146
	s_waitcnt lgkmcnt(2)
	v_dot4c_i32_i8_e32 v157, v50, v158
	s_waitcnt lgkmcnt(1)
	v_dot4c_i32_i8_e32 v157, v51, v162
	v_dot4c_i32_i8_e32 v157, v54, v159
	;; [unrolled: 1-line block ×7, first 2 shown]
	s_waitcnt lgkmcnt(0)
	v_pk_mul_f16 v166, v153, v82
	s_nop 0
	v_cvt_f32_i32_e32 v157, v157
	v_fma_mix_f32 v157, v157, v166, v166 op_sel:[0,0,1] op_sel_hi:[0,1,1]
	v_add_f32_e32 v15, v15, v157
	v_mov_b32_e32 v157, 0
	v_dot4c_i32_i8_e32 v157, v52, v158
	v_dot4c_i32_i8_e32 v157, v53, v162
	;; [unrolled: 1-line block ×8, first 2 shown]
	v_pk_mul_f16 v166, v154, v82
	s_nop 1
	v_cvt_f32_i32_e32 v157, v157
	v_fma_mix_f32 v157, v157, v166, v166 op_sel:[0,0,1] op_sel_hi:[0,1,1]
	v_add_f32_e32 v13, v13, v157
	v_mov_b32_e32 v157, 0
	v_dot4c_i32_i8_e32 v157, v62, v158
	v_dot4c_i32_i8_e32 v157, v63, v162
	;; [unrolled: 1-line block ×8, first 2 shown]
	v_pk_mul_f16 v166, v155, v82
	v_pk_mul_f16 v82, v156, v82
	s_nop 0
	v_cvt_f32_i32_e32 v157, v157
	v_fma_mix_f32 v157, v157, v166, v166 op_sel:[0,0,1] op_sel_hi:[0,1,1]
	v_add_f32_e32 v11, v11, v157
	v_mov_b32_e32 v157, 0
	v_dot4c_i32_i8_e32 v157, v72, v158
	v_dot4c_i32_i8_e32 v157, v73, v162
	;; [unrolled: 1-line block ×8, first 2 shown]
	ds_read_b128 v[158:161], v147 offset:7168
	ds_read_b128 v[162:165], v147 offset:7184
	v_add_u32_e32 v147, 32, v147
	v_cvt_f32_i32_e32 v157, v157
	v_fma_mix_f32 v82, v157, v82, v82 op_sel:[0,0,1] op_sel_hi:[0,1,1]
	v_add_f32_e32 v9, v9, v82
	v_mov_b32_e32 v82, 0
	s_waitcnt lgkmcnt(1)
	v_dot4c_i32_i8_e32 v82, v50, v158
	s_waitcnt lgkmcnt(0)
	v_dot4c_i32_i8_e32 v82, v51, v162
	v_dot4c_i32_i8_e32 v82, v54, v159
	v_dot4c_i32_i8_e32 v82, v55, v163
	v_dot4c_i32_i8_e32 v82, v56, v160
	v_dot4c_i32_i8_e32 v82, v57, v164
	v_dot4c_i32_i8_e32 v82, v60, v161
	v_dot4c_i32_i8_e32 v82, v61, v165
	v_pk_mul_f16 v50, v153, v83
	s_nop 1
	v_cvt_f32_i32_e32 v51, v82
	v_fma_mix_f32 v50, v51, v50, v50 op_sel:[0,0,1] op_sel_hi:[0,1,1]
	v_add_f32_e32 v7, v7, v50
	v_mov_b32_e32 v50, 0
	v_dot4c_i32_i8_e32 v50, v52, v158
	v_dot4c_i32_i8_e32 v50, v53, v162
	v_dot4c_i32_i8_e32 v50, v58, v159
	v_dot4c_i32_i8_e32 v50, v59, v163
	v_dot4c_i32_i8_e32 v50, v64, v160
	v_dot4c_i32_i8_e32 v50, v65, v164
	v_dot4c_i32_i8_e32 v50, v68, v161
	v_dot4c_i32_i8_e32 v50, v69, v165
	v_pk_mul_f16 v51, v154, v83
	s_nop 1
	v_cvt_f32_i32_e32 v50, v50
	v_fma_mix_f32 v50, v50, v51, v51 op_sel:[0,0,1] op_sel_hi:[0,1,1]
	v_add_f32_e32 v5, v5, v50
	v_mov_b32_e32 v50, 0
	v_dot4c_i32_i8_e32 v50, v62, v158
	v_dot4c_i32_i8_e32 v50, v63, v162
	v_dot4c_i32_i8_e32 v50, v66, v159
	v_dot4c_i32_i8_e32 v50, v67, v163
	v_dot4c_i32_i8_e32 v50, v70, v160
	v_dot4c_i32_i8_e32 v50, v71, v164
	v_dot4c_i32_i8_e32 v50, v74, v161
	v_dot4c_i32_i8_e32 v50, v75, v165
	v_pk_mul_f16 v51, v155, v83
	s_nop 1
	v_cvt_f32_i32_e32 v50, v50
	v_fma_mix_f32 v50, v50, v51, v51 op_sel:[0,0,1] op_sel_hi:[0,1,1]
	v_add_f32_e32 v3, v3, v50
	v_mov_b32_e32 v50, 0
	v_dot4c_i32_i8_e32 v50, v72, v158
	v_dot4c_i32_i8_e32 v50, v73, v162
	v_dot4c_i32_i8_e32 v50, v76, v159
	v_dot4c_i32_i8_e32 v50, v77, v163
	v_dot4c_i32_i8_e32 v50, v78, v160
	v_dot4c_i32_i8_e32 v50, v79, v164
	v_dot4c_i32_i8_e32 v50, v80, v161
	v_dot4c_i32_i8_e32 v50, v81, v165
	v_pk_mul_f16 v51, v156, v83
	s_nop 1
	v_cvt_f32_i32_e32 v50, v50
	v_fma_mix_f32 v50, v50, v51, v51 op_sel:[0,0,1] op_sel_hi:[0,1,1]
	v_add_f32_e32 v1, v1, v50
	s_cbranch_scc1 .LBB163_10
; %bb.11:                               ;   in Loop: Header=BB163_6 Depth=1
	s_barrier
	s_branch .LBB163_5
.LBB163_12:
	v_mov_b32_e32 v2, v86
.LBB163_13:
	v_cmp_gt_u32_e32 vcc, s8, v90
	s_and_saveexec_b64 s[0:1], vcc
	s_cbranch_execz .LBB163_64
; %bb.14:
	v_add_u32_e32 v0, s6, v84
	v_mul_lo_u32 v10, v90, s10
	v_cmp_gt_u32_e32 vcc, s10, v0
	s_and_saveexec_b64 s[2:3], vcc
	s_cbranch_execz .LBB163_16
; %bb.15:
	v_bfe_u32 v4, v87, 16, 1
	s_movk_i32 s0, 0x7fff
	v_add3_u32 v4, v87, v4, s0
	v_add_u32_e32 v46, v0, v10
	v_mov_b32_e32 v47, 0
	v_lshrrev_b32_e32 v4, 16, v4
	v_mov_b32_e32 v6, 0x7fc0
	v_cmp_o_f32_e64 s[0:1], v87, v87
	v_lshlrev_b64 v[46:47], 1, v[46:47]
	v_cndmask_b32_e64 v4, v6, v4, s[0:1]
	s_waitcnt lgkmcnt(0)
	v_mov_b32_e32 v6, s13
	v_add_co_u32_e64 v46, s[0:1], s12, v46
	v_addc_co_u32_e64 v47, s[0:1], v6, v47, s[0:1]
	global_store_short v[46:47], v4, off
.LBB163_16:
	s_or_b64 exec, exec, s[2:3]
	v_add_u32_e32 v4, 32, v0
	v_cmp_gt_u32_e64 s[0:1], s10, v4
	s_and_saveexec_b64 s[4:5], s[0:1]
	s_cbranch_execz .LBB163_18
; %bb.17:
	v_bfe_u32 v6, v108, 16, 1
	s_movk_i32 s2, 0x7fff
	v_add3_u32 v6, v108, v6, s2
	v_add_u32_e32 v46, v4, v10
	v_mov_b32_e32 v47, 0
	v_lshrrev_b32_e32 v6, 16, v6
	v_mov_b32_e32 v8, 0x7fc0
	v_cmp_o_f32_e64 s[2:3], v108, v108
	v_lshlrev_b64 v[46:47], 1, v[46:47]
	v_cndmask_b32_e64 v6, v8, v6, s[2:3]
	s_waitcnt lgkmcnt(0)
	v_mov_b32_e32 v8, s13
	v_add_co_u32_e64 v46, s[2:3], s12, v46
	v_addc_co_u32_e64 v47, s[2:3], v8, v47, s[2:3]
	global_store_short v[46:47], v6, off
.LBB163_18:
	s_or_b64 exec, exec, s[4:5]
	v_add_u32_e32 v6, 64, v0
	v_cmp_gt_u32_e64 s[2:3], s10, v6
	s_and_saveexec_b64 s[6:7], s[2:3]
	;; [unrolled: 22-line block ×3, first 2 shown]
	s_cbranch_execz .LBB163_22
; %bb.21:
	v_bfe_u32 v12, v92, 16, 1
	s_movk_i32 s6, 0x7fff
	v_add3_u32 v12, v92, v12, s6
	v_add_u32_e32 v46, v8, v10
	v_mov_b32_e32 v47, 0
	v_lshrrev_b32_e32 v12, 16, v12
	v_mov_b32_e32 v14, 0x7fc0
	v_cmp_o_f32_e64 s[6:7], v92, v92
	v_lshlrev_b64 v[46:47], 1, v[46:47]
	v_cndmask_b32_e64 v12, v14, v12, s[6:7]
	s_waitcnt lgkmcnt(0)
	v_mov_b32_e32 v10, s13
	v_add_co_u32_e64 v46, s[6:7], s12, v46
	v_addc_co_u32_e64 v47, s[6:7], v10, v47, s[6:7]
	global_store_short v[46:47], v12, off
.LBB163_22:
	s_or_b64 exec, exec, s[14:15]
	v_add3_u32 v10, v2, s11, 8
	v_cmp_gt_u32_e64 s[6:7], s8, v10
	s_and_b64 exec, exec, s[6:7]
	s_cbranch_execz .LBB163_64
; %bb.23:
	v_mul_lo_u32 v10, v10, s10
	s_and_saveexec_b64 s[14:15], vcc
	s_cbranch_execnz .LBB163_65
; %bb.24:
	s_or_b64 exec, exec, s[14:15]
	s_and_saveexec_b64 s[14:15], s[0:1]
	s_cbranch_execnz .LBB163_66
.LBB163_25:
	s_or_b64 exec, exec, s[14:15]
	s_and_saveexec_b64 s[14:15], s[2:3]
	s_cbranch_execnz .LBB163_67
.LBB163_26:
	s_or_b64 exec, exec, s[14:15]
	s_and_saveexec_b64 s[14:15], s[4:5]
	s_cbranch_execz .LBB163_28
.LBB163_27:
	v_bfe_u32 v12, v85, 16, 1
	s_movk_i32 s6, 0x7fff
	v_add3_u32 v12, v85, v12, s6
	v_add_u32_e32 v46, v10, v8
	v_mov_b32_e32 v47, 0
	v_lshrrev_b32_e32 v12, 16, v12
	v_mov_b32_e32 v14, 0x7fc0
	v_cmp_o_f32_e64 s[6:7], v85, v85
	v_lshlrev_b64 v[46:47], 1, v[46:47]
	v_cndmask_b32_e64 v12, v14, v12, s[6:7]
	s_waitcnt lgkmcnt(0)
	v_mov_b32_e32 v10, s13
	v_add_co_u32_e64 v46, s[6:7], s12, v46
	v_addc_co_u32_e64 v47, s[6:7], v10, v47, s[6:7]
	global_store_short v[46:47], v12, off
.LBB163_28:
	s_or_b64 exec, exec, s[14:15]
	v_add3_u32 v10, v2, s11, 16
	v_cmp_gt_u32_e64 s[6:7], s8, v10
	s_and_b64 exec, exec, s[6:7]
	s_cbranch_execz .LBB163_64
; %bb.29:
	v_mul_lo_u32 v10, v10, s10
	s_and_saveexec_b64 s[14:15], vcc
	s_cbranch_execnz .LBB163_68
; %bb.30:
	s_or_b64 exec, exec, s[14:15]
	s_and_saveexec_b64 s[14:15], s[0:1]
	s_cbranch_execnz .LBB163_69
.LBB163_31:
	s_or_b64 exec, exec, s[14:15]
	s_and_saveexec_b64 s[14:15], s[2:3]
	s_cbranch_execnz .LBB163_70
.LBB163_32:
	s_or_b64 exec, exec, s[14:15]
	s_and_saveexec_b64 s[14:15], s[4:5]
	s_cbranch_execz .LBB163_34
.LBB163_33:
	v_bfe_u32 v12, v41, 16, 1
	s_movk_i32 s6, 0x7fff
	v_add3_u32 v12, v41, v12, s6
	v_cmp_o_f32_e64 s[6:7], v41, v41
	v_add_u32_e32 v40, v10, v8
	v_mov_b32_e32 v41, 0
	v_lshrrev_b32_e32 v12, 16, v12
	v_mov_b32_e32 v14, 0x7fc0
	v_lshlrev_b64 v[40:41], 1, v[40:41]
	v_cndmask_b32_e64 v12, v14, v12, s[6:7]
	s_waitcnt lgkmcnt(0)
	v_mov_b32_e32 v10, s13
	v_add_co_u32_e64 v40, s[6:7], s12, v40
	v_addc_co_u32_e64 v41, s[6:7], v10, v41, s[6:7]
	global_store_short v[40:41], v12, off
.LBB163_34:
	s_or_b64 exec, exec, s[14:15]
	v_add3_u32 v10, v2, s11, 24
	v_cmp_gt_u32_e64 s[6:7], s8, v10
	s_and_b64 exec, exec, s[6:7]
	s_cbranch_execz .LBB163_64
; %bb.35:
	v_mul_lo_u32 v10, v10, s10
	s_and_saveexec_b64 s[14:15], vcc
	s_cbranch_execnz .LBB163_71
; %bb.36:
	s_or_b64 exec, exec, s[14:15]
	s_and_saveexec_b64 s[14:15], s[0:1]
	s_cbranch_execnz .LBB163_72
.LBB163_37:
	s_or_b64 exec, exec, s[14:15]
	s_and_saveexec_b64 s[14:15], s[2:3]
	s_cbranch_execnz .LBB163_73
.LBB163_38:
	s_or_b64 exec, exec, s[14:15]
	s_and_saveexec_b64 s[14:15], s[4:5]
	s_cbranch_execz .LBB163_40
.LBB163_39:
	v_bfe_u32 v12, v33, 16, 1
	s_movk_i32 s6, 0x7fff
	v_add3_u32 v12, v33, v12, s6
	v_cmp_o_f32_e64 s[6:7], v33, v33
	v_add_u32_e32 v32, v10, v8
	v_mov_b32_e32 v33, 0
	v_lshrrev_b32_e32 v12, 16, v12
	v_mov_b32_e32 v14, 0x7fc0
	v_lshlrev_b64 v[32:33], 1, v[32:33]
	v_cndmask_b32_e64 v12, v14, v12, s[6:7]
	s_waitcnt lgkmcnt(0)
	v_mov_b32_e32 v10, s13
	v_add_co_u32_e64 v32, s[6:7], s12, v32
	v_addc_co_u32_e64 v33, s[6:7], v10, v33, s[6:7]
	global_store_short v[32:33], v12, off
.LBB163_40:
	s_or_b64 exec, exec, s[14:15]
	v_add3_u32 v10, v2, s11, 32
	v_cmp_gt_u32_e64 s[6:7], s8, v10
	s_and_b64 exec, exec, s[6:7]
	s_cbranch_execz .LBB163_64
; %bb.41:
	v_mul_lo_u32 v10, v10, s10
	s_and_saveexec_b64 s[14:15], vcc
	s_cbranch_execnz .LBB163_74
; %bb.42:
	s_or_b64 exec, exec, s[14:15]
	s_and_saveexec_b64 s[14:15], s[0:1]
	s_cbranch_execnz .LBB163_75
.LBB163_43:
	s_or_b64 exec, exec, s[14:15]
	s_and_saveexec_b64 s[14:15], s[2:3]
	s_cbranch_execnz .LBB163_76
.LBB163_44:
	s_or_b64 exec, exec, s[14:15]
	s_and_saveexec_b64 s[14:15], s[4:5]
	s_cbranch_execz .LBB163_46
.LBB163_45:
	v_bfe_u32 v12, v25, 16, 1
	s_movk_i32 s6, 0x7fff
	v_add3_u32 v12, v25, v12, s6
	v_cmp_o_f32_e64 s[6:7], v25, v25
	v_add_u32_e32 v24, v10, v8
	v_mov_b32_e32 v25, 0
	v_lshrrev_b32_e32 v12, 16, v12
	v_mov_b32_e32 v14, 0x7fc0
	v_lshlrev_b64 v[24:25], 1, v[24:25]
	v_cndmask_b32_e64 v12, v14, v12, s[6:7]
	s_waitcnt lgkmcnt(0)
	v_mov_b32_e32 v10, s13
	v_add_co_u32_e64 v24, s[6:7], s12, v24
	v_addc_co_u32_e64 v25, s[6:7], v10, v25, s[6:7]
	global_store_short v[24:25], v12, off
.LBB163_46:
	s_or_b64 exec, exec, s[14:15]
	v_add3_u32 v10, v2, s11, 40
	v_cmp_gt_u32_e64 s[6:7], s8, v10
	s_and_b64 exec, exec, s[6:7]
	s_cbranch_execz .LBB163_64
; %bb.47:
	v_mul_lo_u32 v10, v10, s10
	s_and_saveexec_b64 s[14:15], vcc
	s_cbranch_execnz .LBB163_77
; %bb.48:
	s_or_b64 exec, exec, s[14:15]
	s_and_saveexec_b64 s[14:15], s[0:1]
	s_cbranch_execnz .LBB163_78
.LBB163_49:
	s_or_b64 exec, exec, s[14:15]
	s_and_saveexec_b64 s[14:15], s[2:3]
	s_cbranch_execnz .LBB163_79
.LBB163_50:
	s_or_b64 exec, exec, s[14:15]
	s_and_saveexec_b64 s[14:15], s[4:5]
	s_cbranch_execz .LBB163_52
.LBB163_51:
	v_bfe_u32 v12, v17, 16, 1
	s_movk_i32 s6, 0x7fff
	v_add3_u32 v12, v17, v12, s6
	v_cmp_o_f32_e64 s[6:7], v17, v17
	v_add_u32_e32 v16, v10, v8
	v_mov_b32_e32 v17, 0
	v_lshrrev_b32_e32 v12, 16, v12
	v_mov_b32_e32 v14, 0x7fc0
	v_lshlrev_b64 v[16:17], 1, v[16:17]
	v_cndmask_b32_e64 v12, v14, v12, s[6:7]
	s_waitcnt lgkmcnt(0)
	v_mov_b32_e32 v10, s13
	v_add_co_u32_e64 v16, s[6:7], s12, v16
	v_addc_co_u32_e64 v17, s[6:7], v10, v17, s[6:7]
	global_store_short v[16:17], v12, off
.LBB163_52:
	s_or_b64 exec, exec, s[14:15]
	v_add3_u32 v10, v2, s11, 48
	v_cmp_gt_u32_e64 s[6:7], s8, v10
	s_and_b64 exec, exec, s[6:7]
	s_cbranch_execz .LBB163_64
; %bb.53:
	v_mul_lo_u32 v10, v10, s10
	s_and_saveexec_b64 s[14:15], vcc
	s_cbranch_execnz .LBB163_80
; %bb.54:
	s_or_b64 exec, exec, s[14:15]
	s_and_saveexec_b64 s[14:15], s[0:1]
	s_cbranch_execnz .LBB163_81
.LBB163_55:
	s_or_b64 exec, exec, s[14:15]
	s_and_saveexec_b64 s[14:15], s[2:3]
	s_cbranch_execnz .LBB163_82
.LBB163_56:
	s_or_b64 exec, exec, s[14:15]
	s_and_saveexec_b64 s[14:15], s[4:5]
	s_cbranch_execz .LBB163_58
.LBB163_57:
	v_bfe_u32 v11, v9, 16, 1
	s_movk_i32 s6, 0x7fff
	v_add3_u32 v11, v9, v11, s6
	v_lshrrev_b32_e32 v11, 16, v11
	v_mov_b32_e32 v12, 0x7fc0
	v_cmp_o_f32_e64 s[6:7], v9, v9
	v_cndmask_b32_e64 v9, v12, v11, s[6:7]
	v_add_u32_e32 v10, v10, v8
	v_mov_b32_e32 v11, 0
	v_lshlrev_b64 v[10:11], 1, v[10:11]
	s_waitcnt lgkmcnt(0)
	v_mov_b32_e32 v12, s13
	v_add_co_u32_e64 v10, s[6:7], s12, v10
	v_addc_co_u32_e64 v11, s[6:7], v12, v11, s[6:7]
	global_store_short v[10:11], v9, off
.LBB163_58:
	s_or_b64 exec, exec, s[14:15]
	v_add3_u32 v2, v2, s11, 56
	v_cmp_gt_u32_e64 s[6:7], s8, v2
	s_and_b64 exec, exec, s[6:7]
	s_cbranch_execz .LBB163_64
; %bb.59:
	v_mul_lo_u32 v2, v2, s10
	s_and_saveexec_b64 s[6:7], vcc
	s_cbranch_execnz .LBB163_83
; %bb.60:
	s_or_b64 exec, exec, s[6:7]
	s_and_saveexec_b64 s[6:7], s[0:1]
	s_cbranch_execnz .LBB163_84
.LBB163_61:
	s_or_b64 exec, exec, s[6:7]
	s_and_saveexec_b64 s[0:1], s[2:3]
	s_cbranch_execnz .LBB163_85
.LBB163_62:
	s_or_b64 exec, exec, s[0:1]
	s_and_b64 exec, exec, s[4:5]
	s_cbranch_execz .LBB163_64
.LBB163_63:
	v_bfe_u32 v0, v1, 16, 1
	s_movk_i32 s0, 0x7fff
	v_add3_u32 v0, v1, v0, s0
	v_lshrrev_b32_e32 v0, 16, v0
	v_mov_b32_e32 v3, 0x7fc0
	v_cmp_o_f32_e32 vcc, v1, v1
	v_cndmask_b32_e32 v3, v3, v0, vcc
	v_add_u32_e32 v0, v2, v8
	v_mov_b32_e32 v1, 0
	v_lshlrev_b64 v[0:1], 1, v[0:1]
	s_waitcnt lgkmcnt(0)
	v_mov_b32_e32 v2, s13
	v_add_co_u32_e32 v0, vcc, s12, v0
	v_addc_co_u32_e32 v1, vcc, v2, v1, vcc
	global_store_short v[0:1], v3, off
.LBB163_64:
	s_endpgm
.LBB163_65:
	v_bfe_u32 v12, v91, 16, 1
	s_movk_i32 s6, 0x7fff
	v_add3_u32 v12, v91, v12, s6
	v_add_u32_e32 v46, v10, v0
	v_mov_b32_e32 v47, 0
	v_lshrrev_b32_e32 v12, 16, v12
	v_mov_b32_e32 v14, 0x7fc0
	v_cmp_o_f32_e64 s[6:7], v91, v91
	v_lshlrev_b64 v[46:47], 1, v[46:47]
	v_cndmask_b32_e64 v12, v14, v12, s[6:7]
	s_waitcnt lgkmcnt(0)
	v_mov_b32_e32 v14, s13
	v_add_co_u32_e64 v46, s[6:7], s12, v46
	v_addc_co_u32_e64 v47, s[6:7], v14, v47, s[6:7]
	global_store_short v[46:47], v12, off
	s_or_b64 exec, exec, s[14:15]
	s_and_saveexec_b64 s[14:15], s[0:1]
	s_cbranch_execz .LBB163_25
.LBB163_66:
	v_bfe_u32 v12, v89, 16, 1
	s_movk_i32 s6, 0x7fff
	v_add3_u32 v12, v89, v12, s6
	v_add_u32_e32 v46, v10, v4
	v_mov_b32_e32 v47, 0
	v_lshrrev_b32_e32 v12, 16, v12
	v_mov_b32_e32 v14, 0x7fc0
	v_cmp_o_f32_e64 s[6:7], v89, v89
	v_lshlrev_b64 v[46:47], 1, v[46:47]
	v_cndmask_b32_e64 v12, v14, v12, s[6:7]
	s_waitcnt lgkmcnt(0)
	v_mov_b32_e32 v14, s13
	v_add_co_u32_e64 v46, s[6:7], s12, v46
	v_addc_co_u32_e64 v47, s[6:7], v14, v47, s[6:7]
	global_store_short v[46:47], v12, off
	s_or_b64 exec, exec, s[14:15]
	s_and_saveexec_b64 s[14:15], s[2:3]
	s_cbranch_execz .LBB163_26
.LBB163_67:
	v_bfe_u32 v12, v88, 16, 1
	s_movk_i32 s6, 0x7fff
	v_add3_u32 v12, v88, v12, s6
	v_add_u32_e32 v46, v10, v6
	v_mov_b32_e32 v47, 0
	v_lshrrev_b32_e32 v12, 16, v12
	v_mov_b32_e32 v14, 0x7fc0
	v_cmp_o_f32_e64 s[6:7], v88, v88
	v_lshlrev_b64 v[46:47], 1, v[46:47]
	v_cndmask_b32_e64 v12, v14, v12, s[6:7]
	s_waitcnt lgkmcnt(0)
	v_mov_b32_e32 v14, s13
	v_add_co_u32_e64 v46, s[6:7], s12, v46
	v_addc_co_u32_e64 v47, s[6:7], v14, v47, s[6:7]
	global_store_short v[46:47], v12, off
	s_or_b64 exec, exec, s[14:15]
	s_and_saveexec_b64 s[14:15], s[4:5]
	s_cbranch_execnz .LBB163_27
	s_branch .LBB163_28
.LBB163_68:
	v_bfe_u32 v12, v49, 16, 1
	s_movk_i32 s6, 0x7fff
	v_add3_u32 v12, v49, v12, s6
	v_add_u32_e32 v46, v10, v0
	v_mov_b32_e32 v47, 0
	v_lshrrev_b32_e32 v12, 16, v12
	v_mov_b32_e32 v14, 0x7fc0
	v_cmp_o_f32_e64 s[6:7], v49, v49
	v_lshlrev_b64 v[46:47], 1, v[46:47]
	v_cndmask_b32_e64 v12, v14, v12, s[6:7]
	s_waitcnt lgkmcnt(0)
	v_mov_b32_e32 v14, s13
	v_add_co_u32_e64 v46, s[6:7], s12, v46
	v_addc_co_u32_e64 v47, s[6:7], v14, v47, s[6:7]
	global_store_short v[46:47], v12, off
	s_or_b64 exec, exec, s[14:15]
	s_and_saveexec_b64 s[14:15], s[0:1]
	s_cbranch_execz .LBB163_31
.LBB163_69:
	v_bfe_u32 v12, v45, 16, 1
	s_movk_i32 s6, 0x7fff
	v_add3_u32 v12, v45, v12, s6
	v_cmp_o_f32_e64 s[6:7], v45, v45
	v_add_u32_e32 v44, v10, v4
	v_mov_b32_e32 v45, 0
	v_lshrrev_b32_e32 v12, 16, v12
	v_mov_b32_e32 v14, 0x7fc0
	v_lshlrev_b64 v[44:45], 1, v[44:45]
	v_cndmask_b32_e64 v12, v14, v12, s[6:7]
	s_waitcnt lgkmcnt(0)
	v_mov_b32_e32 v14, s13
	v_add_co_u32_e64 v44, s[6:7], s12, v44
	v_addc_co_u32_e64 v45, s[6:7], v14, v45, s[6:7]
	global_store_short v[44:45], v12, off
	s_or_b64 exec, exec, s[14:15]
	s_and_saveexec_b64 s[14:15], s[2:3]
	s_cbranch_execz .LBB163_32
.LBB163_70:
	v_bfe_u32 v12, v43, 16, 1
	s_movk_i32 s6, 0x7fff
	v_add3_u32 v12, v43, v12, s6
	v_cmp_o_f32_e64 s[6:7], v43, v43
	v_add_u32_e32 v42, v10, v6
	v_mov_b32_e32 v43, 0
	v_lshrrev_b32_e32 v12, 16, v12
	v_mov_b32_e32 v14, 0x7fc0
	v_lshlrev_b64 v[42:43], 1, v[42:43]
	v_cndmask_b32_e64 v12, v14, v12, s[6:7]
	s_waitcnt lgkmcnt(0)
	v_mov_b32_e32 v14, s13
	v_add_co_u32_e64 v42, s[6:7], s12, v42
	v_addc_co_u32_e64 v43, s[6:7], v14, v43, s[6:7]
	global_store_short v[42:43], v12, off
	s_or_b64 exec, exec, s[14:15]
	s_and_saveexec_b64 s[14:15], s[4:5]
	s_cbranch_execnz .LBB163_33
	s_branch .LBB163_34
.LBB163_71:
	v_bfe_u32 v12, v39, 16, 1
	s_movk_i32 s6, 0x7fff
	v_add3_u32 v12, v39, v12, s6
	v_cmp_o_f32_e64 s[6:7], v39, v39
	v_add_u32_e32 v38, v10, v0
	v_mov_b32_e32 v39, 0
	v_lshrrev_b32_e32 v12, 16, v12
	v_mov_b32_e32 v14, 0x7fc0
	v_lshlrev_b64 v[38:39], 1, v[38:39]
	v_cndmask_b32_e64 v12, v14, v12, s[6:7]
	s_waitcnt lgkmcnt(0)
	v_mov_b32_e32 v14, s13
	v_add_co_u32_e64 v38, s[6:7], s12, v38
	v_addc_co_u32_e64 v39, s[6:7], v14, v39, s[6:7]
	global_store_short v[38:39], v12, off
	s_or_b64 exec, exec, s[14:15]
	s_and_saveexec_b64 s[14:15], s[0:1]
	s_cbranch_execz .LBB163_37
.LBB163_72:
	v_bfe_u32 v12, v37, 16, 1
	s_movk_i32 s6, 0x7fff
	v_add3_u32 v12, v37, v12, s6
	v_cmp_o_f32_e64 s[6:7], v37, v37
	v_add_u32_e32 v36, v10, v4
	v_mov_b32_e32 v37, 0
	v_lshrrev_b32_e32 v12, 16, v12
	v_mov_b32_e32 v14, 0x7fc0
	v_lshlrev_b64 v[36:37], 1, v[36:37]
	v_cndmask_b32_e64 v12, v14, v12, s[6:7]
	s_waitcnt lgkmcnt(0)
	v_mov_b32_e32 v14, s13
	v_add_co_u32_e64 v36, s[6:7], s12, v36
	v_addc_co_u32_e64 v37, s[6:7], v14, v37, s[6:7]
	global_store_short v[36:37], v12, off
	s_or_b64 exec, exec, s[14:15]
	s_and_saveexec_b64 s[14:15], s[2:3]
	s_cbranch_execz .LBB163_38
.LBB163_73:
	v_bfe_u32 v12, v35, 16, 1
	s_movk_i32 s6, 0x7fff
	v_add3_u32 v12, v35, v12, s6
	v_cmp_o_f32_e64 s[6:7], v35, v35
	v_add_u32_e32 v34, v10, v6
	v_mov_b32_e32 v35, 0
	v_lshrrev_b32_e32 v12, 16, v12
	v_mov_b32_e32 v14, 0x7fc0
	v_lshlrev_b64 v[34:35], 1, v[34:35]
	v_cndmask_b32_e64 v12, v14, v12, s[6:7]
	s_waitcnt lgkmcnt(0)
	v_mov_b32_e32 v14, s13
	v_add_co_u32_e64 v34, s[6:7], s12, v34
	v_addc_co_u32_e64 v35, s[6:7], v14, v35, s[6:7]
	global_store_short v[34:35], v12, off
	s_or_b64 exec, exec, s[14:15]
	s_and_saveexec_b64 s[14:15], s[4:5]
	s_cbranch_execnz .LBB163_39
	s_branch .LBB163_40
.LBB163_74:
	v_bfe_u32 v12, v31, 16, 1
	s_movk_i32 s6, 0x7fff
	v_add3_u32 v12, v31, v12, s6
	v_cmp_o_f32_e64 s[6:7], v31, v31
	v_add_u32_e32 v30, v10, v0
	v_mov_b32_e32 v31, 0
	v_lshrrev_b32_e32 v12, 16, v12
	v_mov_b32_e32 v14, 0x7fc0
	v_lshlrev_b64 v[30:31], 1, v[30:31]
	v_cndmask_b32_e64 v12, v14, v12, s[6:7]
	s_waitcnt lgkmcnt(0)
	v_mov_b32_e32 v14, s13
	v_add_co_u32_e64 v30, s[6:7], s12, v30
	v_addc_co_u32_e64 v31, s[6:7], v14, v31, s[6:7]
	global_store_short v[30:31], v12, off
	s_or_b64 exec, exec, s[14:15]
	s_and_saveexec_b64 s[14:15], s[0:1]
	s_cbranch_execz .LBB163_43
.LBB163_75:
	v_bfe_u32 v12, v29, 16, 1
	s_movk_i32 s6, 0x7fff
	v_add3_u32 v12, v29, v12, s6
	v_cmp_o_f32_e64 s[6:7], v29, v29
	v_add_u32_e32 v28, v10, v4
	v_mov_b32_e32 v29, 0
	v_lshrrev_b32_e32 v12, 16, v12
	v_mov_b32_e32 v14, 0x7fc0
	v_lshlrev_b64 v[28:29], 1, v[28:29]
	v_cndmask_b32_e64 v12, v14, v12, s[6:7]
	s_waitcnt lgkmcnt(0)
	v_mov_b32_e32 v14, s13
	v_add_co_u32_e64 v28, s[6:7], s12, v28
	v_addc_co_u32_e64 v29, s[6:7], v14, v29, s[6:7]
	global_store_short v[28:29], v12, off
	s_or_b64 exec, exec, s[14:15]
	s_and_saveexec_b64 s[14:15], s[2:3]
	s_cbranch_execz .LBB163_44
.LBB163_76:
	v_bfe_u32 v12, v27, 16, 1
	s_movk_i32 s6, 0x7fff
	v_add3_u32 v12, v27, v12, s6
	v_cmp_o_f32_e64 s[6:7], v27, v27
	v_add_u32_e32 v26, v10, v6
	v_mov_b32_e32 v27, 0
	v_lshrrev_b32_e32 v12, 16, v12
	v_mov_b32_e32 v14, 0x7fc0
	v_lshlrev_b64 v[26:27], 1, v[26:27]
	v_cndmask_b32_e64 v12, v14, v12, s[6:7]
	s_waitcnt lgkmcnt(0)
	v_mov_b32_e32 v14, s13
	v_add_co_u32_e64 v26, s[6:7], s12, v26
	v_addc_co_u32_e64 v27, s[6:7], v14, v27, s[6:7]
	global_store_short v[26:27], v12, off
	s_or_b64 exec, exec, s[14:15]
	s_and_saveexec_b64 s[14:15], s[4:5]
	s_cbranch_execnz .LBB163_45
	s_branch .LBB163_46
.LBB163_77:
	v_bfe_u32 v12, v23, 16, 1
	s_movk_i32 s6, 0x7fff
	v_add3_u32 v12, v23, v12, s6
	v_cmp_o_f32_e64 s[6:7], v23, v23
	v_add_u32_e32 v22, v10, v0
	v_mov_b32_e32 v23, 0
	v_lshrrev_b32_e32 v12, 16, v12
	v_mov_b32_e32 v14, 0x7fc0
	v_lshlrev_b64 v[22:23], 1, v[22:23]
	v_cndmask_b32_e64 v12, v14, v12, s[6:7]
	s_waitcnt lgkmcnt(0)
	v_mov_b32_e32 v14, s13
	v_add_co_u32_e64 v22, s[6:7], s12, v22
	v_addc_co_u32_e64 v23, s[6:7], v14, v23, s[6:7]
	global_store_short v[22:23], v12, off
	s_or_b64 exec, exec, s[14:15]
	s_and_saveexec_b64 s[14:15], s[0:1]
	s_cbranch_execz .LBB163_49
.LBB163_78:
	v_bfe_u32 v12, v21, 16, 1
	s_movk_i32 s6, 0x7fff
	v_add3_u32 v12, v21, v12, s6
	v_cmp_o_f32_e64 s[6:7], v21, v21
	v_add_u32_e32 v20, v10, v4
	v_mov_b32_e32 v21, 0
	v_lshrrev_b32_e32 v12, 16, v12
	v_mov_b32_e32 v14, 0x7fc0
	v_lshlrev_b64 v[20:21], 1, v[20:21]
	v_cndmask_b32_e64 v12, v14, v12, s[6:7]
	s_waitcnt lgkmcnt(0)
	v_mov_b32_e32 v14, s13
	v_add_co_u32_e64 v20, s[6:7], s12, v20
	v_addc_co_u32_e64 v21, s[6:7], v14, v21, s[6:7]
	global_store_short v[20:21], v12, off
	s_or_b64 exec, exec, s[14:15]
	s_and_saveexec_b64 s[14:15], s[2:3]
	s_cbranch_execz .LBB163_50
.LBB163_79:
	v_bfe_u32 v12, v19, 16, 1
	s_movk_i32 s6, 0x7fff
	v_add3_u32 v12, v19, v12, s6
	v_cmp_o_f32_e64 s[6:7], v19, v19
	v_add_u32_e32 v18, v10, v6
	v_mov_b32_e32 v19, 0
	v_lshrrev_b32_e32 v12, 16, v12
	v_mov_b32_e32 v14, 0x7fc0
	v_lshlrev_b64 v[18:19], 1, v[18:19]
	v_cndmask_b32_e64 v12, v14, v12, s[6:7]
	s_waitcnt lgkmcnt(0)
	v_mov_b32_e32 v14, s13
	v_add_co_u32_e64 v18, s[6:7], s12, v18
	v_addc_co_u32_e64 v19, s[6:7], v14, v19, s[6:7]
	global_store_short v[18:19], v12, off
	s_or_b64 exec, exec, s[14:15]
	s_and_saveexec_b64 s[14:15], s[4:5]
	s_cbranch_execnz .LBB163_51
	s_branch .LBB163_52
.LBB163_80:
	v_bfe_u32 v12, v15, 16, 1
	s_movk_i32 s6, 0x7fff
	v_add3_u32 v12, v15, v12, s6
	v_lshrrev_b32_e32 v12, 16, v12
	v_mov_b32_e32 v14, 0x7fc0
	v_cmp_o_f32_e64 s[6:7], v15, v15
	v_cndmask_b32_e64 v12, v14, v12, s[6:7]
	v_add_u32_e32 v14, v10, v0
	v_mov_b32_e32 v15, 0
	v_lshlrev_b64 v[14:15], 1, v[14:15]
	s_waitcnt lgkmcnt(0)
	v_mov_b32_e32 v16, s13
	v_add_co_u32_e64 v14, s[6:7], s12, v14
	v_addc_co_u32_e64 v15, s[6:7], v16, v15, s[6:7]
	global_store_short v[14:15], v12, off
	s_or_b64 exec, exec, s[14:15]
	s_and_saveexec_b64 s[14:15], s[0:1]
	s_cbranch_execz .LBB163_55
.LBB163_81:
	v_bfe_u32 v12, v13, 16, 1
	s_movk_i32 s6, 0x7fff
	v_add3_u32 v12, v13, v12, s6
	v_lshrrev_b32_e32 v12, 16, v12
	v_mov_b32_e32 v14, 0x7fc0
	v_cmp_o_f32_e64 s[6:7], v13, v13
	v_cndmask_b32_e64 v14, v14, v12, s[6:7]
	v_add_u32_e32 v12, v10, v4
	v_mov_b32_e32 v13, 0
	v_lshlrev_b64 v[12:13], 1, v[12:13]
	s_waitcnt lgkmcnt(0)
	v_mov_b32_e32 v15, s13
	v_add_co_u32_e64 v12, s[6:7], s12, v12
	v_addc_co_u32_e64 v13, s[6:7], v15, v13, s[6:7]
	global_store_short v[12:13], v14, off
	s_or_b64 exec, exec, s[14:15]
	s_and_saveexec_b64 s[14:15], s[2:3]
	s_cbranch_execz .LBB163_56
.LBB163_82:
	v_bfe_u32 v12, v11, 16, 1
	s_movk_i32 s6, 0x7fff
	v_add3_u32 v12, v11, v12, s6
	v_lshrrev_b32_e32 v12, 16, v12
	v_mov_b32_e32 v13, 0x7fc0
	v_cmp_o_f32_e64 s[6:7], v11, v11
	v_cndmask_b32_e64 v11, v13, v12, s[6:7]
	v_add_u32_e32 v12, v10, v6
	v_mov_b32_e32 v13, 0
	v_lshlrev_b64 v[12:13], 1, v[12:13]
	s_waitcnt lgkmcnt(0)
	v_mov_b32_e32 v14, s13
	v_add_co_u32_e64 v12, s[6:7], s12, v12
	v_addc_co_u32_e64 v13, s[6:7], v14, v13, s[6:7]
	global_store_short v[12:13], v11, off
	s_or_b64 exec, exec, s[14:15]
	s_and_saveexec_b64 s[14:15], s[4:5]
	s_cbranch_execnz .LBB163_57
	s_branch .LBB163_58
.LBB163_83:
	v_bfe_u32 v9, v7, 16, 1
	s_movk_i32 s8, 0x7fff
	v_add3_u32 v9, v7, v9, s8
	v_lshrrev_b32_e32 v9, 16, v9
	v_mov_b32_e32 v10, 0x7fc0
	v_cmp_o_f32_e32 vcc, v7, v7
	v_cndmask_b32_e32 v7, v10, v9, vcc
	v_add_u32_e32 v10, v2, v0
	v_mov_b32_e32 v11, 0
	v_lshlrev_b64 v[10:11], 1, v[10:11]
	s_waitcnt lgkmcnt(0)
	v_mov_b32_e32 v0, s13
	v_add_co_u32_e32 v10, vcc, s12, v10
	v_addc_co_u32_e32 v11, vcc, v0, v11, vcc
	global_store_short v[10:11], v7, off
	s_or_b64 exec, exec, s[6:7]
	s_and_saveexec_b64 s[6:7], s[0:1]
	s_cbranch_execz .LBB163_61
.LBB163_84:
	v_bfe_u32 v0, v5, 16, 1
	s_movk_i32 s0, 0x7fff
	v_add3_u32 v0, v5, v0, s0
	v_cmp_o_f32_e32 vcc, v5, v5
	v_add_u32_e32 v4, v2, v4
	v_mov_b32_e32 v5, 0
	v_lshrrev_b32_e32 v0, 16, v0
	v_mov_b32_e32 v7, 0x7fc0
	v_lshlrev_b64 v[4:5], 1, v[4:5]
	v_cndmask_b32_e32 v0, v7, v0, vcc
	s_waitcnt lgkmcnt(0)
	v_mov_b32_e32 v7, s13
	v_add_co_u32_e32 v4, vcc, s12, v4
	v_addc_co_u32_e32 v5, vcc, v7, v5, vcc
	global_store_short v[4:5], v0, off
	s_or_b64 exec, exec, s[6:7]
	s_and_saveexec_b64 s[0:1], s[2:3]
	s_cbranch_execz .LBB163_62
.LBB163_85:
	v_bfe_u32 v0, v3, 16, 1
	s_movk_i32 s2, 0x7fff
	v_add3_u32 v0, v3, v0, s2
	v_lshrrev_b32_e32 v0, 16, v0
	v_mov_b32_e32 v4, 0x7fc0
	v_cmp_o_f32_e32 vcc, v3, v3
	v_cndmask_b32_e32 v0, v4, v0, vcc
	v_add_u32_e32 v4, v2, v6
	v_mov_b32_e32 v5, 0
	v_lshlrev_b64 v[4:5], 1, v[4:5]
	s_waitcnt lgkmcnt(0)
	v_mov_b32_e32 v3, s13
	v_add_co_u32_e32 v4, vcc, s12, v4
	v_addc_co_u32_e32 v5, vcc, v3, v5, vcc
	global_store_short v[4:5], v0, off
	s_or_b64 exec, exec, s[0:1]
	s_and_b64 exec, exec, s[4:5]
	s_cbranch_execnz .LBB163_63
	s_branch .LBB163_64
	.section	.rodata,"a",@progbits
	.p2align	6, 0x0
	.amdhsa_kernel _ZL12mul_mat_q5_1IN3c108BFloat16ELb0EEvPKvS3_PT_iiiii
		.amdhsa_group_segment_fixed_size 46720
		.amdhsa_private_segment_fixed_size 0
		.amdhsa_kernarg_size 44
		.amdhsa_user_sgpr_count 6
		.amdhsa_user_sgpr_private_segment_buffer 1
		.amdhsa_user_sgpr_dispatch_ptr 0
		.amdhsa_user_sgpr_queue_ptr 0
		.amdhsa_user_sgpr_kernarg_segment_ptr 1
		.amdhsa_user_sgpr_dispatch_id 0
		.amdhsa_user_sgpr_flat_scratch_init 0
		.amdhsa_user_sgpr_kernarg_preload_length 0
		.amdhsa_user_sgpr_kernarg_preload_offset 0
		.amdhsa_user_sgpr_private_segment_size 0
		.amdhsa_uses_dynamic_stack 0
		.amdhsa_system_sgpr_private_segment_wavefront_offset 0
		.amdhsa_system_sgpr_workgroup_id_x 1
		.amdhsa_system_sgpr_workgroup_id_y 1
		.amdhsa_system_sgpr_workgroup_id_z 0
		.amdhsa_system_sgpr_workgroup_info 0
		.amdhsa_system_vgpr_workitem_id 1
		.amdhsa_next_free_vgpr 168
		.amdhsa_next_free_sgpr 17
		.amdhsa_accum_offset 168
		.amdhsa_reserve_vcc 1
		.amdhsa_reserve_flat_scratch 0
		.amdhsa_float_round_mode_32 0
		.amdhsa_float_round_mode_16_64 0
		.amdhsa_float_denorm_mode_32 3
		.amdhsa_float_denorm_mode_16_64 3
		.amdhsa_dx10_clamp 1
		.amdhsa_ieee_mode 1
		.amdhsa_fp16_overflow 0
		.amdhsa_tg_split 0
		.amdhsa_exception_fp_ieee_invalid_op 0
		.amdhsa_exception_fp_denorm_src 0
		.amdhsa_exception_fp_ieee_div_zero 0
		.amdhsa_exception_fp_ieee_overflow 0
		.amdhsa_exception_fp_ieee_underflow 0
		.amdhsa_exception_fp_ieee_inexact 0
		.amdhsa_exception_int_div_zero 0
	.end_amdhsa_kernel
	.section	.text._ZL12mul_mat_q5_1IN3c108BFloat16ELb0EEvPKvS3_PT_iiiii,"axG",@progbits,_ZL12mul_mat_q5_1IN3c108BFloat16ELb0EEvPKvS3_PT_iiiii,comdat
.Lfunc_end163:
	.size	_ZL12mul_mat_q5_1IN3c108BFloat16ELb0EEvPKvS3_PT_iiiii, .Lfunc_end163-_ZL12mul_mat_q5_1IN3c108BFloat16ELb0EEvPKvS3_PT_iiiii
                                        ; -- End function
	.section	.AMDGPU.csdata,"",@progbits
; Kernel info:
; codeLenInByte = 14480
; NumSgprs: 21
; NumVgprs: 168
; NumAgprs: 0
; TotalNumVgprs: 168
; ScratchSize: 0
; MemoryBound: 0
; FloatMode: 240
; IeeeMode: 1
; LDSByteSize: 46720 bytes/workgroup (compile time only)
; SGPRBlocks: 2
; VGPRBlocks: 20
; NumSGPRsForWavesPerEU: 21
; NumVGPRsForWavesPerEU: 168
; AccumOffset: 168
; Occupancy: 1
; WaveLimiterHint : 0
; COMPUTE_PGM_RSRC2:SCRATCH_EN: 0
; COMPUTE_PGM_RSRC2:USER_SGPR: 6
; COMPUTE_PGM_RSRC2:TRAP_HANDLER: 0
; COMPUTE_PGM_RSRC2:TGID_X_EN: 1
; COMPUTE_PGM_RSRC2:TGID_Y_EN: 1
; COMPUTE_PGM_RSRC2:TGID_Z_EN: 0
; COMPUTE_PGM_RSRC2:TIDIG_COMP_CNT: 1
; COMPUTE_PGM_RSRC3_GFX90A:ACCUM_OFFSET: 41
; COMPUTE_PGM_RSRC3_GFX90A:TG_SPLIT: 0
	.section	.text._ZL12mul_mat_q5_1IN3c108BFloat16ELb1EEvPKvS3_PT_iiiii,"axG",@progbits,_ZL12mul_mat_q5_1IN3c108BFloat16ELb1EEvPKvS3_PT_iiiii,comdat
	.globl	_ZL12mul_mat_q5_1IN3c108BFloat16ELb1EEvPKvS3_PT_iiiii ; -- Begin function _ZL12mul_mat_q5_1IN3c108BFloat16ELb1EEvPKvS3_PT_iiiii
	.p2align	8
	.type	_ZL12mul_mat_q5_1IN3c108BFloat16ELb1EEvPKvS3_PT_iiiii,@function
_ZL12mul_mat_q5_1IN3c108BFloat16ELb1EEvPKvS3_PT_iiiii: ; @_ZL12mul_mat_q5_1IN3c108BFloat16ELb1EEvPKvS3_PT_iiiii
; %bb.0:
	s_load_dwordx4 s[8:11], s[4:5], 0x18
	s_load_dword s14, s[4:5], 0x28
	s_lshl_b32 s15, s7, 6
	v_bfe_u32 v49, v0, 10, 10
	s_waitcnt lgkmcnt(0)
	s_cmp_gt_i32 s8, 31
	s_cbranch_scc1 .LBB164_2
; %bb.1:
	v_bfe_u32 v2, v0, 10, 10
	v_and_b32_e32 v45, 0x3ff, v0
	v_add_u32_e32 v61, s15, v2
	s_mov_b64 s[0:1], 0
	s_mov_b32 s2, 0
	s_branch .LBB164_3
.LBB164_2:
	s_mov_b64 s[0:1], -1
                                        ; implicit-def: $sgpr2
                                        ; implicit-def: $vgpr2
                                        ; implicit-def: $vgpr45
                                        ; implicit-def: $vgpr61
.LBB164_3:
	s_load_dwordx2 s[12:13], s[4:5], 0x10
	s_lshl_b32 s6, s6, 7
	s_andn2_b64 vcc, exec, s[0:1]
	v_mov_b32_e32 v1, s2
	v_mov_b32_e32 v9, s2
	;; [unrolled: 1-line block ×32, first 2 shown]
	s_cbranch_vccnz .LBB164_13
; %bb.4:
	s_load_dwordx4 s[0:3], s[4:5], 0x0
	s_ashr_i32 s4, s8, 31
	s_lshr_b32 s4, s4, 27
	s_ashr_i32 s5, s11, 31
	s_add_i32 s4, s8, s4
	s_lshr_b32 s5, s5, 27
	s_ashr_i32 s4, s4, 5
	s_add_i32 s5, s11, s5
	s_ashr_i32 s11, s5, 5
	s_mul_i32 s5, s4, s6
	s_mul_hi_i32 s7, s5, 24
	s_mul_i32 s5, s5, 24
	s_waitcnt lgkmcnt(0)
	s_add_u32 s5, s0, s5
	s_addc_u32 s7, s1, s7
	s_not_b32 s0, s6
	s_add_i32 s1, s0, s9
	v_and_b32_e32 v45, 0x3ff, v0
	v_min_i32_e32 v1, s1, v49
	v_lshlrev_b32_e32 v66, 3, v45
	s_movk_i32 s0, 0x104
	v_mul_lo_u32 v4, v1, s4
	v_mad_u64_u32 v[6:7], s[16:17], v1, s0, v[66:67]
	v_add_u32_e32 v1, 8, v49
	v_min_i32_e32 v3, s1, v1
	v_mul_lo_u32 v8, v3, s4
	v_mad_u64_u32 v[10:11], s[16:17], v3, s0, v[66:67]
	v_add_u32_e32 v3, 16, v49
	v_min_i32_e32 v5, s1, v3
	;; [unrolled: 4-line block ×15, first 2 shown]
	v_lshrrev_b32_e32 v69, 3, v45
	v_mul_lo_u32 v64, v15, s4
	v_mad_u64_u32 v[66:67], s[16:17], v15, s0, v[66:67]
	v_lshl_add_u32 v15, v49, 2, v69
	v_min_i32_e32 v17, s1, v15
	v_add_u32_e32 v23, 32, v15
	v_add_u32_e32 v27, 64, v15
	;; [unrolled: 1-line block ×3, first 2 shown]
	v_min_i32_e32 v23, s1, v23
	v_min_i32_e32 v27, s1, v27
	;; [unrolled: 1-line block ×3, first 2 shown]
	v_lshlrev_b32_e32 v33, 2, v45
	v_lshrrev_b32_e32 v0, 2, v45
	v_ashrrev_i32_e32 v19, 31, v17
	v_ashrrev_i32_e32 v25, 31, v23
	;; [unrolled: 1-line block ×4, first 2 shown]
	v_and_b32_e32 v33, 28, v33
	v_and_b32_e32 v80, 3, v45
	v_lshrrev_b32_e32 v19, 30, v19
	v_lshrrev_b32_e32 v25, 30, v25
	;; [unrolled: 1-line block ×4, first 2 shown]
	v_add_u32_e32 v61, s15, v49
	s_add_i32 s1, s10, -1
	v_add_co_u32_e32 v78, vcc, s2, v33
	v_lshl_add_u32 v33, v49, 3, v0
	v_lshlrev_b32_e32 v2, 2, v80
	v_and_b32_e32 v68, 7, v45
	v_add_u32_e32 v19, v17, v19
	v_add_u32_e32 v25, v23, v25
	;; [unrolled: 1-line block ×4, first 2 shown]
	v_cvt_f64_i32_e32 v[82:83], s1
	v_mov_b32_e32 v35, s3
	v_and_b32_e32 v33, 63, v33
	v_cvt_f64_u32_e32 v[84:85], v61
	v_and_b32_e32 v19, -4, v19
	v_lshlrev_b32_e32 v21, 2, v68
	s_mov_b32 s9, 0xa200
	v_and_b32_e32 v25, -4, v25
	v_and_b32_e32 v29, -4, v29
	;; [unrolled: 1-line block ×3, first 2 shown]
	v_addc_co_u32_e32 v79, vcc, 0, v35, vcc
	v_or_b32_e32 v35, s15, v33
	v_lshl_or_b32 v33, v33, 4, v2
	v_min_f64 v[84:85], v[84:85], v[82:83]
	v_add3_u32 v19, v19, v21, s9
	v_add3_u32 v25, v25, v21, s9
	;; [unrolled: 1-line block ×4, first 2 shown]
	v_and_b32_e32 v31, 31, v45
	v_add_u32_e32 v73, 0xb280, v33
	v_cvt_i32_f64_e32 v33, v[84:85]
	v_min_i32_e32 v35, s1, v35
	v_mul_lo_u32 v75, s11, v33
	v_lshlrev_b32_e32 v31, 2, v31
	v_lshlrev_b32_e32 v33, 7, v49
	v_mad_u64_u32 v[80:81], s[16:17], v35, s11, v[80:81]
	v_or_b32_e32 v35, v33, v31
	v_add_u32_e32 v77, 0x8200, v35
	v_add_u32_e32 v35, 8, v61
	v_cvt_f64_u32_e32 v[84:85], v35
	v_lshl_or_b32 v1, v1, 7, v31
	v_min_f64 v[84:85], v[84:85], v[82:83]
	v_add_u32_e32 v116, 0x8200, v1
	v_add_u32_e32 v1, 16, v61
	v_cvt_i32_f64_e32 v35, v[84:85]
	v_cvt_f64_u32_e32 v[84:85], v1
	v_min_f64 v[84:85], v[84:85], v[82:83]
	v_cvt_i32_f64_e32 v1, v[84:85]
	v_mul_lo_u32 v117, s11, v1
	v_lshl_or_b32 v1, v3, 7, v31
	v_add_u32_e32 v118, 0x8200, v1
	v_add_u32_e32 v1, 24, v61
	v_cvt_f64_u32_e32 v[84:85], v1
	v_min_f64 v[84:85], v[84:85], v[82:83]
	v_cvt_i32_f64_e32 v1, v[84:85]
	v_mul_lo_u32 v119, s11, v1
	v_lshl_or_b32 v1, v5, 7, v31
	v_add_u32_e32 v120, 0x8200, v1
	v_add_u32_e32 v1, 32, v61
	v_cvt_f64_u32_e32 v[84:85], v1
	v_min_f64 v[84:85], v[84:85], v[82:83]
	v_cvt_i32_f64_e32 v1, v[84:85]
	v_mul_lo_u32 v121, s11, v1
	v_lshl_or_b32 v1, v7, 7, v31
	v_add_u32_e32 v122, 0x8200, v1
	v_add_u32_e32 v1, 40, v61
	v_cvt_f64_u32_e32 v[84:85], v1
	v_min_f64 v[84:85], v[84:85], v[82:83]
	v_cvt_i32_f64_e32 v1, v[84:85]
	v_mul_lo_u32 v123, s11, v1
	v_lshl_or_b32 v1, v9, 7, v31
	v_add_u32_e32 v124, 0x8200, v1
	v_add_u32_e32 v1, 48, v61
	v_cvt_f64_u32_e32 v[84:85], v1
	v_min_f64 v[84:85], v[84:85], v[82:83]
	v_cvt_i32_f64_e32 v1, v[84:85]
	v_mul_lo_u32 v125, s11, v1
	v_lshl_or_b32 v1, v11, 7, v31
	v_add_u32_e32 v126, 0x8200, v1
	v_add_u32_e32 v1, 56, v61
	v_cvt_f64_u32_e32 v[84:85], v1
	v_min_f64 v[82:83], v[84:85], v[82:83]
	v_cvt_i32_f64_e32 v1, v[82:83]
	v_mul_lo_u32 v127, s11, v1
	v_lshl_or_b32 v1, v13, 7, v31
	v_add_u32_e32 v128, 0x8200, v1
	v_add_u32_e32 v1, 32, v45
	v_add_u32_e32 v3, 64, v45
	v_add_u32_e32 v5, 0x60, v45
	v_lshlrev_b32_e32 v7, 5, v45
	v_lshrrev_b32_e32 v130, 3, v1
	v_and_b32_e32 v1, 0x1fc, v1
	v_and_b32_e32 v5, 0x1fc, v5
	;; [unrolled: 1-line block ×3, first 2 shown]
	v_add_u32_e32 v1, v7, v1
	v_and_b32_e32 v9, 0xfc, v45
	v_mul_lo_u32 v70, v17, s4
	v_lshlrev_b32_e32 v17, 5, v17
	v_mul_lo_u32 v72, v23, s4
	v_lshlrev_b32_e32 v23, 5, v23
	;; [unrolled: 2-line block ×4, first 2 shown]
	v_add_u32_e32 v5, v7, v5
	v_add_u32_e32 v3, v7, v3
	;; [unrolled: 1-line block ×4, first 2 shown]
	v_mov_b32_e32 v9, 0xb280
	v_add_u32_e32 v139, 0xa610, v1
	v_mov_b32_e32 v1, 0x80
	s_mov_b32 s8, 0
	v_mov_b32_e32 v53, 0
	v_mul_lo_u32 v81, s11, v35
	v_mul_u32_u24_e32 v129, 0x104, v45
	v_add_u32_e32 v131, 0xae00, v5
	v_add_u32_e32 v132, 0xaa00, v3
	;; [unrolled: 1-line block ×4, first 2 shown]
	v_lshl_add_u32 v136, v49, 4, v9
	v_add_u32_e32 v137, 0xae10, v5
	v_add_u32_e32 v138, 0xaa10, v3
	;; [unrolled: 1-line block ×3, first 2 shown]
	v_mad_u32_u24 v141, v45, s0, v1
	v_add_u32_e32 v142, v19, v17
	v_add_u32_e32 v143, v25, v23
	;; [unrolled: 1-line block ×4, first 2 shown]
	v_mov_b32_e32 v63, 0
	v_mov_b32_e32 v51, 0
	;; [unrolled: 1-line block ×31, first 2 shown]
	s_branch .LBB164_6
.LBB164_5:                              ;   in Loop: Header=BB164_6 Depth=1
	s_add_i32 s8, s8, 8
	s_cmp_ge_i32 s8, s4
	s_cbranch_scc1 .LBB164_12
.LBB164_6:                              ; =>This Loop Header: Depth=1
                                        ;     Child Loop BB164_7 Depth 2
                                        ;     Child Loop BB164_10 Depth 2
	s_mul_i32 s0, s8, 24
	s_mul_hi_u32 s1, s8, 24
	s_add_u32 s0, s5, s0
	s_addc_u32 s1, s7, s1
	v_mad_u64_u32 v[82:83], s[16:17], v0, 24, s[0:1]
	v_mad_i64_i32 v[84:85], s[16:17], v4, 24, v[82:83]
	v_add_co_u32_e32 v86, vcc, v84, v2
	v_mad_i64_i32 v[92:93], s[16:17], v16, 24, v[82:83]
	v_addc_co_u32_e32 v87, vcc, 0, v85, vcc
	v_mad_i64_i32 v[88:89], s[16:17], v8, 24, v[82:83]
	v_mad_i64_i32 v[90:91], s[16:17], v12, 24, v[82:83]
	global_load_dword v100, v[92:93], off offset:4
	global_load_dword v101, v[90:91], off offset:4
	;; [unrolled: 1-line block ×4, first 2 shown]
                                        ; kill: killed $vgpr84 killed $vgpr85
	global_load_dword v104, v[86:87], off offset:8
	v_add_co_u32_e32 v84, vcc, v88, v2
	v_addc_co_u32_e32 v85, vcc, 0, v89, vcc
	global_load_dword v105, v[84:85], off offset:8
	v_add_co_u32_e32 v84, vcc, v90, v2
	v_addc_co_u32_e32 v85, vcc, 0, v91, vcc
	global_load_dword v106, v[84:85], off offset:8
	v_add_co_u32_e32 v84, vcc, v92, v2
	v_addc_co_u32_e32 v85, vcc, 0, v93, vcc
	global_load_dword v107, v[84:85], off offset:8
	v_mad_i64_i32 v[84:85], s[16:17], v20, 24, v[82:83]
	v_add_co_u32_e32 v92, vcc, v84, v2
	v_mad_i64_i32 v[86:87], s[16:17], v24, 24, v[82:83]
	v_addc_co_u32_e32 v93, vcc, 0, v85, vcc
	v_add_co_u32_e32 v94, vcc, v86, v2
	v_mad_i64_i32 v[88:89], s[16:17], v28, 24, v[82:83]
	v_addc_co_u32_e32 v95, vcc, 0, v87, vcc
	;; [unrolled: 3-line block ×3, first 2 shown]
	v_add_co_u32_e32 v98, vcc, v90, v2
	v_addc_co_u32_e32 v99, vcc, 0, v91, vcc
	global_load_dword v108, v[98:99], off offset:8
	global_load_dword v109, v[90:91], off offset:4
	;; [unrolled: 1-line block ×6, first 2 shown]
	v_add_u32_e32 v146, s8, v80
	v_mov_b32_e32 v147, v136
	v_mov_b32_e32 v148, v135
	v_mov_b32_e32 v149, v129
	v_mov_b32_e32 v150, v134
	v_mov_b32_e32 v151, v133
	v_mov_b32_e32 v152, v132
	v_mov_b32_e32 v153, v131
	s_waitcnt vmcnt(10)
	v_ashrrev_i32_e32 v86, v2, v103
	v_lshlrev_b32_e32 v89, 4, v86
	v_lshlrev_b32_e32 v90, 11, v86
	s_waitcnt vmcnt(9)
	v_and_b32_e32 v88, 0xf0f0f0f, v104
	v_and_b32_e32 v89, 16, v89
	;; [unrolled: 1-line block ×3, first 2 shown]
	v_or3_b32 v88, v89, v88, v90
	global_load_dword v89, v[92:93], off offset:8
	s_nop 0
	global_load_dword v84, v[84:85], off offset:4
	v_lshrrev_b32_e32 v87, 4, v104
	v_lshrrev_b32_e32 v91, 12, v86
	;; [unrolled: 1-line block ×3, first 2 shown]
	v_and_b32_e32 v87, 0xf0f0f0f, v87
	v_lshlrev_b32_e32 v95, 2, v86
	v_lshlrev_b32_e32 v96, 18, v86
	;; [unrolled: 1-line block ×4, first 2 shown]
	v_and_b32_e32 v91, 16, v91
	v_and_b32_e32 v94, 0x1000, v94
	;; [unrolled: 1-line block ×5, first 2 shown]
	v_or3_b32 v87, v91, v87, v94
	v_and_b32_e32 v85, 0x10000000, v97
	v_or3_b32 v85, v87, v95, v85
	v_or3_b32 v86, v88, v96, v86
	ds_write2_b32 v6, v86, v85 offset1:1
	v_ashrrev_i32_e32 v85, v2, v102
	v_lshlrev_b32_e32 v86, 4, v85
	v_lshlrev_b32_e32 v87, 11, v85
	s_waitcnt vmcnt(10)
	v_lshrrev_b32_e32 v88, 4, v105
	v_lshrrev_b32_e32 v90, 12, v85
	v_lshrrev_b32_e32 v91, 5, v85
	v_and_b32_e32 v88, 0xf0f0f0f, v88
	v_and_b32_e32 v92, 0xf0f0f0f, v105
	v_and_b32_e32 v90, 16, v90
	v_and_b32_e32 v86, 16, v86
	v_and_b32_e32 v91, 0x1000, v91
	v_and_b32_e32 v87, 0x1000, v87
	v_or3_b32 v86, v86, v92, v87
	v_or3_b32 v87, v90, v88, v91
	v_lshlrev_b32_e32 v88, 2, v85
	v_lshlrev_b32_e32 v90, 18, v85
	v_lshlrev_b32_e32 v91, 9, v85
	v_lshlrev_b32_e32 v85, 25, v85
	v_and_b32_e32 v90, 0x100000, v90
	v_and_b32_e32 v88, 0x100000, v88
	v_and_b32_e32 v85, 0x10000000, v85
	v_and_b32_e32 v91, 0x10000000, v91
	v_or3_b32 v87, v87, v88, v91
	v_or3_b32 v85, v86, v90, v85
	ds_write2_b32 v10, v85, v87 offset1:1
	v_ashrrev_i32_e32 v85, v2, v101
	v_lshlrev_b32_e32 v86, 4, v85
	v_lshlrev_b32_e32 v87, 11, v85
	s_waitcnt vmcnt(9)
	v_lshrrev_b32_e32 v88, 4, v106
	v_lshrrev_b32_e32 v90, 12, v85
	v_lshrrev_b32_e32 v91, 5, v85
	v_and_b32_e32 v88, 0xf0f0f0f, v88
	v_and_b32_e32 v92, 0xf0f0f0f, v106
	v_and_b32_e32 v90, 16, v90
	v_and_b32_e32 v86, 16, v86
	v_and_b32_e32 v91, 0x1000, v91
	v_and_b32_e32 v87, 0x1000, v87
	v_or3_b32 v86, v86, v92, v87
	v_or3_b32 v87, v90, v88, v91
	v_lshlrev_b32_e32 v88, 2, v85
	v_lshlrev_b32_e32 v90, 18, v85
	v_lshlrev_b32_e32 v91, 9, v85
	v_lshlrev_b32_e32 v85, 25, v85
	v_and_b32_e32 v90, 0x100000, v90
	v_and_b32_e32 v88, 0x100000, v88
	v_and_b32_e32 v85, 0x10000000, v85
	;; [unrolled: 26-line block ×3, first 2 shown]
	v_and_b32_e32 v91, 0x10000000, v91
	v_or3_b32 v87, v87, v88, v91
	v_or3_b32 v85, v86, v90, v85
	s_waitcnt vmcnt(0)
	v_ashrrev_i32_e32 v84, v2, v84
	ds_write2_b32 v18, v85, v87 offset1:1
	v_lshlrev_b32_e32 v85, 4, v84
	v_lshlrev_b32_e32 v86, 11, v84
	v_lshrrev_b32_e32 v87, 4, v89
	v_and_b32_e32 v89, 0xf0f0f0f, v89
	v_and_b32_e32 v85, 16, v85
	;; [unrolled: 1-line block ×3, first 2 shown]
	v_lshrrev_b32_e32 v88, 12, v84
	v_lshrrev_b32_e32 v90, 5, v84
	v_or3_b32 v100, v85, v89, v86
	v_lshlrev_b32_e32 v85, 2, v84
	v_lshlrev_b32_e32 v86, 18, v84
	;; [unrolled: 1-line block ×4, first 2 shown]
	v_and_b32_e32 v103, 0x100000, v85
	v_and_b32_e32 v105, 0x10000000, v84
	v_mad_i64_i32 v[84:85], s[16:17], v36, 24, v[82:83]
	v_and_b32_e32 v87, 0xf0f0f0f, v87
	v_and_b32_e32 v88, 16, v88
	;; [unrolled: 1-line block ×4, first 2 shown]
	v_add_co_u32_e32 v86, vcc, v84, v2
	v_or3_b32 v101, v88, v87, v90
	v_addc_co_u32_e32 v87, vcc, 0, v85, vcc
	v_mad_i64_i32 v[88:89], s[16:17], v40, 24, v[82:83]
	v_add_co_u32_e32 v90, vcc, v88, v2
	v_addc_co_u32_e32 v91, vcc, 0, v89, vcc
	v_mad_i64_i32 v[92:93], s[16:17], v44, 24, v[82:83]
	v_add_co_u32_e32 v94, vcc, v92, v2
	;; [unrolled: 3-line block ×3, first 2 shown]
	v_addc_co_u32_e32 v99, vcc, 0, v97, vcc
	global_load_dword v98, v[98:99], off offset:8
	s_nop 0
	global_load_dword v99, v[96:97], off offset:4
	global_load_dword v106, v[94:95], off offset:8
	;; [unrolled: 1-line block ×5, first 2 shown]
	s_nop 0
	global_load_dword v86, v[86:87], off offset:8
	s_nop 0
	global_load_dword v84, v[84:85], off offset:4
	v_and_b32_e32 v85, 0x10000000, v104
	v_or3_b32 v85, v101, v103, v85
	v_or3_b32 v87, v100, v102, v105
	ds_write2_b32 v22, v87, v85 offset1:1
	v_ashrrev_i32_e32 v85, v2, v113
	v_lshlrev_b32_e32 v87, 4, v85
	v_lshlrev_b32_e32 v88, 11, v85
	v_lshrrev_b32_e32 v89, 4, v112
	v_lshrrev_b32_e32 v90, 12, v85
	v_lshrrev_b32_e32 v91, 5, v85
	v_and_b32_e32 v89, 0xf0f0f0f, v89
	v_and_b32_e32 v92, 0xf0f0f0f, v112
	v_and_b32_e32 v90, 16, v90
	v_and_b32_e32 v87, 16, v87
	v_and_b32_e32 v91, 0x1000, v91
	v_and_b32_e32 v88, 0x1000, v88
	v_or3_b32 v87, v87, v92, v88
	v_or3_b32 v88, v90, v89, v91
	v_lshlrev_b32_e32 v89, 2, v85
	v_lshlrev_b32_e32 v90, 18, v85
	v_lshlrev_b32_e32 v91, 9, v85
	v_lshlrev_b32_e32 v85, 25, v85
	v_and_b32_e32 v90, 0x100000, v90
	v_and_b32_e32 v89, 0x100000, v89
	v_and_b32_e32 v85, 0x10000000, v85
	v_and_b32_e32 v91, 0x10000000, v91
	v_or3_b32 v88, v88, v89, v91
	v_or3_b32 v85, v87, v90, v85
	ds_write2_b32 v26, v85, v88 offset1:1
	v_ashrrev_i32_e32 v85, v2, v111
	v_lshlrev_b32_e32 v87, 4, v85
	v_lshlrev_b32_e32 v88, 11, v85
	v_lshrrev_b32_e32 v89, 4, v110
	v_lshrrev_b32_e32 v90, 12, v85
	v_lshrrev_b32_e32 v91, 5, v85
	v_and_b32_e32 v89, 0xf0f0f0f, v89
	v_and_b32_e32 v92, 0xf0f0f0f, v110
	v_and_b32_e32 v90, 16, v90
	v_and_b32_e32 v87, 16, v87
	v_and_b32_e32 v91, 0x1000, v91
	v_and_b32_e32 v88, 0x1000, v88
	v_or3_b32 v87, v87, v92, v88
	v_or3_b32 v88, v90, v89, v91
	v_lshlrev_b32_e32 v89, 2, v85
	v_lshlrev_b32_e32 v90, 18, v85
	v_lshlrev_b32_e32 v91, 9, v85
	v_lshlrev_b32_e32 v85, 25, v85
	v_and_b32_e32 v90, 0x100000, v90
	v_and_b32_e32 v89, 0x100000, v89
	v_and_b32_e32 v85, 0x10000000, v85
	;; [unrolled: 25-line block ×3, first 2 shown]
	v_and_b32_e32 v91, 0x10000000, v91
	v_or3_b32 v88, v88, v89, v91
	v_or3_b32 v85, v87, v90, v85
	ds_write2_b32 v34, v85, v88 offset1:1
	s_waitcnt vmcnt(0)
	v_ashrrev_i32_e32 v84, v2, v84
	v_lshlrev_b32_e32 v85, 4, v84
	v_lshlrev_b32_e32 v87, 11, v84
	v_lshrrev_b32_e32 v88, 4, v86
	v_and_b32_e32 v86, 0xf0f0f0f, v86
	v_and_b32_e32 v85, 16, v85
	;; [unrolled: 1-line block ×3, first 2 shown]
	v_lshrrev_b32_e32 v89, 12, v84
	v_lshrrev_b32_e32 v90, 5, v84
	v_or3_b32 v100, v85, v86, v87
	v_lshlrev_b32_e32 v85, 2, v84
	v_lshlrev_b32_e32 v86, 18, v84
	;; [unrolled: 1-line block ×4, first 2 shown]
	v_and_b32_e32 v103, 0x100000, v85
	v_and_b32_e32 v105, 0x10000000, v84
	v_mad_i64_i32 v[84:85], s[16:17], v52, 24, v[82:83]
	v_and_b32_e32 v88, 0xf0f0f0f, v88
	v_and_b32_e32 v89, 16, v89
	;; [unrolled: 1-line block ×4, first 2 shown]
	v_add_co_u32_e32 v86, vcc, v84, v2
	v_or3_b32 v101, v89, v88, v90
	v_addc_co_u32_e32 v87, vcc, 0, v85, vcc
	v_mad_i64_i32 v[88:89], s[16:17], v56, 24, v[82:83]
	v_add_co_u32_e32 v90, vcc, v88, v2
	v_addc_co_u32_e32 v91, vcc, 0, v89, vcc
	v_mad_i64_i32 v[92:93], s[16:17], v60, 24, v[82:83]
	v_add_co_u32_e32 v94, vcc, v92, v2
	;; [unrolled: 3-line block ×3, first 2 shown]
	v_addc_co_u32_e32 v97, vcc, 0, v83, vcc
	global_load_dword v108, v[96:97], off offset:8
	global_load_dword v109, v[82:83], off offset:4
	;; [unrolled: 1-line block ×4, first 2 shown]
	s_nop 0
	global_load_dword v82, v[90:91], off offset:8
	global_load_dword v83, v[88:89], off offset:4
	s_nop 0
	global_load_dword v86, v[86:87], off offset:8
	s_nop 0
	global_load_dword v84, v[84:85], off offset:4
	v_and_b32_e32 v85, 0x10000000, v104
	v_or3_b32 v85, v101, v103, v85
	v_or3_b32 v87, v100, v102, v105
	ds_write2_b32 v38, v87, v85 offset1:1
	v_ashrrev_i32_e32 v85, v2, v115
	v_lshlrev_b32_e32 v87, 4, v85
	v_lshlrev_b32_e32 v88, 11, v85
	v_lshrrev_b32_e32 v89, 4, v114
	v_lshrrev_b32_e32 v90, 12, v85
	v_lshrrev_b32_e32 v91, 5, v85
	v_and_b32_e32 v89, 0xf0f0f0f, v89
	v_and_b32_e32 v92, 0xf0f0f0f, v114
	v_and_b32_e32 v90, 16, v90
	v_and_b32_e32 v87, 16, v87
	v_and_b32_e32 v91, 0x1000, v91
	v_and_b32_e32 v88, 0x1000, v88
	v_or3_b32 v87, v87, v92, v88
	v_or3_b32 v88, v90, v89, v91
	v_lshlrev_b32_e32 v89, 2, v85
	v_lshlrev_b32_e32 v90, 18, v85
	v_lshlrev_b32_e32 v91, 9, v85
	v_lshlrev_b32_e32 v85, 25, v85
	v_and_b32_e32 v90, 0x100000, v90
	v_and_b32_e32 v89, 0x100000, v89
	v_and_b32_e32 v85, 0x10000000, v85
	v_and_b32_e32 v91, 0x10000000, v91
	v_or3_b32 v88, v88, v89, v91
	v_or3_b32 v85, v87, v90, v85
	ds_write2_b32 v42, v85, v88 offset1:1
	v_ashrrev_i32_e32 v85, v2, v107
	v_lshlrev_b32_e32 v87, 4, v85
	v_lshlrev_b32_e32 v88, 11, v85
	v_lshrrev_b32_e32 v89, 4, v106
	v_lshrrev_b32_e32 v90, 12, v85
	v_lshrrev_b32_e32 v91, 5, v85
	v_and_b32_e32 v89, 0xf0f0f0f, v89
	v_and_b32_e32 v92, 0xf0f0f0f, v106
	v_and_b32_e32 v90, 16, v90
	v_and_b32_e32 v87, 16, v87
	v_and_b32_e32 v91, 0x1000, v91
	v_and_b32_e32 v88, 0x1000, v88
	v_or3_b32 v87, v87, v92, v88
	v_or3_b32 v88, v90, v89, v91
	v_lshlrev_b32_e32 v89, 2, v85
	v_lshlrev_b32_e32 v90, 18, v85
	v_lshlrev_b32_e32 v91, 9, v85
	v_lshlrev_b32_e32 v85, 25, v85
	v_and_b32_e32 v90, 0x100000, v90
	v_and_b32_e32 v89, 0x100000, v89
	v_and_b32_e32 v85, 0x10000000, v85
	;; [unrolled: 25-line block ×3, first 2 shown]
	v_and_b32_e32 v91, 0x10000000, v91
	v_or3_b32 v88, v88, v89, v91
	v_or3_b32 v85, v87, v90, v85
	ds_write2_b32 v50, v85, v88 offset1:1
	s_waitcnt vmcnt(0)
	v_ashrrev_i32_e32 v84, v2, v84
	v_lshlrev_b32_e32 v85, 4, v84
	v_lshlrev_b32_e32 v87, 11, v84
	v_lshrrev_b32_e32 v88, 4, v86
	v_lshrrev_b32_e32 v89, 12, v84
	;; [unrolled: 1-line block ×3, first 2 shown]
	v_and_b32_e32 v88, 0xf0f0f0f, v88
	v_and_b32_e32 v86, 0xf0f0f0f, v86
	;; [unrolled: 1-line block ×6, first 2 shown]
	v_or3_b32 v85, v85, v86, v87
	v_or3_b32 v86, v89, v88, v90
	v_lshlrev_b32_e32 v87, 2, v84
	v_lshlrev_b32_e32 v88, 18, v84
	;; [unrolled: 1-line block ×4, first 2 shown]
	v_and_b32_e32 v88, 0x100000, v88
	v_and_b32_e32 v87, 0x100000, v87
	;; [unrolled: 1-line block ×4, first 2 shown]
	v_ashrrev_i32_e32 v98, v2, v83
	v_lshrrev_b32_e32 v83, 4, v82
	v_or3_b32 v86, v86, v87, v89
	v_or3_b32 v84, v85, v88, v84
	v_and_b32_e32 v103, 0xf0f0f0f, v83
	v_and_b32_e32 v104, 0xf0f0f0f, v82
	v_mad_u64_u32 v[82:83], s[0:1], v68, 24, s[0:1]
	ds_write2_b32 v54, v84, v86 offset1:1
	v_mad_i64_i32 v[84:85], s[0:1], v70, 24, v[82:83]
	v_mad_i64_i32 v[86:87], s[0:1], v72, 24, v[82:83]
	;; [unrolled: 1-line block ×4, first 2 shown]
	v_add_u32_e32 v96, s8, v69
	global_load_dword v105, v[84:85], off
	global_load_dword v106, v[86:87], off
	;; [unrolled: 1-line block ×4, first 2 shown]
	v_add_u32_e32 v82, v96, v75
	v_add_u32_e32 v84, v96, v81
	;; [unrolled: 1-line block ×5, first 2 shown]
	v_mad_i64_i32 v[82:83], s[0:1], v82, 36, v[78:79]
	v_mad_i64_i32 v[84:85], s[0:1], v84, 36, v[78:79]
	;; [unrolled: 1-line block ×5, first 2 shown]
	v_add_u32_e32 v92, v96, v123
	v_add_u32_e32 v94, v96, v125
	;; [unrolled: 1-line block ×3, first 2 shown]
	v_mad_i64_i32 v[92:93], s[0:1], v92, 36, v[78:79]
	v_mad_i64_i32 v[94:95], s[0:1], v94, 36, v[78:79]
	v_mad_i64_i32 v[96:97], s[0:1], v96, 36, v[78:79]
	global_load_dword v113, v[82:83], off offset:4
	s_nop 0
	global_load_dword v84, v[84:85], off offset:4
	s_nop 0
	;; [unrolled: 2-line block ×3, first 2 shown]
	global_load_dword v86, v[88:89], off offset:4
	global_load_dword v87, v[90:91], off offset:4
	s_nop 0
	global_load_dword v88, v[92:93], off offset:4
	global_load_dword v89, v[94:95], off offset:4
	;; [unrolled: 1-line block ×3, first 2 shown]
	v_mad_u64_u32 v[82:83], s[0:1], v146, 36, s[2:3]
	global_load_dword v82, v[82:83], off
	v_lshlrev_b32_e32 v99, 4, v98
	v_lshlrev_b32_e32 v100, 11, v98
	v_lshrrev_b32_e32 v101, 12, v98
	v_lshrrev_b32_e32 v102, 5, v98
	v_and_b32_e32 v83, 16, v101
	v_and_b32_e32 v91, 16, v99
	;; [unrolled: 1-line block ×4, first 2 shown]
	v_or3_b32 v91, v91, v104, v93
	v_or3_b32 v83, v83, v103, v92
	v_lshlrev_b32_e32 v92, 2, v98
	v_lshlrev_b32_e32 v93, 18, v98
	v_lshlrev_b32_e32 v94, 9, v98
	v_lshlrev_b32_e32 v95, 25, v98
	v_and_b32_e32 v93, 0x100000, v93
	v_and_b32_e32 v92, 0x100000, v92
	;; [unrolled: 1-line block ×4, first 2 shown]
	v_or3_b32 v83, v83, v92, v94
	v_or3_b32 v91, v91, v93, v95
	ds_write2_b32 v58, v91, v83 offset1:1
	v_ashrrev_i32_e32 v83, v2, v111
	v_lshlrev_b32_e32 v91, 4, v83
	v_lshlrev_b32_e32 v92, 11, v83
	v_lshrrev_b32_e32 v93, 4, v110
	v_lshrrev_b32_e32 v94, 12, v83
	;; [unrolled: 1-line block ×3, first 2 shown]
	v_and_b32_e32 v93, 0xf0f0f0f, v93
	v_and_b32_e32 v96, 0xf0f0f0f, v110
	;; [unrolled: 1-line block ×6, first 2 shown]
	v_or3_b32 v91, v91, v96, v92
	v_or3_b32 v92, v94, v93, v95
	v_lshlrev_b32_e32 v93, 2, v83
	v_lshlrev_b32_e32 v94, 18, v83
	;; [unrolled: 1-line block ×4, first 2 shown]
	v_and_b32_e32 v94, 0x100000, v94
	v_and_b32_e32 v93, 0x100000, v93
	;; [unrolled: 1-line block ×4, first 2 shown]
	v_or3_b32 v92, v92, v93, v95
	v_or3_b32 v83, v91, v94, v83
	ds_write2_b32 v62, v83, v92 offset1:1
	v_ashrrev_i32_e32 v83, v2, v109
	v_lshlrev_b32_e32 v91, 4, v83
	v_lshlrev_b32_e32 v92, 11, v83
	v_lshrrev_b32_e32 v93, 4, v108
	v_lshrrev_b32_e32 v94, 12, v83
	;; [unrolled: 1-line block ×3, first 2 shown]
	v_and_b32_e32 v93, 0xf0f0f0f, v93
	v_and_b32_e32 v96, 0xf0f0f0f, v108
	v_and_b32_e32 v94, 16, v94
	v_and_b32_e32 v91, 16, v91
	v_and_b32_e32 v95, 0x1000, v95
	v_and_b32_e32 v92, 0x1000, v92
	v_or3_b32 v91, v91, v96, v92
	v_or3_b32 v92, v94, v93, v95
	v_lshlrev_b32_e32 v93, 2, v83
	v_lshlrev_b32_e32 v94, 18, v83
	;; [unrolled: 1-line block ×4, first 2 shown]
	v_and_b32_e32 v94, 0x100000, v94
	v_and_b32_e32 v93, 0x100000, v93
	;; [unrolled: 1-line block ×4, first 2 shown]
	v_or3_b32 v92, v92, v93, v95
	v_or3_b32 v83, v91, v94, v83
	s_mov_b32 s0, -4
	ds_write2_b32 v66, v83, v92 offset1:1
	s_waitcnt vmcnt(12)
	ds_write_b32 v142, v105
	s_waitcnt vmcnt(11)
	ds_write_b32 v143, v106
	;; [unrolled: 2-line block ×13, first 2 shown]
	s_waitcnt lgkmcnt(0)
	s_barrier
.LBB164_7:                              ;   Parent Loop BB164_6 Depth=1
                                        ; =>  This Inner Loop Header: Depth=2
	ds_read_b128 v[158:161], v148
	ds_read_b128 v[162:165], v148 offset:16
	ds_read2_b32 v[114:115], v147 offset1:32
	ds_read_b32 v154, v150
	ds_read2_b32 v[82:83], v149 offset1:1
	ds_read2_b32 v[86:87], v149 offset0:2 offset1:3
	ds_read2_b32 v[88:89], v149 offset0:4 offset1:5
	;; [unrolled: 1-line block ×3, first 2 shown]
	v_mov_b32_e32 v84, 0
	s_waitcnt lgkmcnt(3)
	v_dot4c_i32_i8_e32 v84, v82, v158
	v_dot4c_i32_i8_e32 v84, v83, v162
	s_waitcnt lgkmcnt(2)
	v_dot4c_i32_i8_e32 v84, v86, v159
	v_dot4c_i32_i8_e32 v84, v87, v163
	;; [unrolled: 3-line block ×4, first 2 shown]
	v_pk_mul_f16 v85, v114, v154
	v_add_u32_e32 v90, 0x2088, v149
	v_add_u32_e32 v95, 0x2090, v149
	v_cvt_f32_i32_e32 v84, v84
	v_mov_b32_e32 v94, 0
	v_add_u32_e32 v98, 0x4108, v149
	v_add_u32_e32 v102, 0x4110, v149
	v_fma_mix_f32 v84, v85, v84, v85 op_sel:[0,0,1] op_sel_hi:[1,0,1]
	v_add_f32_e32 v53, v53, v84
	v_add_u32_e32 v84, 0x2080, v149
	ds_read_b32 v155, v151
	ds_read2_b32 v[84:85], v84 offset1:1
	ds_read2_b32 v[90:91], v90 offset1:1
	;; [unrolled: 1-line block ×3, first 2 shown]
	v_add_u32_e32 v95, 0x2098, v149
	ds_read2_b32 v[100:101], v95 offset1:1
	s_waitcnt lgkmcnt(3)
	v_dot4c_i32_i8_e32 v94, v84, v158
	v_dot4c_i32_i8_e32 v94, v85, v162
	s_waitcnt lgkmcnt(2)
	v_dot4c_i32_i8_e32 v94, v90, v159
	v_dot4c_i32_i8_e32 v94, v91, v163
	;; [unrolled: 3-line block ×4, first 2 shown]
	v_pk_mul_f16 v95, v114, v155
	v_mov_b32_e32 v104, 0
	v_add_u32_e32 v105, 0x4118, v149
	v_cvt_f32_i32_e32 v94, v94
	v_add_u32_e32 v108, 0x6188, v149
	v_add_u32_e32 v110, 0x6190, v149
	v_mov_b32_e32 v166, 0
	v_fma_mix_f32 v94, v95, v94, v95 op_sel:[0,0,1] op_sel_hi:[1,0,1]
	v_add_f32_e32 v71, v71, v94
	v_add_u32_e32 v94, 0x4100, v149
	ds_read_b32 v156, v152
	ds_read2_b32 v[94:95], v94 offset1:1
	ds_read2_b32 v[98:99], v98 offset1:1
	ds_read2_b32 v[102:103], v102 offset1:1
	ds_read2_b32 v[106:107], v105 offset1:1
	s_waitcnt lgkmcnt(4)
	v_pk_mul_f16 v105, v114, v156
	s_waitcnt lgkmcnt(3)
	v_dot4c_i32_i8_e32 v104, v94, v158
	v_dot4c_i32_i8_e32 v104, v95, v162
	s_waitcnt lgkmcnt(2)
	v_dot4c_i32_i8_e32 v104, v98, v159
	v_dot4c_i32_i8_e32 v104, v99, v163
	;; [unrolled: 3-line block ×4, first 2 shown]
	v_add_u32_e32 v112, 0x6198, v149
	s_add_i32 s0, s0, 4
	v_add_u32_e32 v152, 4, v152
	v_cvt_f32_i32_e32 v104, v104
	v_add_u32_e32 v151, 4, v151
	v_add_u32_e32 v150, 4, v150
	s_cmp_lt_u32 s0, 12
	v_fma_mix_f32 v104, v105, v104, v105 op_sel:[0,0,1] op_sel_hi:[1,0,1]
	v_add_f32_e32 v67, v67, v104
	v_add_u32_e32 v104, 0x6180, v149
	ds_read_b32 v157, v153
	ds_read2_b32 v[104:105], v104 offset1:1
	ds_read2_b32 v[108:109], v108 offset1:1
	;; [unrolled: 1-line block ×4, first 2 shown]
	s_waitcnt lgkmcnt(4)
	v_pk_mul_f16 v114, v114, v157
	s_waitcnt lgkmcnt(3)
	v_dot4c_i32_i8_e32 v166, v104, v158
	v_dot4c_i32_i8_e32 v166, v105, v162
	s_waitcnt lgkmcnt(2)
	v_dot4c_i32_i8_e32 v166, v108, v159
	v_dot4c_i32_i8_e32 v166, v109, v163
	;; [unrolled: 3-line block ×4, first 2 shown]
	v_add_u32_e32 v153, 4, v153
	v_add_u32_e32 v149, 32, v149
	s_nop 0
	v_cvt_f32_i32_e32 v158, v166
	v_pk_mul_f16 v166, v154, v115
	v_fma_mix_f32 v114, v114, v158, v114 op_sel:[0,0,1] op_sel_hi:[1,0,1]
	ds_read_b128 v[158:161], v148 offset:1024
	ds_read_b128 v[162:165], v148 offset:1040
	v_add_f32_e32 v65, v65, v114
	v_mov_b32_e32 v114, 0
	s_waitcnt lgkmcnt(1)
	v_dot4c_i32_i8_e32 v114, v82, v158
	s_waitcnt lgkmcnt(0)
	v_dot4c_i32_i8_e32 v114, v83, v162
	v_dot4c_i32_i8_e32 v114, v86, v159
	;; [unrolled: 1-line block ×7, first 2 shown]
	s_nop 2
	v_cvt_f32_i32_e32 v114, v114
	v_fma_mix_f32 v114, v114, v166, v166 op_sel:[0,0,1] op_sel_hi:[0,1,1]
	v_add_f32_e32 v63, v63, v114
	v_mov_b32_e32 v114, 0
	v_dot4c_i32_i8_e32 v114, v84, v158
	v_dot4c_i32_i8_e32 v114, v85, v162
	;; [unrolled: 1-line block ×8, first 2 shown]
	v_pk_mul_f16 v166, v155, v115
	s_nop 1
	v_cvt_f32_i32_e32 v114, v114
	v_fma_mix_f32 v114, v114, v166, v166 op_sel:[0,0,1] op_sel_hi:[0,1,1]
	v_add_f32_e32 v59, v59, v114
	v_mov_b32_e32 v114, 0
	v_dot4c_i32_i8_e32 v114, v94, v158
	v_dot4c_i32_i8_e32 v114, v95, v162
	;; [unrolled: 1-line block ×8, first 2 shown]
	v_pk_mul_f16 v166, v156, v115
	v_pk_mul_f16 v115, v157, v115
	s_nop 0
	v_cvt_f32_i32_e32 v114, v114
	v_fma_mix_f32 v114, v114, v166, v166 op_sel:[0,0,1] op_sel_hi:[0,1,1]
	v_add_f32_e32 v57, v57, v114
	v_mov_b32_e32 v114, 0
	v_dot4c_i32_i8_e32 v114, v104, v158
	v_dot4c_i32_i8_e32 v114, v105, v162
	;; [unrolled: 1-line block ×8, first 2 shown]
	v_mov_b32_e32 v166, 0
	s_nop 1
	v_cvt_f32_i32_e32 v114, v114
	v_fma_mix_f32 v114, v114, v115, v115 op_sel:[0,0,1] op_sel_hi:[0,1,1]
	v_add_f32_e32 v55, v55, v114
	ds_read_b128 v[158:161], v148 offset:2048
	ds_read_b128 v[162:165], v148 offset:2064
	ds_read2_b32 v[114:115], v147 offset0:64 offset1:96
	s_waitcnt lgkmcnt(2)
	v_dot4c_i32_i8_e32 v166, v82, v158
	s_waitcnt lgkmcnt(1)
	v_dot4c_i32_i8_e32 v166, v83, v162
	v_dot4c_i32_i8_e32 v166, v86, v159
	;; [unrolled: 1-line block ×7, first 2 shown]
	s_waitcnt lgkmcnt(0)
	v_pk_mul_f16 v167, v154, v114
	s_nop 0
	v_cvt_f32_i32_e32 v166, v166
	v_fma_mix_f32 v166, v166, v167, v167 op_sel:[0,0,1] op_sel_hi:[0,1,1]
	v_add_f32_e32 v51, v51, v166
	v_mov_b32_e32 v166, 0
	v_dot4c_i32_i8_e32 v166, v84, v158
	v_dot4c_i32_i8_e32 v166, v85, v162
	;; [unrolled: 1-line block ×8, first 2 shown]
	v_pk_mul_f16 v167, v155, v114
	s_nop 1
	v_cvt_f32_i32_e32 v166, v166
	v_fma_mix_f32 v166, v166, v167, v167 op_sel:[0,0,1] op_sel_hi:[0,1,1]
	v_add_f32_e32 v47, v47, v166
	v_mov_b32_e32 v166, 0
	v_dot4c_i32_i8_e32 v166, v94, v158
	v_dot4c_i32_i8_e32 v166, v95, v162
	;; [unrolled: 1-line block ×8, first 2 shown]
	v_pk_mul_f16 v167, v156, v114
	v_pk_mul_f16 v114, v157, v114
	s_nop 0
	v_cvt_f32_i32_e32 v166, v166
	v_fma_mix_f32 v166, v166, v167, v167 op_sel:[0,0,1] op_sel_hi:[0,1,1]
	v_add_f32_e32 v43, v43, v166
	v_mov_b32_e32 v166, 0
	v_dot4c_i32_i8_e32 v166, v104, v158
	v_dot4c_i32_i8_e32 v166, v105, v162
	;; [unrolled: 1-line block ×8, first 2 shown]
	s_nop 2
	v_cvt_f32_i32_e32 v158, v166
	v_pk_mul_f16 v166, v154, v115
	v_fma_mix_f32 v114, v158, v114, v114 op_sel:[0,0,1] op_sel_hi:[0,1,1]
	ds_read_b128 v[158:161], v148 offset:3072
	ds_read_b128 v[162:165], v148 offset:3088
	v_add_f32_e32 v41, v41, v114
	v_mov_b32_e32 v114, 0
	s_waitcnt lgkmcnt(1)
	v_dot4c_i32_i8_e32 v114, v82, v158
	s_waitcnt lgkmcnt(0)
	v_dot4c_i32_i8_e32 v114, v83, v162
	v_dot4c_i32_i8_e32 v114, v86, v159
	;; [unrolled: 1-line block ×7, first 2 shown]
	s_nop 2
	v_cvt_f32_i32_e32 v114, v114
	v_fma_mix_f32 v114, v114, v166, v166 op_sel:[0,0,1] op_sel_hi:[0,1,1]
	v_add_f32_e32 v39, v39, v114
	v_mov_b32_e32 v114, 0
	v_dot4c_i32_i8_e32 v114, v84, v158
	v_dot4c_i32_i8_e32 v114, v85, v162
	;; [unrolled: 1-line block ×8, first 2 shown]
	v_pk_mul_f16 v166, v155, v115
	s_nop 1
	v_cvt_f32_i32_e32 v114, v114
	v_fma_mix_f32 v114, v114, v166, v166 op_sel:[0,0,1] op_sel_hi:[0,1,1]
	v_add_f32_e32 v37, v37, v114
	v_mov_b32_e32 v114, 0
	v_dot4c_i32_i8_e32 v114, v94, v158
	v_dot4c_i32_i8_e32 v114, v95, v162
	;; [unrolled: 1-line block ×8, first 2 shown]
	v_pk_mul_f16 v166, v156, v115
	v_pk_mul_f16 v115, v157, v115
	s_nop 0
	v_cvt_f32_i32_e32 v114, v114
	v_fma_mix_f32 v114, v114, v166, v166 op_sel:[0,0,1] op_sel_hi:[0,1,1]
	v_add_f32_e32 v35, v35, v114
	v_mov_b32_e32 v114, 0
	v_dot4c_i32_i8_e32 v114, v104, v158
	v_dot4c_i32_i8_e32 v114, v105, v162
	v_dot4c_i32_i8_e32 v114, v108, v159
	v_dot4c_i32_i8_e32 v114, v109, v163
	v_dot4c_i32_i8_e32 v114, v110, v160
	v_dot4c_i32_i8_e32 v114, v111, v164
	v_dot4c_i32_i8_e32 v114, v112, v161
	v_dot4c_i32_i8_e32 v114, v113, v165
	v_mov_b32_e32 v166, 0
	s_nop 1
	v_cvt_f32_i32_e32 v114, v114
	v_fma_mix_f32 v114, v114, v115, v115 op_sel:[0,0,1] op_sel_hi:[0,1,1]
	v_add_f32_e32 v33, v33, v114
	ds_read_b128 v[158:161], v148 offset:4096
	ds_read_b128 v[162:165], v148 offset:4112
	ds_read2_b32 v[114:115], v147 offset0:128 offset1:160
	s_waitcnt lgkmcnt(2)
	v_dot4c_i32_i8_e32 v166, v82, v158
	s_waitcnt lgkmcnt(1)
	v_dot4c_i32_i8_e32 v166, v83, v162
	v_dot4c_i32_i8_e32 v166, v86, v159
	;; [unrolled: 1-line block ×7, first 2 shown]
	s_waitcnt lgkmcnt(0)
	v_pk_mul_f16 v167, v154, v114
	s_nop 0
	v_cvt_f32_i32_e32 v166, v166
	v_fma_mix_f32 v166, v166, v167, v167 op_sel:[0,0,1] op_sel_hi:[0,1,1]
	v_add_f32_e32 v31, v31, v166
	v_mov_b32_e32 v166, 0
	v_dot4c_i32_i8_e32 v166, v84, v158
	v_dot4c_i32_i8_e32 v166, v85, v162
	v_dot4c_i32_i8_e32 v166, v90, v159
	v_dot4c_i32_i8_e32 v166, v91, v163
	v_dot4c_i32_i8_e32 v166, v96, v160
	v_dot4c_i32_i8_e32 v166, v97, v164
	v_dot4c_i32_i8_e32 v166, v100, v161
	v_dot4c_i32_i8_e32 v166, v101, v165
	v_pk_mul_f16 v167, v155, v114
	s_nop 1
	v_cvt_f32_i32_e32 v166, v166
	v_fma_mix_f32 v166, v166, v167, v167 op_sel:[0,0,1] op_sel_hi:[0,1,1]
	v_add_f32_e32 v29, v29, v166
	v_mov_b32_e32 v166, 0
	v_dot4c_i32_i8_e32 v166, v94, v158
	v_dot4c_i32_i8_e32 v166, v95, v162
	;; [unrolled: 1-line block ×8, first 2 shown]
	v_pk_mul_f16 v167, v156, v114
	v_pk_mul_f16 v114, v157, v114
	s_nop 0
	v_cvt_f32_i32_e32 v166, v166
	v_fma_mix_f32 v166, v166, v167, v167 op_sel:[0,0,1] op_sel_hi:[0,1,1]
	v_add_f32_e32 v27, v27, v166
	v_mov_b32_e32 v166, 0
	v_dot4c_i32_i8_e32 v166, v104, v158
	v_dot4c_i32_i8_e32 v166, v105, v162
	;; [unrolled: 1-line block ×8, first 2 shown]
	s_nop 2
	v_cvt_f32_i32_e32 v158, v166
	v_pk_mul_f16 v166, v154, v115
	v_fma_mix_f32 v114, v158, v114, v114 op_sel:[0,0,1] op_sel_hi:[0,1,1]
	ds_read_b128 v[158:161], v148 offset:5120
	ds_read_b128 v[162:165], v148 offset:5136
	v_add_f32_e32 v25, v25, v114
	v_mov_b32_e32 v114, 0
	s_waitcnt lgkmcnt(1)
	v_dot4c_i32_i8_e32 v114, v82, v158
	s_waitcnt lgkmcnt(0)
	v_dot4c_i32_i8_e32 v114, v83, v162
	v_dot4c_i32_i8_e32 v114, v86, v159
	;; [unrolled: 1-line block ×7, first 2 shown]
	s_nop 2
	v_cvt_f32_i32_e32 v114, v114
	v_fma_mix_f32 v114, v114, v166, v166 op_sel:[0,0,1] op_sel_hi:[0,1,1]
	v_add_f32_e32 v23, v23, v114
	v_mov_b32_e32 v114, 0
	v_dot4c_i32_i8_e32 v114, v84, v158
	v_dot4c_i32_i8_e32 v114, v85, v162
	;; [unrolled: 1-line block ×8, first 2 shown]
	v_pk_mul_f16 v166, v155, v115
	s_nop 1
	v_cvt_f32_i32_e32 v114, v114
	v_fma_mix_f32 v114, v114, v166, v166 op_sel:[0,0,1] op_sel_hi:[0,1,1]
	v_add_f32_e32 v21, v21, v114
	v_mov_b32_e32 v114, 0
	v_dot4c_i32_i8_e32 v114, v94, v158
	v_dot4c_i32_i8_e32 v114, v95, v162
	;; [unrolled: 1-line block ×8, first 2 shown]
	v_pk_mul_f16 v166, v156, v115
	v_pk_mul_f16 v115, v157, v115
	s_nop 0
	v_cvt_f32_i32_e32 v114, v114
	v_fma_mix_f32 v114, v114, v166, v166 op_sel:[0,0,1] op_sel_hi:[0,1,1]
	v_add_f32_e32 v19, v19, v114
	v_mov_b32_e32 v114, 0
	v_dot4c_i32_i8_e32 v114, v104, v158
	v_dot4c_i32_i8_e32 v114, v105, v162
	;; [unrolled: 1-line block ×8, first 2 shown]
	v_mov_b32_e32 v166, 0
	s_nop 1
	v_cvt_f32_i32_e32 v114, v114
	v_fma_mix_f32 v114, v114, v115, v115 op_sel:[0,0,1] op_sel_hi:[0,1,1]
	v_add_f32_e32 v17, v17, v114
	ds_read_b128 v[158:161], v148 offset:6144
	ds_read_b128 v[162:165], v148 offset:6160
	ds_read2_b32 v[114:115], v147 offset0:192 offset1:224
	v_add_u32_e32 v147, 4, v147
	s_waitcnt lgkmcnt(2)
	v_dot4c_i32_i8_e32 v166, v82, v158
	s_waitcnt lgkmcnt(1)
	v_dot4c_i32_i8_e32 v166, v83, v162
	v_dot4c_i32_i8_e32 v166, v86, v159
	;; [unrolled: 1-line block ×7, first 2 shown]
	s_waitcnt lgkmcnt(0)
	v_pk_mul_f16 v167, v154, v114
	s_nop 0
	v_cvt_f32_i32_e32 v166, v166
	v_fma_mix_f32 v166, v166, v167, v167 op_sel:[0,0,1] op_sel_hi:[0,1,1]
	v_add_f32_e32 v15, v15, v166
	v_mov_b32_e32 v166, 0
	v_dot4c_i32_i8_e32 v166, v84, v158
	v_dot4c_i32_i8_e32 v166, v85, v162
	;; [unrolled: 1-line block ×8, first 2 shown]
	v_pk_mul_f16 v167, v155, v114
	s_nop 1
	v_cvt_f32_i32_e32 v166, v166
	v_fma_mix_f32 v166, v166, v167, v167 op_sel:[0,0,1] op_sel_hi:[0,1,1]
	v_add_f32_e32 v13, v13, v166
	v_mov_b32_e32 v166, 0
	v_dot4c_i32_i8_e32 v166, v94, v158
	v_dot4c_i32_i8_e32 v166, v95, v162
	;; [unrolled: 1-line block ×8, first 2 shown]
	v_pk_mul_f16 v167, v156, v114
	v_pk_mul_f16 v114, v157, v114
	s_nop 0
	v_cvt_f32_i32_e32 v166, v166
	v_fma_mix_f32 v166, v166, v167, v167 op_sel:[0,0,1] op_sel_hi:[0,1,1]
	v_add_f32_e32 v11, v11, v166
	v_mov_b32_e32 v166, 0
	v_dot4c_i32_i8_e32 v166, v104, v158
	v_dot4c_i32_i8_e32 v166, v105, v162
	;; [unrolled: 1-line block ×8, first 2 shown]
	s_nop 2
	v_cvt_f32_i32_e32 v158, v166
	v_fma_mix_f32 v114, v158, v114, v114 op_sel:[0,0,1] op_sel_hi:[0,1,1]
	ds_read_b128 v[158:161], v148 offset:7168
	ds_read_b128 v[162:165], v148 offset:7184
	v_add_f32_e32 v9, v9, v114
	v_mov_b32_e32 v114, 0
	v_add_u32_e32 v148, 32, v148
	s_waitcnt lgkmcnt(1)
	v_dot4c_i32_i8_e32 v114, v82, v158
	s_waitcnt lgkmcnt(0)
	v_dot4c_i32_i8_e32 v114, v83, v162
	v_dot4c_i32_i8_e32 v114, v86, v159
	v_dot4c_i32_i8_e32 v114, v87, v163
	v_dot4c_i32_i8_e32 v114, v88, v160
	v_dot4c_i32_i8_e32 v114, v89, v164
	v_dot4c_i32_i8_e32 v114, v92, v161
	v_dot4c_i32_i8_e32 v114, v93, v165
	v_pk_mul_f16 v82, v154, v115
	s_nop 1
	v_cvt_f32_i32_e32 v83, v114
	v_fma_mix_f32 v82, v83, v82, v82 op_sel:[0,0,1] op_sel_hi:[0,1,1]
	v_add_f32_e32 v7, v7, v82
	v_mov_b32_e32 v82, 0
	v_dot4c_i32_i8_e32 v82, v84, v158
	v_dot4c_i32_i8_e32 v82, v85, v162
	v_dot4c_i32_i8_e32 v82, v90, v159
	v_dot4c_i32_i8_e32 v82, v91, v163
	v_dot4c_i32_i8_e32 v82, v96, v160
	v_dot4c_i32_i8_e32 v82, v97, v164
	v_dot4c_i32_i8_e32 v82, v100, v161
	v_dot4c_i32_i8_e32 v82, v101, v165
	v_pk_mul_f16 v83, v155, v115
	s_nop 1
	v_cvt_f32_i32_e32 v82, v82
	v_fma_mix_f32 v82, v82, v83, v83 op_sel:[0,0,1] op_sel_hi:[0,1,1]
	v_add_f32_e32 v5, v5, v82
	v_mov_b32_e32 v82, 0
	v_dot4c_i32_i8_e32 v82, v94, v158
	;; [unrolled: 14-line block ×3, first 2 shown]
	v_dot4c_i32_i8_e32 v82, v105, v162
	v_dot4c_i32_i8_e32 v82, v108, v159
	;; [unrolled: 1-line block ×7, first 2 shown]
	v_pk_mul_f16 v83, v157, v115
	s_nop 1
	v_cvt_f32_i32_e32 v82, v82
	v_fma_mix_f32 v82, v82, v83, v83 op_sel:[0,0,1] op_sel_hi:[0,1,1]
	v_add_f32_e32 v1, v1, v82
	s_cbranch_scc1 .LBB164_7
; %bb.8:                                ;   in Loop: Header=BB164_6 Depth=1
	s_or_b32 s0, s8, 4
	s_cmp_ge_i32 s0, s4
	s_barrier
	s_cbranch_scc1 .LBB164_5
; %bb.9:                                ;   in Loop: Header=BB164_6 Depth=1
	v_add_u32_e32 v96, s8, v130
	v_add_u32_e32 v82, v96, v75
	;; [unrolled: 1-line block ×6, first 2 shown]
	v_mad_i64_i32 v[82:83], s[0:1], v82, 36, v[78:79]
	v_mad_i64_i32 v[84:85], s[0:1], v84, 36, v[78:79]
	;; [unrolled: 1-line block ×5, first 2 shown]
	v_add_u32_e32 v92, v96, v123
	v_add_u32_e32 v94, v96, v125
	;; [unrolled: 1-line block ×3, first 2 shown]
	v_mad_i64_i32 v[92:93], s[0:1], v92, 36, v[78:79]
	v_mad_i64_i32 v[94:95], s[0:1], v94, 36, v[78:79]
	;; [unrolled: 1-line block ×3, first 2 shown]
	global_load_dword v98, v[82:83], off offset:4
	s_nop 0
	global_load_dword v84, v[84:85], off offset:4
	s_nop 0
	;; [unrolled: 2-line block ×3, first 2 shown]
	global_load_dword v86, v[88:89], off offset:4
	global_load_dword v87, v[90:91], off offset:4
                                        ; kill: killed $vgpr88_vgpr89
                                        ; kill: killed $vgpr90_vgpr91
	s_nop 0
	global_load_dword v88, v[92:93], off offset:4
	global_load_dword v89, v[94:95], off offset:4
	;; [unrolled: 1-line block ×3, first 2 shown]
	v_add_u32_e32 v82, 4, v146
	v_mad_u64_u32 v[82:83], s[0:1], v82, 36, s[2:3]
	global_load_dword v82, v[82:83], off
	s_mov_b32 s0, 12
	v_mov_b32_e32 v146, v136
	v_mov_b32_e32 v147, v135
	v_mov_b32_e32 v148, v141
	v_mov_b32_e32 v149, v140
	v_mov_b32_e32 v150, v139
	v_mov_b32_e32 v151, v138
	v_mov_b32_e32 v152, v137
	s_waitcnt vmcnt(8)
	ds_write_b32 v77, v98
	s_waitcnt vmcnt(7)
	ds_write_b32 v116, v84
	;; [unrolled: 2-line block ×9, first 2 shown]
	s_waitcnt lgkmcnt(0)
	s_barrier
.LBB164_10:                             ;   Parent Loop BB164_6 Depth=1
                                        ; =>  This Inner Loop Header: Depth=2
	ds_read_b128 v[158:161], v147
	ds_read_b128 v[162:165], v147 offset:16
	ds_read2_b32 v[114:115], v146 offset1:32
	ds_read_b32 v153, v149
	ds_read2_b32 v[82:83], v148 offset1:1
	ds_read2_b32 v[86:87], v148 offset0:2 offset1:3
	ds_read2_b32 v[88:89], v148 offset0:4 offset1:5
	;; [unrolled: 1-line block ×3, first 2 shown]
	v_mov_b32_e32 v84, 0
	s_waitcnt lgkmcnt(3)
	v_dot4c_i32_i8_e32 v84, v82, v158
	v_dot4c_i32_i8_e32 v84, v83, v162
	s_waitcnt lgkmcnt(2)
	v_dot4c_i32_i8_e32 v84, v86, v159
	v_dot4c_i32_i8_e32 v84, v87, v163
	;; [unrolled: 3-line block ×4, first 2 shown]
	v_pk_mul_f16 v85, v114, v153
	v_add_u32_e32 v90, 0x2088, v148
	v_add_u32_e32 v95, 0x2090, v148
	v_cvt_f32_i32_e32 v84, v84
	v_mov_b32_e32 v94, 0
	v_add_u32_e32 v98, 0x4108, v148
	v_add_u32_e32 v102, 0x4110, v148
	v_fma_mix_f32 v84, v85, v84, v85 op_sel:[0,0,1] op_sel_hi:[1,0,1]
	v_add_f32_e32 v53, v53, v84
	v_add_u32_e32 v84, 0x2080, v148
	ds_read_b32 v154, v150
	ds_read2_b32 v[84:85], v84 offset1:1
	ds_read2_b32 v[90:91], v90 offset1:1
	;; [unrolled: 1-line block ×3, first 2 shown]
	v_add_u32_e32 v95, 0x2098, v148
	ds_read2_b32 v[100:101], v95 offset1:1
	s_waitcnt lgkmcnt(3)
	v_dot4c_i32_i8_e32 v94, v84, v158
	v_dot4c_i32_i8_e32 v94, v85, v162
	s_waitcnt lgkmcnt(2)
	v_dot4c_i32_i8_e32 v94, v90, v159
	v_dot4c_i32_i8_e32 v94, v91, v163
	;; [unrolled: 3-line block ×4, first 2 shown]
	v_pk_mul_f16 v95, v114, v154
	v_mov_b32_e32 v104, 0
	v_add_u32_e32 v105, 0x4118, v148
	v_cvt_f32_i32_e32 v94, v94
	v_add_u32_e32 v108, 0x6188, v148
	v_add_u32_e32 v110, 0x6190, v148
	v_mov_b32_e32 v157, 0
	v_fma_mix_f32 v94, v95, v94, v95 op_sel:[0,0,1] op_sel_hi:[1,0,1]
	v_add_f32_e32 v71, v71, v94
	v_add_u32_e32 v94, 0x4100, v148
	ds_read_b32 v155, v151
	ds_read2_b32 v[94:95], v94 offset1:1
	ds_read2_b32 v[98:99], v98 offset1:1
	;; [unrolled: 1-line block ×4, first 2 shown]
	s_waitcnt lgkmcnt(4)
	v_pk_mul_f16 v105, v114, v155
	s_waitcnt lgkmcnt(3)
	v_dot4c_i32_i8_e32 v104, v94, v158
	v_dot4c_i32_i8_e32 v104, v95, v162
	s_waitcnt lgkmcnt(2)
	v_dot4c_i32_i8_e32 v104, v98, v159
	v_dot4c_i32_i8_e32 v104, v99, v163
	s_waitcnt lgkmcnt(1)
	v_dot4c_i32_i8_e32 v104, v102, v160
	v_dot4c_i32_i8_e32 v104, v103, v164
	s_waitcnt lgkmcnt(0)
	v_dot4c_i32_i8_e32 v104, v106, v161
	v_dot4c_i32_i8_e32 v104, v107, v165
	v_add_u32_e32 v112, 0x6198, v148
	s_add_i32 s0, s0, 4
	v_add_u32_e32 v151, 4, v151
	v_cvt_f32_i32_e32 v104, v104
	v_add_u32_e32 v150, 4, v150
	v_add_u32_e32 v149, 4, v149
	s_cmp_lt_u32 s0, 28
	v_fma_mix_f32 v104, v105, v104, v105 op_sel:[0,0,1] op_sel_hi:[1,0,1]
	v_add_f32_e32 v67, v67, v104
	v_add_u32_e32 v104, 0x6180, v148
	ds_read_b32 v156, v152
	ds_read2_b32 v[104:105], v104 offset1:1
	ds_read2_b32 v[108:109], v108 offset1:1
	;; [unrolled: 1-line block ×4, first 2 shown]
	s_waitcnt lgkmcnt(4)
	v_pk_mul_f16 v114, v114, v156
	s_waitcnt lgkmcnt(3)
	v_dot4c_i32_i8_e32 v157, v104, v158
	v_dot4c_i32_i8_e32 v157, v105, v162
	s_waitcnt lgkmcnt(2)
	v_dot4c_i32_i8_e32 v157, v108, v159
	v_dot4c_i32_i8_e32 v157, v109, v163
	;; [unrolled: 3-line block ×4, first 2 shown]
	ds_read_b128 v[158:161], v147 offset:1024
	ds_read_b128 v[162:165], v147 offset:1040
	v_add_u32_e32 v152, 4, v152
	v_cvt_f32_i32_e32 v157, v157
	v_add_u32_e32 v148, 32, v148
	v_fma_mix_f32 v114, v114, v157, v114 op_sel:[0,0,1] op_sel_hi:[1,0,1]
	v_add_f32_e32 v65, v65, v114
	v_mov_b32_e32 v114, 0
	s_waitcnt lgkmcnt(1)
	v_dot4c_i32_i8_e32 v114, v82, v158
	s_waitcnt lgkmcnt(0)
	v_dot4c_i32_i8_e32 v114, v83, v162
	v_dot4c_i32_i8_e32 v114, v86, v159
	;; [unrolled: 1-line block ×7, first 2 shown]
	v_pk_mul_f16 v157, v153, v115
	s_nop 1
	v_cvt_f32_i32_e32 v114, v114
	v_fma_mix_f32 v114, v114, v157, v157 op_sel:[0,0,1] op_sel_hi:[0,1,1]
	v_add_f32_e32 v63, v63, v114
	v_mov_b32_e32 v114, 0
	v_dot4c_i32_i8_e32 v114, v84, v158
	v_dot4c_i32_i8_e32 v114, v85, v162
	;; [unrolled: 1-line block ×8, first 2 shown]
	v_pk_mul_f16 v157, v154, v115
	s_nop 1
	v_cvt_f32_i32_e32 v114, v114
	v_fma_mix_f32 v114, v114, v157, v157 op_sel:[0,0,1] op_sel_hi:[0,1,1]
	v_add_f32_e32 v59, v59, v114
	v_mov_b32_e32 v114, 0
	v_dot4c_i32_i8_e32 v114, v94, v158
	v_dot4c_i32_i8_e32 v114, v95, v162
	;; [unrolled: 1-line block ×8, first 2 shown]
	v_pk_mul_f16 v157, v155, v115
	v_pk_mul_f16 v115, v156, v115
	s_nop 0
	v_cvt_f32_i32_e32 v114, v114
	v_fma_mix_f32 v114, v114, v157, v157 op_sel:[0,0,1] op_sel_hi:[0,1,1]
	v_add_f32_e32 v57, v57, v114
	v_mov_b32_e32 v114, 0
	v_dot4c_i32_i8_e32 v114, v104, v158
	v_dot4c_i32_i8_e32 v114, v105, v162
	v_dot4c_i32_i8_e32 v114, v108, v159
	v_dot4c_i32_i8_e32 v114, v109, v163
	v_dot4c_i32_i8_e32 v114, v110, v160
	v_dot4c_i32_i8_e32 v114, v111, v164
	v_dot4c_i32_i8_e32 v114, v112, v161
	v_dot4c_i32_i8_e32 v114, v113, v165
	v_mov_b32_e32 v157, 0
	s_nop 1
	v_cvt_f32_i32_e32 v114, v114
	v_fma_mix_f32 v114, v114, v115, v115 op_sel:[0,0,1] op_sel_hi:[0,1,1]
	v_add_f32_e32 v55, v55, v114
	ds_read_b128 v[158:161], v147 offset:2048
	ds_read_b128 v[162:165], v147 offset:2064
	ds_read2_b32 v[114:115], v146 offset0:64 offset1:96
	s_waitcnt lgkmcnt(2)
	v_dot4c_i32_i8_e32 v157, v82, v158
	s_waitcnt lgkmcnt(1)
	v_dot4c_i32_i8_e32 v157, v83, v162
	v_dot4c_i32_i8_e32 v157, v86, v159
	;; [unrolled: 1-line block ×7, first 2 shown]
	s_waitcnt lgkmcnt(0)
	v_pk_mul_f16 v166, v153, v114
	s_nop 0
	v_cvt_f32_i32_e32 v157, v157
	v_fma_mix_f32 v157, v157, v166, v166 op_sel:[0,0,1] op_sel_hi:[0,1,1]
	v_add_f32_e32 v51, v51, v157
	v_mov_b32_e32 v157, 0
	v_dot4c_i32_i8_e32 v157, v84, v158
	v_dot4c_i32_i8_e32 v157, v85, v162
	;; [unrolled: 1-line block ×8, first 2 shown]
	v_pk_mul_f16 v166, v154, v114
	s_nop 1
	v_cvt_f32_i32_e32 v157, v157
	v_fma_mix_f32 v157, v157, v166, v166 op_sel:[0,0,1] op_sel_hi:[0,1,1]
	v_add_f32_e32 v47, v47, v157
	v_mov_b32_e32 v157, 0
	v_dot4c_i32_i8_e32 v157, v94, v158
	v_dot4c_i32_i8_e32 v157, v95, v162
	;; [unrolled: 1-line block ×8, first 2 shown]
	v_pk_mul_f16 v166, v155, v114
	v_pk_mul_f16 v114, v156, v114
	s_nop 0
	v_cvt_f32_i32_e32 v157, v157
	v_fma_mix_f32 v157, v157, v166, v166 op_sel:[0,0,1] op_sel_hi:[0,1,1]
	v_add_f32_e32 v43, v43, v157
	v_mov_b32_e32 v157, 0
	v_dot4c_i32_i8_e32 v157, v104, v158
	v_dot4c_i32_i8_e32 v157, v105, v162
	;; [unrolled: 1-line block ×8, first 2 shown]
	ds_read_b128 v[158:161], v147 offset:3072
	ds_read_b128 v[162:165], v147 offset:3088
	s_nop 0
	v_cvt_f32_i32_e32 v157, v157
	v_fma_mix_f32 v114, v157, v114, v114 op_sel:[0,0,1] op_sel_hi:[0,1,1]
	v_add_f32_e32 v41, v41, v114
	v_mov_b32_e32 v114, 0
	s_waitcnt lgkmcnt(1)
	v_dot4c_i32_i8_e32 v114, v82, v158
	s_waitcnt lgkmcnt(0)
	v_dot4c_i32_i8_e32 v114, v83, v162
	v_dot4c_i32_i8_e32 v114, v86, v159
	;; [unrolled: 1-line block ×7, first 2 shown]
	v_pk_mul_f16 v157, v153, v115
	s_nop 1
	v_cvt_f32_i32_e32 v114, v114
	v_fma_mix_f32 v114, v114, v157, v157 op_sel:[0,0,1] op_sel_hi:[0,1,1]
	v_add_f32_e32 v39, v39, v114
	v_mov_b32_e32 v114, 0
	v_dot4c_i32_i8_e32 v114, v84, v158
	v_dot4c_i32_i8_e32 v114, v85, v162
	;; [unrolled: 1-line block ×8, first 2 shown]
	v_pk_mul_f16 v157, v154, v115
	s_nop 1
	v_cvt_f32_i32_e32 v114, v114
	v_fma_mix_f32 v114, v114, v157, v157 op_sel:[0,0,1] op_sel_hi:[0,1,1]
	v_add_f32_e32 v37, v37, v114
	v_mov_b32_e32 v114, 0
	v_dot4c_i32_i8_e32 v114, v94, v158
	v_dot4c_i32_i8_e32 v114, v95, v162
	;; [unrolled: 1-line block ×8, first 2 shown]
	v_pk_mul_f16 v157, v155, v115
	v_pk_mul_f16 v115, v156, v115
	s_nop 0
	v_cvt_f32_i32_e32 v114, v114
	v_fma_mix_f32 v114, v114, v157, v157 op_sel:[0,0,1] op_sel_hi:[0,1,1]
	v_add_f32_e32 v35, v35, v114
	v_mov_b32_e32 v114, 0
	v_dot4c_i32_i8_e32 v114, v104, v158
	v_dot4c_i32_i8_e32 v114, v105, v162
	v_dot4c_i32_i8_e32 v114, v108, v159
	v_dot4c_i32_i8_e32 v114, v109, v163
	v_dot4c_i32_i8_e32 v114, v110, v160
	v_dot4c_i32_i8_e32 v114, v111, v164
	v_dot4c_i32_i8_e32 v114, v112, v161
	v_dot4c_i32_i8_e32 v114, v113, v165
	v_mov_b32_e32 v157, 0
	s_nop 1
	v_cvt_f32_i32_e32 v114, v114
	v_fma_mix_f32 v114, v114, v115, v115 op_sel:[0,0,1] op_sel_hi:[0,1,1]
	v_add_f32_e32 v33, v33, v114
	ds_read_b128 v[158:161], v147 offset:4096
	ds_read_b128 v[162:165], v147 offset:4112
	ds_read2_b32 v[114:115], v146 offset0:128 offset1:160
	s_waitcnt lgkmcnt(2)
	v_dot4c_i32_i8_e32 v157, v82, v158
	s_waitcnt lgkmcnt(1)
	v_dot4c_i32_i8_e32 v157, v83, v162
	v_dot4c_i32_i8_e32 v157, v86, v159
	;; [unrolled: 1-line block ×7, first 2 shown]
	s_waitcnt lgkmcnt(0)
	v_pk_mul_f16 v166, v153, v114
	s_nop 0
	v_cvt_f32_i32_e32 v157, v157
	v_fma_mix_f32 v157, v157, v166, v166 op_sel:[0,0,1] op_sel_hi:[0,1,1]
	v_add_f32_e32 v31, v31, v157
	v_mov_b32_e32 v157, 0
	v_dot4c_i32_i8_e32 v157, v84, v158
	v_dot4c_i32_i8_e32 v157, v85, v162
	;; [unrolled: 1-line block ×8, first 2 shown]
	v_pk_mul_f16 v166, v154, v114
	s_nop 1
	v_cvt_f32_i32_e32 v157, v157
	v_fma_mix_f32 v157, v157, v166, v166 op_sel:[0,0,1] op_sel_hi:[0,1,1]
	v_add_f32_e32 v29, v29, v157
	v_mov_b32_e32 v157, 0
	v_dot4c_i32_i8_e32 v157, v94, v158
	v_dot4c_i32_i8_e32 v157, v95, v162
	;; [unrolled: 1-line block ×8, first 2 shown]
	v_pk_mul_f16 v166, v155, v114
	v_pk_mul_f16 v114, v156, v114
	s_nop 0
	v_cvt_f32_i32_e32 v157, v157
	v_fma_mix_f32 v157, v157, v166, v166 op_sel:[0,0,1] op_sel_hi:[0,1,1]
	v_add_f32_e32 v27, v27, v157
	v_mov_b32_e32 v157, 0
	v_dot4c_i32_i8_e32 v157, v104, v158
	v_dot4c_i32_i8_e32 v157, v105, v162
	;; [unrolled: 1-line block ×8, first 2 shown]
	ds_read_b128 v[158:161], v147 offset:5120
	ds_read_b128 v[162:165], v147 offset:5136
	s_nop 0
	v_cvt_f32_i32_e32 v157, v157
	v_fma_mix_f32 v114, v157, v114, v114 op_sel:[0,0,1] op_sel_hi:[0,1,1]
	v_add_f32_e32 v25, v25, v114
	v_mov_b32_e32 v114, 0
	s_waitcnt lgkmcnt(1)
	v_dot4c_i32_i8_e32 v114, v82, v158
	s_waitcnt lgkmcnt(0)
	v_dot4c_i32_i8_e32 v114, v83, v162
	v_dot4c_i32_i8_e32 v114, v86, v159
	;; [unrolled: 1-line block ×7, first 2 shown]
	v_pk_mul_f16 v157, v153, v115
	s_nop 1
	v_cvt_f32_i32_e32 v114, v114
	v_fma_mix_f32 v114, v114, v157, v157 op_sel:[0,0,1] op_sel_hi:[0,1,1]
	v_add_f32_e32 v23, v23, v114
	v_mov_b32_e32 v114, 0
	v_dot4c_i32_i8_e32 v114, v84, v158
	v_dot4c_i32_i8_e32 v114, v85, v162
	;; [unrolled: 1-line block ×8, first 2 shown]
	v_pk_mul_f16 v157, v154, v115
	s_nop 1
	v_cvt_f32_i32_e32 v114, v114
	v_fma_mix_f32 v114, v114, v157, v157 op_sel:[0,0,1] op_sel_hi:[0,1,1]
	v_add_f32_e32 v21, v21, v114
	v_mov_b32_e32 v114, 0
	v_dot4c_i32_i8_e32 v114, v94, v158
	v_dot4c_i32_i8_e32 v114, v95, v162
	;; [unrolled: 1-line block ×8, first 2 shown]
	v_pk_mul_f16 v157, v155, v115
	v_pk_mul_f16 v115, v156, v115
	s_nop 0
	v_cvt_f32_i32_e32 v114, v114
	v_fma_mix_f32 v114, v114, v157, v157 op_sel:[0,0,1] op_sel_hi:[0,1,1]
	v_add_f32_e32 v19, v19, v114
	v_mov_b32_e32 v114, 0
	v_dot4c_i32_i8_e32 v114, v104, v158
	v_dot4c_i32_i8_e32 v114, v105, v162
	;; [unrolled: 1-line block ×8, first 2 shown]
	v_mov_b32_e32 v157, 0
	s_nop 1
	v_cvt_f32_i32_e32 v114, v114
	v_fma_mix_f32 v114, v114, v115, v115 op_sel:[0,0,1] op_sel_hi:[0,1,1]
	v_add_f32_e32 v17, v17, v114
	ds_read_b128 v[158:161], v147 offset:6144
	ds_read_b128 v[162:165], v147 offset:6160
	ds_read2_b32 v[114:115], v146 offset0:192 offset1:224
	v_add_u32_e32 v146, 4, v146
	s_waitcnt lgkmcnt(2)
	v_dot4c_i32_i8_e32 v157, v82, v158
	s_waitcnt lgkmcnt(1)
	v_dot4c_i32_i8_e32 v157, v83, v162
	v_dot4c_i32_i8_e32 v157, v86, v159
	;; [unrolled: 1-line block ×7, first 2 shown]
	s_waitcnt lgkmcnt(0)
	v_pk_mul_f16 v166, v153, v114
	s_nop 0
	v_cvt_f32_i32_e32 v157, v157
	v_fma_mix_f32 v157, v157, v166, v166 op_sel:[0,0,1] op_sel_hi:[0,1,1]
	v_add_f32_e32 v15, v15, v157
	v_mov_b32_e32 v157, 0
	v_dot4c_i32_i8_e32 v157, v84, v158
	v_dot4c_i32_i8_e32 v157, v85, v162
	v_dot4c_i32_i8_e32 v157, v90, v159
	v_dot4c_i32_i8_e32 v157, v91, v163
	v_dot4c_i32_i8_e32 v157, v96, v160
	v_dot4c_i32_i8_e32 v157, v97, v164
	v_dot4c_i32_i8_e32 v157, v100, v161
	v_dot4c_i32_i8_e32 v157, v101, v165
	v_pk_mul_f16 v166, v154, v114
	s_nop 1
	v_cvt_f32_i32_e32 v157, v157
	v_fma_mix_f32 v157, v157, v166, v166 op_sel:[0,0,1] op_sel_hi:[0,1,1]
	v_add_f32_e32 v13, v13, v157
	v_mov_b32_e32 v157, 0
	v_dot4c_i32_i8_e32 v157, v94, v158
	v_dot4c_i32_i8_e32 v157, v95, v162
	;; [unrolled: 1-line block ×8, first 2 shown]
	v_pk_mul_f16 v166, v155, v114
	v_pk_mul_f16 v114, v156, v114
	s_nop 0
	v_cvt_f32_i32_e32 v157, v157
	v_fma_mix_f32 v157, v157, v166, v166 op_sel:[0,0,1] op_sel_hi:[0,1,1]
	v_add_f32_e32 v11, v11, v157
	v_mov_b32_e32 v157, 0
	v_dot4c_i32_i8_e32 v157, v104, v158
	v_dot4c_i32_i8_e32 v157, v105, v162
	;; [unrolled: 1-line block ×8, first 2 shown]
	ds_read_b128 v[158:161], v147 offset:7168
	ds_read_b128 v[162:165], v147 offset:7184
	v_add_u32_e32 v147, 32, v147
	v_cvt_f32_i32_e32 v157, v157
	v_fma_mix_f32 v114, v157, v114, v114 op_sel:[0,0,1] op_sel_hi:[0,1,1]
	v_add_f32_e32 v9, v9, v114
	v_mov_b32_e32 v114, 0
	s_waitcnt lgkmcnt(1)
	v_dot4c_i32_i8_e32 v114, v82, v158
	s_waitcnt lgkmcnt(0)
	v_dot4c_i32_i8_e32 v114, v83, v162
	v_dot4c_i32_i8_e32 v114, v86, v159
	v_dot4c_i32_i8_e32 v114, v87, v163
	v_dot4c_i32_i8_e32 v114, v88, v160
	v_dot4c_i32_i8_e32 v114, v89, v164
	v_dot4c_i32_i8_e32 v114, v92, v161
	v_dot4c_i32_i8_e32 v114, v93, v165
	v_pk_mul_f16 v82, v153, v115
	s_nop 1
	v_cvt_f32_i32_e32 v83, v114
	v_fma_mix_f32 v82, v83, v82, v82 op_sel:[0,0,1] op_sel_hi:[0,1,1]
	v_add_f32_e32 v7, v7, v82
	v_mov_b32_e32 v82, 0
	v_dot4c_i32_i8_e32 v82, v84, v158
	v_dot4c_i32_i8_e32 v82, v85, v162
	v_dot4c_i32_i8_e32 v82, v90, v159
	v_dot4c_i32_i8_e32 v82, v91, v163
	v_dot4c_i32_i8_e32 v82, v96, v160
	v_dot4c_i32_i8_e32 v82, v97, v164
	v_dot4c_i32_i8_e32 v82, v100, v161
	v_dot4c_i32_i8_e32 v82, v101, v165
	v_pk_mul_f16 v83, v154, v115
	s_nop 1
	v_cvt_f32_i32_e32 v82, v82
	v_fma_mix_f32 v82, v82, v83, v83 op_sel:[0,0,1] op_sel_hi:[0,1,1]
	v_add_f32_e32 v5, v5, v82
	v_mov_b32_e32 v82, 0
	v_dot4c_i32_i8_e32 v82, v94, v158
	;; [unrolled: 14-line block ×3, first 2 shown]
	v_dot4c_i32_i8_e32 v82, v105, v162
	v_dot4c_i32_i8_e32 v82, v108, v159
	;; [unrolled: 1-line block ×7, first 2 shown]
	v_pk_mul_f16 v83, v156, v115
	s_nop 1
	v_cvt_f32_i32_e32 v82, v82
	v_fma_mix_f32 v82, v82, v83, v83 op_sel:[0,0,1] op_sel_hi:[0,1,1]
	v_add_f32_e32 v1, v1, v82
	s_cbranch_scc1 .LBB164_10
; %bb.11:                               ;   in Loop: Header=BB164_6 Depth=1
	s_barrier
	s_branch .LBB164_5
.LBB164_12:
	v_mov_b32_e32 v2, v49
.LBB164_13:
	v_cmp_gt_u32_e32 vcc, s10, v61
	s_and_saveexec_b64 s[0:1], vcc
	s_cbranch_execz .LBB164_64
; %bb.14:
	v_add_u32_e32 v0, s6, v45
	v_mul_lo_u32 v10, v61, s14
	v_cmp_gt_u32_e32 vcc, s14, v0
	s_and_saveexec_b64 s[2:3], vcc
	s_cbranch_execz .LBB164_16
; %bb.15:
	v_bfe_u32 v4, v53, 16, 1
	s_movk_i32 s0, 0x7fff
	v_add3_u32 v4, v53, v4, s0
	v_add_u32_e32 v44, v0, v10
	v_mov_b32_e32 v45, 0
	v_lshrrev_b32_e32 v4, 16, v4
	v_mov_b32_e32 v6, 0x7fc0
	v_cmp_o_f32_e64 s[0:1], v53, v53
	v_lshlrev_b64 v[44:45], 1, v[44:45]
	v_cndmask_b32_e64 v4, v6, v4, s[0:1]
	s_waitcnt lgkmcnt(0)
	v_mov_b32_e32 v6, s13
	v_add_co_u32_e64 v44, s[0:1], s12, v44
	v_addc_co_u32_e64 v45, s[0:1], v6, v45, s[0:1]
	global_store_short v[44:45], v4, off
.LBB164_16:
	s_or_b64 exec, exec, s[2:3]
	v_add_u32_e32 v4, 32, v0
	v_cmp_gt_u32_e64 s[0:1], s14, v4
	s_and_saveexec_b64 s[4:5], s[0:1]
	s_cbranch_execz .LBB164_18
; %bb.17:
	v_bfe_u32 v6, v71, 16, 1
	s_movk_i32 s2, 0x7fff
	v_add3_u32 v6, v71, v6, s2
	v_add_u32_e32 v44, v4, v10
	v_mov_b32_e32 v45, 0
	v_lshrrev_b32_e32 v6, 16, v6
	v_mov_b32_e32 v8, 0x7fc0
	v_cmp_o_f32_e64 s[2:3], v71, v71
	v_lshlrev_b64 v[44:45], 1, v[44:45]
	v_cndmask_b32_e64 v6, v8, v6, s[2:3]
	s_waitcnt lgkmcnt(0)
	v_mov_b32_e32 v8, s13
	v_add_co_u32_e64 v44, s[2:3], s12, v44
	v_addc_co_u32_e64 v45, s[2:3], v8, v45, s[2:3]
	global_store_short v[44:45], v6, off
.LBB164_18:
	s_or_b64 exec, exec, s[4:5]
	v_add_u32_e32 v6, 64, v0
	v_cmp_gt_u32_e64 s[2:3], s14, v6
	s_and_saveexec_b64 s[6:7], s[2:3]
	;; [unrolled: 22-line block ×3, first 2 shown]
	s_cbranch_execz .LBB164_22
; %bb.21:
	v_bfe_u32 v12, v65, 16, 1
	s_movk_i32 s6, 0x7fff
	v_add3_u32 v12, v65, v12, s6
	v_add_u32_e32 v44, v8, v10
	v_mov_b32_e32 v45, 0
	v_lshrrev_b32_e32 v12, 16, v12
	v_mov_b32_e32 v14, 0x7fc0
	v_cmp_o_f32_e64 s[6:7], v65, v65
	v_lshlrev_b64 v[44:45], 1, v[44:45]
	v_cndmask_b32_e64 v12, v14, v12, s[6:7]
	s_waitcnt lgkmcnt(0)
	v_mov_b32_e32 v10, s13
	v_add_co_u32_e64 v44, s[6:7], s12, v44
	v_addc_co_u32_e64 v45, s[6:7], v10, v45, s[6:7]
	global_store_short v[44:45], v12, off
.LBB164_22:
	s_or_b64 exec, exec, s[8:9]
	v_add3_u32 v10, v2, s15, 8
	v_cmp_gt_u32_e64 s[6:7], s10, v10
	s_and_b64 exec, exec, s[6:7]
	s_cbranch_execz .LBB164_64
; %bb.23:
	v_mul_lo_u32 v10, v10, s14
	s_and_saveexec_b64 s[8:9], vcc
	s_cbranch_execnz .LBB164_65
; %bb.24:
	s_or_b64 exec, exec, s[8:9]
	s_and_saveexec_b64 s[8:9], s[0:1]
	s_cbranch_execnz .LBB164_66
.LBB164_25:
	s_or_b64 exec, exec, s[8:9]
	s_and_saveexec_b64 s[8:9], s[2:3]
	s_cbranch_execnz .LBB164_67
.LBB164_26:
	s_or_b64 exec, exec, s[8:9]
	s_and_saveexec_b64 s[8:9], s[4:5]
	s_cbranch_execz .LBB164_28
.LBB164_27:
	v_bfe_u32 v12, v55, 16, 1
	s_movk_i32 s6, 0x7fff
	v_add3_u32 v12, v55, v12, s6
	v_add_u32_e32 v44, v10, v8
	v_mov_b32_e32 v45, 0
	v_lshrrev_b32_e32 v12, 16, v12
	v_mov_b32_e32 v14, 0x7fc0
	v_cmp_o_f32_e64 s[6:7], v55, v55
	v_lshlrev_b64 v[44:45], 1, v[44:45]
	v_cndmask_b32_e64 v12, v14, v12, s[6:7]
	s_waitcnt lgkmcnt(0)
	v_mov_b32_e32 v10, s13
	v_add_co_u32_e64 v44, s[6:7], s12, v44
	v_addc_co_u32_e64 v45, s[6:7], v10, v45, s[6:7]
	global_store_short v[44:45], v12, off
.LBB164_28:
	s_or_b64 exec, exec, s[8:9]
	v_add3_u32 v10, v2, s15, 16
	v_cmp_gt_u32_e64 s[6:7], s10, v10
	s_and_b64 exec, exec, s[6:7]
	s_cbranch_execz .LBB164_64
; %bb.29:
	v_mul_lo_u32 v10, v10, s14
	s_and_saveexec_b64 s[8:9], vcc
	s_cbranch_execnz .LBB164_68
; %bb.30:
	s_or_b64 exec, exec, s[8:9]
	s_and_saveexec_b64 s[8:9], s[0:1]
	s_cbranch_execnz .LBB164_69
.LBB164_31:
	s_or_b64 exec, exec, s[8:9]
	s_and_saveexec_b64 s[8:9], s[2:3]
	s_cbranch_execnz .LBB164_70
.LBB164_32:
	s_or_b64 exec, exec, s[8:9]
	s_and_saveexec_b64 s[8:9], s[4:5]
	s_cbranch_execz .LBB164_34
.LBB164_33:
	v_bfe_u32 v12, v41, 16, 1
	s_movk_i32 s6, 0x7fff
	v_add3_u32 v12, v41, v12, s6
	v_cmp_o_f32_e64 s[6:7], v41, v41
	v_add_u32_e32 v40, v10, v8
	v_mov_b32_e32 v41, 0
	v_lshrrev_b32_e32 v12, 16, v12
	v_mov_b32_e32 v14, 0x7fc0
	v_lshlrev_b64 v[40:41], 1, v[40:41]
	v_cndmask_b32_e64 v12, v14, v12, s[6:7]
	s_waitcnt lgkmcnt(0)
	v_mov_b32_e32 v10, s13
	v_add_co_u32_e64 v40, s[6:7], s12, v40
	v_addc_co_u32_e64 v41, s[6:7], v10, v41, s[6:7]
	global_store_short v[40:41], v12, off
.LBB164_34:
	s_or_b64 exec, exec, s[8:9]
	v_add3_u32 v10, v2, s15, 24
	v_cmp_gt_u32_e64 s[6:7], s10, v10
	s_and_b64 exec, exec, s[6:7]
	s_cbranch_execz .LBB164_64
; %bb.35:
	v_mul_lo_u32 v10, v10, s14
	s_and_saveexec_b64 s[8:9], vcc
	s_cbranch_execnz .LBB164_71
; %bb.36:
	s_or_b64 exec, exec, s[8:9]
	s_and_saveexec_b64 s[8:9], s[0:1]
	s_cbranch_execnz .LBB164_72
.LBB164_37:
	s_or_b64 exec, exec, s[8:9]
	s_and_saveexec_b64 s[8:9], s[2:3]
	s_cbranch_execnz .LBB164_73
.LBB164_38:
	s_or_b64 exec, exec, s[8:9]
	s_and_saveexec_b64 s[8:9], s[4:5]
	s_cbranch_execz .LBB164_40
.LBB164_39:
	v_bfe_u32 v12, v33, 16, 1
	s_movk_i32 s6, 0x7fff
	v_add3_u32 v12, v33, v12, s6
	v_cmp_o_f32_e64 s[6:7], v33, v33
	v_add_u32_e32 v32, v10, v8
	v_mov_b32_e32 v33, 0
	v_lshrrev_b32_e32 v12, 16, v12
	v_mov_b32_e32 v14, 0x7fc0
	v_lshlrev_b64 v[32:33], 1, v[32:33]
	v_cndmask_b32_e64 v12, v14, v12, s[6:7]
	s_waitcnt lgkmcnt(0)
	v_mov_b32_e32 v10, s13
	v_add_co_u32_e64 v32, s[6:7], s12, v32
	v_addc_co_u32_e64 v33, s[6:7], v10, v33, s[6:7]
	global_store_short v[32:33], v12, off
.LBB164_40:
	s_or_b64 exec, exec, s[8:9]
	v_add3_u32 v10, v2, s15, 32
	v_cmp_gt_u32_e64 s[6:7], s10, v10
	s_and_b64 exec, exec, s[6:7]
	s_cbranch_execz .LBB164_64
; %bb.41:
	v_mul_lo_u32 v10, v10, s14
	s_and_saveexec_b64 s[8:9], vcc
	s_cbranch_execnz .LBB164_74
; %bb.42:
	s_or_b64 exec, exec, s[8:9]
	s_and_saveexec_b64 s[8:9], s[0:1]
	s_cbranch_execnz .LBB164_75
.LBB164_43:
	s_or_b64 exec, exec, s[8:9]
	s_and_saveexec_b64 s[8:9], s[2:3]
	s_cbranch_execnz .LBB164_76
.LBB164_44:
	s_or_b64 exec, exec, s[8:9]
	s_and_saveexec_b64 s[8:9], s[4:5]
	s_cbranch_execz .LBB164_46
.LBB164_45:
	v_bfe_u32 v12, v25, 16, 1
	s_movk_i32 s6, 0x7fff
	v_add3_u32 v12, v25, v12, s6
	v_cmp_o_f32_e64 s[6:7], v25, v25
	v_add_u32_e32 v24, v10, v8
	v_mov_b32_e32 v25, 0
	v_lshrrev_b32_e32 v12, 16, v12
	v_mov_b32_e32 v14, 0x7fc0
	v_lshlrev_b64 v[24:25], 1, v[24:25]
	v_cndmask_b32_e64 v12, v14, v12, s[6:7]
	s_waitcnt lgkmcnt(0)
	v_mov_b32_e32 v10, s13
	v_add_co_u32_e64 v24, s[6:7], s12, v24
	v_addc_co_u32_e64 v25, s[6:7], v10, v25, s[6:7]
	global_store_short v[24:25], v12, off
.LBB164_46:
	s_or_b64 exec, exec, s[8:9]
	v_add3_u32 v10, v2, s15, 40
	v_cmp_gt_u32_e64 s[6:7], s10, v10
	s_and_b64 exec, exec, s[6:7]
	s_cbranch_execz .LBB164_64
; %bb.47:
	v_mul_lo_u32 v10, v10, s14
	s_and_saveexec_b64 s[8:9], vcc
	s_cbranch_execnz .LBB164_77
; %bb.48:
	s_or_b64 exec, exec, s[8:9]
	s_and_saveexec_b64 s[8:9], s[0:1]
	s_cbranch_execnz .LBB164_78
.LBB164_49:
	s_or_b64 exec, exec, s[8:9]
	s_and_saveexec_b64 s[8:9], s[2:3]
	s_cbranch_execnz .LBB164_79
.LBB164_50:
	s_or_b64 exec, exec, s[8:9]
	s_and_saveexec_b64 s[8:9], s[4:5]
	s_cbranch_execz .LBB164_52
.LBB164_51:
	v_bfe_u32 v12, v17, 16, 1
	s_movk_i32 s6, 0x7fff
	v_add3_u32 v12, v17, v12, s6
	v_cmp_o_f32_e64 s[6:7], v17, v17
	v_add_u32_e32 v16, v10, v8
	v_mov_b32_e32 v17, 0
	v_lshrrev_b32_e32 v12, 16, v12
	v_mov_b32_e32 v14, 0x7fc0
	v_lshlrev_b64 v[16:17], 1, v[16:17]
	v_cndmask_b32_e64 v12, v14, v12, s[6:7]
	s_waitcnt lgkmcnt(0)
	v_mov_b32_e32 v10, s13
	v_add_co_u32_e64 v16, s[6:7], s12, v16
	v_addc_co_u32_e64 v17, s[6:7], v10, v17, s[6:7]
	global_store_short v[16:17], v12, off
.LBB164_52:
	s_or_b64 exec, exec, s[8:9]
	v_add3_u32 v10, v2, s15, 48
	v_cmp_gt_u32_e64 s[6:7], s10, v10
	s_and_b64 exec, exec, s[6:7]
	s_cbranch_execz .LBB164_64
; %bb.53:
	v_mul_lo_u32 v10, v10, s14
	s_and_saveexec_b64 s[8:9], vcc
	s_cbranch_execnz .LBB164_80
; %bb.54:
	s_or_b64 exec, exec, s[8:9]
	s_and_saveexec_b64 s[8:9], s[0:1]
	s_cbranch_execnz .LBB164_81
.LBB164_55:
	s_or_b64 exec, exec, s[8:9]
	s_and_saveexec_b64 s[8:9], s[2:3]
	s_cbranch_execnz .LBB164_82
.LBB164_56:
	s_or_b64 exec, exec, s[8:9]
	s_and_saveexec_b64 s[8:9], s[4:5]
	s_cbranch_execz .LBB164_58
.LBB164_57:
	v_bfe_u32 v11, v9, 16, 1
	s_movk_i32 s6, 0x7fff
	v_add3_u32 v11, v9, v11, s6
	v_lshrrev_b32_e32 v11, 16, v11
	v_mov_b32_e32 v12, 0x7fc0
	v_cmp_o_f32_e64 s[6:7], v9, v9
	v_cndmask_b32_e64 v9, v12, v11, s[6:7]
	v_add_u32_e32 v10, v10, v8
	v_mov_b32_e32 v11, 0
	v_lshlrev_b64 v[10:11], 1, v[10:11]
	s_waitcnt lgkmcnt(0)
	v_mov_b32_e32 v12, s13
	v_add_co_u32_e64 v10, s[6:7], s12, v10
	v_addc_co_u32_e64 v11, s[6:7], v12, v11, s[6:7]
	global_store_short v[10:11], v9, off
.LBB164_58:
	s_or_b64 exec, exec, s[8:9]
	v_add3_u32 v2, v2, s15, 56
	v_cmp_gt_u32_e64 s[6:7], s10, v2
	s_and_b64 exec, exec, s[6:7]
	s_cbranch_execz .LBB164_64
; %bb.59:
	v_mul_lo_u32 v2, v2, s14
	s_and_saveexec_b64 s[6:7], vcc
	s_cbranch_execnz .LBB164_83
; %bb.60:
	s_or_b64 exec, exec, s[6:7]
	s_and_saveexec_b64 s[6:7], s[0:1]
	s_cbranch_execnz .LBB164_84
.LBB164_61:
	s_or_b64 exec, exec, s[6:7]
	s_and_saveexec_b64 s[0:1], s[2:3]
	s_cbranch_execnz .LBB164_85
.LBB164_62:
	s_or_b64 exec, exec, s[0:1]
	s_and_b64 exec, exec, s[4:5]
	s_cbranch_execz .LBB164_64
.LBB164_63:
	v_bfe_u32 v0, v1, 16, 1
	s_movk_i32 s0, 0x7fff
	v_add3_u32 v0, v1, v0, s0
	v_lshrrev_b32_e32 v0, 16, v0
	v_mov_b32_e32 v3, 0x7fc0
	v_cmp_o_f32_e32 vcc, v1, v1
	v_cndmask_b32_e32 v3, v3, v0, vcc
	v_add_u32_e32 v0, v2, v8
	v_mov_b32_e32 v1, 0
	v_lshlrev_b64 v[0:1], 1, v[0:1]
	s_waitcnt lgkmcnt(0)
	v_mov_b32_e32 v2, s13
	v_add_co_u32_e32 v0, vcc, s12, v0
	v_addc_co_u32_e32 v1, vcc, v2, v1, vcc
	global_store_short v[0:1], v3, off
.LBB164_64:
	s_endpgm
.LBB164_65:
	v_bfe_u32 v12, v63, 16, 1
	s_movk_i32 s6, 0x7fff
	v_add3_u32 v12, v63, v12, s6
	v_add_u32_e32 v44, v10, v0
	v_mov_b32_e32 v45, 0
	v_lshrrev_b32_e32 v12, 16, v12
	v_mov_b32_e32 v14, 0x7fc0
	v_cmp_o_f32_e64 s[6:7], v63, v63
	v_lshlrev_b64 v[44:45], 1, v[44:45]
	v_cndmask_b32_e64 v12, v14, v12, s[6:7]
	s_waitcnt lgkmcnt(0)
	v_mov_b32_e32 v14, s13
	v_add_co_u32_e64 v44, s[6:7], s12, v44
	v_addc_co_u32_e64 v45, s[6:7], v14, v45, s[6:7]
	global_store_short v[44:45], v12, off
	s_or_b64 exec, exec, s[8:9]
	s_and_saveexec_b64 s[8:9], s[0:1]
	s_cbranch_execz .LBB164_25
.LBB164_66:
	v_bfe_u32 v12, v59, 16, 1
	s_movk_i32 s6, 0x7fff
	v_add3_u32 v12, v59, v12, s6
	v_add_u32_e32 v44, v10, v4
	v_mov_b32_e32 v45, 0
	v_lshrrev_b32_e32 v12, 16, v12
	v_mov_b32_e32 v14, 0x7fc0
	v_cmp_o_f32_e64 s[6:7], v59, v59
	v_lshlrev_b64 v[44:45], 1, v[44:45]
	v_cndmask_b32_e64 v12, v14, v12, s[6:7]
	s_waitcnt lgkmcnt(0)
	v_mov_b32_e32 v14, s13
	v_add_co_u32_e64 v44, s[6:7], s12, v44
	v_addc_co_u32_e64 v45, s[6:7], v14, v45, s[6:7]
	global_store_short v[44:45], v12, off
	s_or_b64 exec, exec, s[8:9]
	s_and_saveexec_b64 s[8:9], s[2:3]
	s_cbranch_execz .LBB164_26
.LBB164_67:
	v_bfe_u32 v12, v57, 16, 1
	s_movk_i32 s6, 0x7fff
	v_add3_u32 v12, v57, v12, s6
	v_add_u32_e32 v44, v10, v6
	v_mov_b32_e32 v45, 0
	v_lshrrev_b32_e32 v12, 16, v12
	v_mov_b32_e32 v14, 0x7fc0
	v_cmp_o_f32_e64 s[6:7], v57, v57
	v_lshlrev_b64 v[44:45], 1, v[44:45]
	v_cndmask_b32_e64 v12, v14, v12, s[6:7]
	s_waitcnt lgkmcnt(0)
	v_mov_b32_e32 v14, s13
	v_add_co_u32_e64 v44, s[6:7], s12, v44
	v_addc_co_u32_e64 v45, s[6:7], v14, v45, s[6:7]
	global_store_short v[44:45], v12, off
	s_or_b64 exec, exec, s[8:9]
	s_and_saveexec_b64 s[8:9], s[4:5]
	s_cbranch_execnz .LBB164_27
	s_branch .LBB164_28
.LBB164_68:
	v_bfe_u32 v12, v51, 16, 1
	s_movk_i32 s6, 0x7fff
	v_add3_u32 v12, v51, v12, s6
	v_add_u32_e32 v44, v10, v0
	v_mov_b32_e32 v45, 0
	v_lshrrev_b32_e32 v12, 16, v12
	v_mov_b32_e32 v14, 0x7fc0
	v_cmp_o_f32_e64 s[6:7], v51, v51
	v_lshlrev_b64 v[44:45], 1, v[44:45]
	v_cndmask_b32_e64 v12, v14, v12, s[6:7]
	s_waitcnt lgkmcnt(0)
	v_mov_b32_e32 v14, s13
	v_add_co_u32_e64 v44, s[6:7], s12, v44
	v_addc_co_u32_e64 v45, s[6:7], v14, v45, s[6:7]
	global_store_short v[44:45], v12, off
	s_or_b64 exec, exec, s[8:9]
	s_and_saveexec_b64 s[8:9], s[0:1]
	s_cbranch_execz .LBB164_31
.LBB164_69:
	v_bfe_u32 v12, v47, 16, 1
	s_movk_i32 s6, 0x7fff
	v_add3_u32 v12, v47, v12, s6
	v_add_u32_e32 v44, v10, v4
	v_mov_b32_e32 v45, 0
	v_lshrrev_b32_e32 v12, 16, v12
	v_mov_b32_e32 v14, 0x7fc0
	v_cmp_o_f32_e64 s[6:7], v47, v47
	v_lshlrev_b64 v[44:45], 1, v[44:45]
	v_cndmask_b32_e64 v12, v14, v12, s[6:7]
	s_waitcnt lgkmcnt(0)
	v_mov_b32_e32 v14, s13
	v_add_co_u32_e64 v44, s[6:7], s12, v44
	v_addc_co_u32_e64 v45, s[6:7], v14, v45, s[6:7]
	global_store_short v[44:45], v12, off
	s_or_b64 exec, exec, s[8:9]
	s_and_saveexec_b64 s[8:9], s[2:3]
	s_cbranch_execz .LBB164_32
.LBB164_70:
	v_bfe_u32 v12, v43, 16, 1
	s_movk_i32 s6, 0x7fff
	v_add3_u32 v12, v43, v12, s6
	v_cmp_o_f32_e64 s[6:7], v43, v43
	v_add_u32_e32 v42, v10, v6
	v_mov_b32_e32 v43, 0
	v_lshrrev_b32_e32 v12, 16, v12
	v_mov_b32_e32 v14, 0x7fc0
	v_lshlrev_b64 v[42:43], 1, v[42:43]
	v_cndmask_b32_e64 v12, v14, v12, s[6:7]
	s_waitcnt lgkmcnt(0)
	v_mov_b32_e32 v14, s13
	v_add_co_u32_e64 v42, s[6:7], s12, v42
	v_addc_co_u32_e64 v43, s[6:7], v14, v43, s[6:7]
	global_store_short v[42:43], v12, off
	s_or_b64 exec, exec, s[8:9]
	s_and_saveexec_b64 s[8:9], s[4:5]
	s_cbranch_execnz .LBB164_33
	s_branch .LBB164_34
.LBB164_71:
	v_bfe_u32 v12, v39, 16, 1
	s_movk_i32 s6, 0x7fff
	v_add3_u32 v12, v39, v12, s6
	v_cmp_o_f32_e64 s[6:7], v39, v39
	v_add_u32_e32 v38, v10, v0
	v_mov_b32_e32 v39, 0
	v_lshrrev_b32_e32 v12, 16, v12
	v_mov_b32_e32 v14, 0x7fc0
	v_lshlrev_b64 v[38:39], 1, v[38:39]
	v_cndmask_b32_e64 v12, v14, v12, s[6:7]
	s_waitcnt lgkmcnt(0)
	v_mov_b32_e32 v14, s13
	v_add_co_u32_e64 v38, s[6:7], s12, v38
	v_addc_co_u32_e64 v39, s[6:7], v14, v39, s[6:7]
	global_store_short v[38:39], v12, off
	s_or_b64 exec, exec, s[8:9]
	s_and_saveexec_b64 s[8:9], s[0:1]
	s_cbranch_execz .LBB164_37
.LBB164_72:
	v_bfe_u32 v12, v37, 16, 1
	s_movk_i32 s6, 0x7fff
	v_add3_u32 v12, v37, v12, s6
	v_cmp_o_f32_e64 s[6:7], v37, v37
	v_add_u32_e32 v36, v10, v4
	v_mov_b32_e32 v37, 0
	v_lshrrev_b32_e32 v12, 16, v12
	v_mov_b32_e32 v14, 0x7fc0
	v_lshlrev_b64 v[36:37], 1, v[36:37]
	v_cndmask_b32_e64 v12, v14, v12, s[6:7]
	s_waitcnt lgkmcnt(0)
	v_mov_b32_e32 v14, s13
	v_add_co_u32_e64 v36, s[6:7], s12, v36
	v_addc_co_u32_e64 v37, s[6:7], v14, v37, s[6:7]
	global_store_short v[36:37], v12, off
	s_or_b64 exec, exec, s[8:9]
	s_and_saveexec_b64 s[8:9], s[2:3]
	s_cbranch_execz .LBB164_38
.LBB164_73:
	v_bfe_u32 v12, v35, 16, 1
	s_movk_i32 s6, 0x7fff
	v_add3_u32 v12, v35, v12, s6
	v_cmp_o_f32_e64 s[6:7], v35, v35
	v_add_u32_e32 v34, v10, v6
	v_mov_b32_e32 v35, 0
	v_lshrrev_b32_e32 v12, 16, v12
	v_mov_b32_e32 v14, 0x7fc0
	v_lshlrev_b64 v[34:35], 1, v[34:35]
	v_cndmask_b32_e64 v12, v14, v12, s[6:7]
	s_waitcnt lgkmcnt(0)
	v_mov_b32_e32 v14, s13
	v_add_co_u32_e64 v34, s[6:7], s12, v34
	v_addc_co_u32_e64 v35, s[6:7], v14, v35, s[6:7]
	global_store_short v[34:35], v12, off
	s_or_b64 exec, exec, s[8:9]
	s_and_saveexec_b64 s[8:9], s[4:5]
	s_cbranch_execnz .LBB164_39
	s_branch .LBB164_40
.LBB164_74:
	v_bfe_u32 v12, v31, 16, 1
	s_movk_i32 s6, 0x7fff
	v_add3_u32 v12, v31, v12, s6
	v_cmp_o_f32_e64 s[6:7], v31, v31
	v_add_u32_e32 v30, v10, v0
	v_mov_b32_e32 v31, 0
	v_lshrrev_b32_e32 v12, 16, v12
	v_mov_b32_e32 v14, 0x7fc0
	v_lshlrev_b64 v[30:31], 1, v[30:31]
	v_cndmask_b32_e64 v12, v14, v12, s[6:7]
	s_waitcnt lgkmcnt(0)
	v_mov_b32_e32 v14, s13
	v_add_co_u32_e64 v30, s[6:7], s12, v30
	v_addc_co_u32_e64 v31, s[6:7], v14, v31, s[6:7]
	global_store_short v[30:31], v12, off
	s_or_b64 exec, exec, s[8:9]
	s_and_saveexec_b64 s[8:9], s[0:1]
	s_cbranch_execz .LBB164_43
.LBB164_75:
	v_bfe_u32 v12, v29, 16, 1
	s_movk_i32 s6, 0x7fff
	v_add3_u32 v12, v29, v12, s6
	v_cmp_o_f32_e64 s[6:7], v29, v29
	v_add_u32_e32 v28, v10, v4
	v_mov_b32_e32 v29, 0
	v_lshrrev_b32_e32 v12, 16, v12
	v_mov_b32_e32 v14, 0x7fc0
	v_lshlrev_b64 v[28:29], 1, v[28:29]
	v_cndmask_b32_e64 v12, v14, v12, s[6:7]
	s_waitcnt lgkmcnt(0)
	v_mov_b32_e32 v14, s13
	v_add_co_u32_e64 v28, s[6:7], s12, v28
	v_addc_co_u32_e64 v29, s[6:7], v14, v29, s[6:7]
	global_store_short v[28:29], v12, off
	s_or_b64 exec, exec, s[8:9]
	s_and_saveexec_b64 s[8:9], s[2:3]
	s_cbranch_execz .LBB164_44
.LBB164_76:
	v_bfe_u32 v12, v27, 16, 1
	s_movk_i32 s6, 0x7fff
	v_add3_u32 v12, v27, v12, s6
	v_cmp_o_f32_e64 s[6:7], v27, v27
	v_add_u32_e32 v26, v10, v6
	v_mov_b32_e32 v27, 0
	v_lshrrev_b32_e32 v12, 16, v12
	v_mov_b32_e32 v14, 0x7fc0
	v_lshlrev_b64 v[26:27], 1, v[26:27]
	v_cndmask_b32_e64 v12, v14, v12, s[6:7]
	s_waitcnt lgkmcnt(0)
	v_mov_b32_e32 v14, s13
	v_add_co_u32_e64 v26, s[6:7], s12, v26
	v_addc_co_u32_e64 v27, s[6:7], v14, v27, s[6:7]
	global_store_short v[26:27], v12, off
	s_or_b64 exec, exec, s[8:9]
	s_and_saveexec_b64 s[8:9], s[4:5]
	s_cbranch_execnz .LBB164_45
	s_branch .LBB164_46
.LBB164_77:
	v_bfe_u32 v12, v23, 16, 1
	s_movk_i32 s6, 0x7fff
	v_add3_u32 v12, v23, v12, s6
	v_cmp_o_f32_e64 s[6:7], v23, v23
	v_add_u32_e32 v22, v10, v0
	v_mov_b32_e32 v23, 0
	v_lshrrev_b32_e32 v12, 16, v12
	v_mov_b32_e32 v14, 0x7fc0
	v_lshlrev_b64 v[22:23], 1, v[22:23]
	v_cndmask_b32_e64 v12, v14, v12, s[6:7]
	s_waitcnt lgkmcnt(0)
	v_mov_b32_e32 v14, s13
	v_add_co_u32_e64 v22, s[6:7], s12, v22
	v_addc_co_u32_e64 v23, s[6:7], v14, v23, s[6:7]
	global_store_short v[22:23], v12, off
	s_or_b64 exec, exec, s[8:9]
	s_and_saveexec_b64 s[8:9], s[0:1]
	s_cbranch_execz .LBB164_49
.LBB164_78:
	v_bfe_u32 v12, v21, 16, 1
	s_movk_i32 s6, 0x7fff
	v_add3_u32 v12, v21, v12, s6
	v_cmp_o_f32_e64 s[6:7], v21, v21
	v_add_u32_e32 v20, v10, v4
	v_mov_b32_e32 v21, 0
	v_lshrrev_b32_e32 v12, 16, v12
	v_mov_b32_e32 v14, 0x7fc0
	v_lshlrev_b64 v[20:21], 1, v[20:21]
	v_cndmask_b32_e64 v12, v14, v12, s[6:7]
	s_waitcnt lgkmcnt(0)
	v_mov_b32_e32 v14, s13
	v_add_co_u32_e64 v20, s[6:7], s12, v20
	v_addc_co_u32_e64 v21, s[6:7], v14, v21, s[6:7]
	global_store_short v[20:21], v12, off
	s_or_b64 exec, exec, s[8:9]
	s_and_saveexec_b64 s[8:9], s[2:3]
	s_cbranch_execz .LBB164_50
.LBB164_79:
	v_bfe_u32 v12, v19, 16, 1
	s_movk_i32 s6, 0x7fff
	v_add3_u32 v12, v19, v12, s6
	v_cmp_o_f32_e64 s[6:7], v19, v19
	v_add_u32_e32 v18, v10, v6
	v_mov_b32_e32 v19, 0
	v_lshrrev_b32_e32 v12, 16, v12
	v_mov_b32_e32 v14, 0x7fc0
	v_lshlrev_b64 v[18:19], 1, v[18:19]
	v_cndmask_b32_e64 v12, v14, v12, s[6:7]
	s_waitcnt lgkmcnt(0)
	v_mov_b32_e32 v14, s13
	v_add_co_u32_e64 v18, s[6:7], s12, v18
	v_addc_co_u32_e64 v19, s[6:7], v14, v19, s[6:7]
	global_store_short v[18:19], v12, off
	s_or_b64 exec, exec, s[8:9]
	s_and_saveexec_b64 s[8:9], s[4:5]
	s_cbranch_execnz .LBB164_51
	s_branch .LBB164_52
.LBB164_80:
	v_bfe_u32 v12, v15, 16, 1
	s_movk_i32 s6, 0x7fff
	v_add3_u32 v12, v15, v12, s6
	v_lshrrev_b32_e32 v12, 16, v12
	v_mov_b32_e32 v14, 0x7fc0
	v_cmp_o_f32_e64 s[6:7], v15, v15
	v_cndmask_b32_e64 v12, v14, v12, s[6:7]
	v_add_u32_e32 v14, v10, v0
	v_mov_b32_e32 v15, 0
	v_lshlrev_b64 v[14:15], 1, v[14:15]
	s_waitcnt lgkmcnt(0)
	v_mov_b32_e32 v16, s13
	v_add_co_u32_e64 v14, s[6:7], s12, v14
	v_addc_co_u32_e64 v15, s[6:7], v16, v15, s[6:7]
	global_store_short v[14:15], v12, off
	s_or_b64 exec, exec, s[8:9]
	s_and_saveexec_b64 s[8:9], s[0:1]
	s_cbranch_execz .LBB164_55
.LBB164_81:
	v_bfe_u32 v12, v13, 16, 1
	s_movk_i32 s6, 0x7fff
	v_add3_u32 v12, v13, v12, s6
	v_lshrrev_b32_e32 v12, 16, v12
	v_mov_b32_e32 v14, 0x7fc0
	v_cmp_o_f32_e64 s[6:7], v13, v13
	v_cndmask_b32_e64 v14, v14, v12, s[6:7]
	v_add_u32_e32 v12, v10, v4
	v_mov_b32_e32 v13, 0
	v_lshlrev_b64 v[12:13], 1, v[12:13]
	s_waitcnt lgkmcnt(0)
	v_mov_b32_e32 v15, s13
	v_add_co_u32_e64 v12, s[6:7], s12, v12
	v_addc_co_u32_e64 v13, s[6:7], v15, v13, s[6:7]
	global_store_short v[12:13], v14, off
	s_or_b64 exec, exec, s[8:9]
	s_and_saveexec_b64 s[8:9], s[2:3]
	s_cbranch_execz .LBB164_56
.LBB164_82:
	v_bfe_u32 v12, v11, 16, 1
	s_movk_i32 s6, 0x7fff
	v_add3_u32 v12, v11, v12, s6
	v_lshrrev_b32_e32 v12, 16, v12
	v_mov_b32_e32 v13, 0x7fc0
	v_cmp_o_f32_e64 s[6:7], v11, v11
	v_cndmask_b32_e64 v11, v13, v12, s[6:7]
	v_add_u32_e32 v12, v10, v6
	v_mov_b32_e32 v13, 0
	v_lshlrev_b64 v[12:13], 1, v[12:13]
	s_waitcnt lgkmcnt(0)
	v_mov_b32_e32 v14, s13
	v_add_co_u32_e64 v12, s[6:7], s12, v12
	v_addc_co_u32_e64 v13, s[6:7], v14, v13, s[6:7]
	global_store_short v[12:13], v11, off
	s_or_b64 exec, exec, s[8:9]
	s_and_saveexec_b64 s[8:9], s[4:5]
	s_cbranch_execnz .LBB164_57
	s_branch .LBB164_58
.LBB164_83:
	v_bfe_u32 v9, v7, 16, 1
	s_movk_i32 s8, 0x7fff
	v_add3_u32 v9, v7, v9, s8
	v_lshrrev_b32_e32 v9, 16, v9
	v_mov_b32_e32 v10, 0x7fc0
	v_cmp_o_f32_e32 vcc, v7, v7
	v_cndmask_b32_e32 v7, v10, v9, vcc
	v_add_u32_e32 v10, v2, v0
	v_mov_b32_e32 v11, 0
	v_lshlrev_b64 v[10:11], 1, v[10:11]
	s_waitcnt lgkmcnt(0)
	v_mov_b32_e32 v0, s13
	v_add_co_u32_e32 v10, vcc, s12, v10
	v_addc_co_u32_e32 v11, vcc, v0, v11, vcc
	global_store_short v[10:11], v7, off
	s_or_b64 exec, exec, s[6:7]
	s_and_saveexec_b64 s[6:7], s[0:1]
	s_cbranch_execz .LBB164_61
.LBB164_84:
	v_bfe_u32 v0, v5, 16, 1
	s_movk_i32 s0, 0x7fff
	v_add3_u32 v0, v5, v0, s0
	v_cmp_o_f32_e32 vcc, v5, v5
	v_add_u32_e32 v4, v2, v4
	v_mov_b32_e32 v5, 0
	v_lshrrev_b32_e32 v0, 16, v0
	v_mov_b32_e32 v7, 0x7fc0
	v_lshlrev_b64 v[4:5], 1, v[4:5]
	v_cndmask_b32_e32 v0, v7, v0, vcc
	s_waitcnt lgkmcnt(0)
	v_mov_b32_e32 v7, s13
	v_add_co_u32_e32 v4, vcc, s12, v4
	v_addc_co_u32_e32 v5, vcc, v7, v5, vcc
	global_store_short v[4:5], v0, off
	s_or_b64 exec, exec, s[6:7]
	s_and_saveexec_b64 s[0:1], s[2:3]
	s_cbranch_execz .LBB164_62
.LBB164_85:
	v_bfe_u32 v0, v3, 16, 1
	s_movk_i32 s2, 0x7fff
	v_add3_u32 v0, v3, v0, s2
	v_lshrrev_b32_e32 v0, 16, v0
	v_mov_b32_e32 v4, 0x7fc0
	v_cmp_o_f32_e32 vcc, v3, v3
	v_cndmask_b32_e32 v0, v4, v0, vcc
	v_add_u32_e32 v4, v2, v6
	v_mov_b32_e32 v5, 0
	v_lshlrev_b64 v[4:5], 1, v[4:5]
	s_waitcnt lgkmcnt(0)
	v_mov_b32_e32 v3, s13
	v_add_co_u32_e32 v4, vcc, s12, v4
	v_addc_co_u32_e32 v5, vcc, v3, v5, vcc
	global_store_short v[4:5], v0, off
	s_or_b64 exec, exec, s[0:1]
	s_and_b64 exec, exec, s[4:5]
	s_cbranch_execnz .LBB164_63
	s_branch .LBB164_64
	.section	.rodata,"a",@progbits
	.p2align	6, 0x0
	.amdhsa_kernel _ZL12mul_mat_q5_1IN3c108BFloat16ELb1EEvPKvS3_PT_iiiii
		.amdhsa_group_segment_fixed_size 46720
		.amdhsa_private_segment_fixed_size 0
		.amdhsa_kernarg_size 44
		.amdhsa_user_sgpr_count 6
		.amdhsa_user_sgpr_private_segment_buffer 1
		.amdhsa_user_sgpr_dispatch_ptr 0
		.amdhsa_user_sgpr_queue_ptr 0
		.amdhsa_user_sgpr_kernarg_segment_ptr 1
		.amdhsa_user_sgpr_dispatch_id 0
		.amdhsa_user_sgpr_flat_scratch_init 0
		.amdhsa_user_sgpr_kernarg_preload_length 0
		.amdhsa_user_sgpr_kernarg_preload_offset 0
		.amdhsa_user_sgpr_private_segment_size 0
		.amdhsa_uses_dynamic_stack 0
		.amdhsa_system_sgpr_private_segment_wavefront_offset 0
		.amdhsa_system_sgpr_workgroup_id_x 1
		.amdhsa_system_sgpr_workgroup_id_y 1
		.amdhsa_system_sgpr_workgroup_id_z 0
		.amdhsa_system_sgpr_workgroup_info 0
		.amdhsa_system_vgpr_workitem_id 1
		.amdhsa_next_free_vgpr 168
		.amdhsa_next_free_sgpr 18
		.amdhsa_accum_offset 168
		.amdhsa_reserve_vcc 1
		.amdhsa_reserve_flat_scratch 0
		.amdhsa_float_round_mode_32 0
		.amdhsa_float_round_mode_16_64 0
		.amdhsa_float_denorm_mode_32 3
		.amdhsa_float_denorm_mode_16_64 3
		.amdhsa_dx10_clamp 1
		.amdhsa_ieee_mode 1
		.amdhsa_fp16_overflow 0
		.amdhsa_tg_split 0
		.amdhsa_exception_fp_ieee_invalid_op 0
		.amdhsa_exception_fp_denorm_src 0
		.amdhsa_exception_fp_ieee_div_zero 0
		.amdhsa_exception_fp_ieee_overflow 0
		.amdhsa_exception_fp_ieee_underflow 0
		.amdhsa_exception_fp_ieee_inexact 0
		.amdhsa_exception_int_div_zero 0
	.end_amdhsa_kernel
	.section	.text._ZL12mul_mat_q5_1IN3c108BFloat16ELb1EEvPKvS3_PT_iiiii,"axG",@progbits,_ZL12mul_mat_q5_1IN3c108BFloat16ELb1EEvPKvS3_PT_iiiii,comdat
.Lfunc_end164:
	.size	_ZL12mul_mat_q5_1IN3c108BFloat16ELb1EEvPKvS3_PT_iiiii, .Lfunc_end164-_ZL12mul_mat_q5_1IN3c108BFloat16ELb1EEvPKvS3_PT_iiiii
                                        ; -- End function
	.section	.AMDGPU.csdata,"",@progbits
; Kernel info:
; codeLenInByte = 14808
; NumSgprs: 22
; NumVgprs: 168
; NumAgprs: 0
; TotalNumVgprs: 168
; ScratchSize: 0
; MemoryBound: 0
; FloatMode: 240
; IeeeMode: 1
; LDSByteSize: 46720 bytes/workgroup (compile time only)
; SGPRBlocks: 2
; VGPRBlocks: 20
; NumSGPRsForWavesPerEU: 22
; NumVGPRsForWavesPerEU: 168
; AccumOffset: 168
; Occupancy: 1
; WaveLimiterHint : 0
; COMPUTE_PGM_RSRC2:SCRATCH_EN: 0
; COMPUTE_PGM_RSRC2:USER_SGPR: 6
; COMPUTE_PGM_RSRC2:TRAP_HANDLER: 0
; COMPUTE_PGM_RSRC2:TGID_X_EN: 1
; COMPUTE_PGM_RSRC2:TGID_Y_EN: 1
; COMPUTE_PGM_RSRC2:TGID_Z_EN: 0
; COMPUTE_PGM_RSRC2:TIDIG_COMP_CNT: 1
; COMPUTE_PGM_RSRC3_GFX90A:ACCUM_OFFSET: 41
; COMPUTE_PGM_RSRC3_GFX90A:TG_SPLIT: 0
	.section	.text._ZL12mul_mat_q8_0IN3c108BFloat16ELb0EEvPKvS3_PT_iiiii,"axG",@progbits,_ZL12mul_mat_q8_0IN3c108BFloat16ELb0EEvPKvS3_PT_iiiii,comdat
	.globl	_ZL12mul_mat_q8_0IN3c108BFloat16ELb0EEvPKvS3_PT_iiiii ; -- Begin function _ZL12mul_mat_q8_0IN3c108BFloat16ELb0EEvPKvS3_PT_iiiii
	.p2align	8
	.type	_ZL12mul_mat_q8_0IN3c108BFloat16ELb0EEvPKvS3_PT_iiiii,@function
_ZL12mul_mat_q8_0IN3c108BFloat16ELb0EEvPKvS3_PT_iiiii: ; @_ZL12mul_mat_q8_0IN3c108BFloat16ELb0EEvPKvS3_PT_iiiii
; %bb.0:
	s_load_dword s14, s[4:5], 0x18
	s_load_dwordx4 s[8:11], s[4:5], 0x20
	s_waitcnt lgkmcnt(0)
	s_lshl_b32 s11, s7, 6
	v_bfe_u32 v35, v0, 10, 10
	s_cmp_gt_i32 s14, 31
	s_cbranch_scc1 .LBB165_2
; %bb.1:
	v_bfe_u32 v34, v0, 10, 10
	v_and_b32_e32 v1, 0x3ff, v0
	v_add_u32_e32 v37, s11, v34
	s_mov_b64 s[0:1], 0
	s_mov_b32 s2, 0
	s_branch .LBB165_3
.LBB165_2:
	s_mov_b64 s[0:1], -1
                                        ; implicit-def: $sgpr2
                                        ; implicit-def: $vgpr34
                                        ; implicit-def: $vgpr1
                                        ; implicit-def: $vgpr37
.LBB165_3:
	s_load_dwordx2 s[12:13], s[4:5], 0x10
	s_lshl_b32 s6, s6, 7
	s_andn2_b64 vcc, exec, s[0:1]
	v_mov_b32_e32 v3, s2
	v_mov_b32_e32 v2, s2
	;; [unrolled: 1-line block ×32, first 2 shown]
	s_cbranch_vccnz .LBB165_9
; %bb.4:
	s_load_dwordx4 s[0:3], s[4:5], 0x0
	s_ashr_i32 s4, s14, 31
	s_lshr_b32 s4, s4, 27
	s_ashr_i32 s5, s9, 31
	s_add_i32 s14, s14, s4
	s_lshr_b32 s5, s5, 27
	s_ashr_i32 s4, s14, 5
	s_add_i32 s5, s9, s5
	s_ashr_i32 s9, s5, 5
	s_mul_i32 s5, s4, s6
	s_mul_hi_i32 s7, s5, 34
	s_mul_i32 s5, s5, 34
	s_waitcnt lgkmcnt(0)
	s_add_u32 s5, s0, s5
	v_and_b32_e32 v1, 0x3ff, v0
	s_addc_u32 s7, s1, s7
	v_lshlrev_b32_e32 v2, 2, v1
	s_movk_i32 s1, 0x84
	v_mul_lo_u32 v36, s4, v35
	v_mad_u32_u24 v39, v35, s1, v2
	s_lshl_b32 s1, s4, 3
	v_add_u32_e32 v38, s1, v36
	v_add_u32_e32 v40, s1, v38
	;; [unrolled: 1-line block ×11, first 2 shown]
	v_and_b32_e32 v34, 28, v2
	v_add_u32_e32 v60, s1, v58
	v_lshlrev_b32_e32 v2, 3, v35
	v_lshrrev_b32_e32 v3, 2, v1
	v_add_u32_e32 v62, s1, v60
	v_add_u32_e32 v4, v3, v2
	v_add_u16_e32 v2, v3, v2
	v_add_u32_e32 v64, s1, v62
	v_and_b32_e32 v68, 3, v1
	v_lshrrev_b16_e32 v2, 1, v2
	v_add_u32_e32 v66, s1, v64
	v_and_b32_e32 v2, 0x7fc, v2
	v_lshlrev_b32_e32 v5, 2, v68
	s_movk_i32 s1, 0x6200
	v_add3_u32 v6, v2, v5, s1
	v_add_u32_e32 v2, 64, v4
	v_mul_lo_u32 v70, s4, v4
	v_lshlrev_b32_e32 v7, 4, v4
	v_lshrrev_b32_e32 v3, 1, v2
	v_mov_b32_e32 v11, s3
	v_add_co_u32_e32 v74, vcc, s2, v34
	v_and_b32_e32 v4, 63, v4
	v_and_b32_e32 v3, 0xffc, v3
	v_add_u32_e32 v37, s11, v35
	s_add_i32 s14, s8, -1
	v_addc_co_u32_e32 v75, vcc, 0, v11, vcc
	v_or_b32_e32 v11, s11, v4
	v_lshl_or_b32 v4, v4, 4, v5
	v_add3_u32 v8, v3, v5, s1
	v_lshlrev_b32_e32 v9, 4, v2
	v_cvt_f64_i32_e32 v[2:3], s14
	v_add_u32_e32 v71, 0x6a40, v4
	v_cvt_f64_u32_e32 v[4:5], v37
	v_min_f64 v[4:5], v[4:5], v[2:3]
	v_cvt_i32_f64_e32 v4, v[4:5]
	v_mul_lo_u32 v73, s9, v4
	v_add_u32_e32 v4, 8, v37
	v_cvt_f64_u32_e32 v[4:5], v4
	v_min_f64 v[4:5], v[4:5], v[2:3]
	v_cvt_i32_f64_e32 v4, v[4:5]
	v_mul_lo_u32 v79, s9, v4
	v_add_u32_e32 v4, 16, v37
	v_cvt_f64_u32_e32 v[4:5], v4
	v_min_f64 v[4:5], v[4:5], v[2:3]
	v_cvt_i32_f64_e32 v4, v[4:5]
	v_mul_lo_u32 v83, s9, v4
	v_add_u32_e32 v4, 24, v37
	v_cvt_f64_u32_e32 v[4:5], v4
	v_min_f64 v[4:5], v[4:5], v[2:3]
	v_cvt_i32_f64_e32 v4, v[4:5]
	v_mul_lo_u32 v120, s9, v4
	v_add_u32_e32 v4, 32, v37
	v_cvt_f64_u32_e32 v[4:5], v4
	v_min_f64 v[4:5], v[4:5], v[2:3]
	v_cvt_i32_f64_e32 v4, v[4:5]
	v_mul_lo_u32 v122, s9, v4
	v_add_u32_e32 v4, 40, v37
	v_cvt_f64_u32_e32 v[4:5], v4
	v_min_f64 v[4:5], v[4:5], v[2:3]
	v_cvt_i32_f64_e32 v4, v[4:5]
	v_mul_lo_u32 v124, s9, v4
	v_add_u32_e32 v4, 48, v37
	v_cvt_f64_u32_e32 v[4:5], v4
	v_min_f64 v[4:5], v[4:5], v[2:3]
	v_cvt_i32_f64_e32 v4, v[4:5]
	v_mul_lo_u32 v126, s9, v4
	v_add_u32_e32 v4, 56, v37
	v_cvt_f64_u32_e32 v[4:5], v4
	v_min_f64 v[2:3], v[4:5], v[2:3]
	v_add_u32_e32 v4, 0x60, v1
	v_add_u32_e32 v69, 0x3de0, v39
	v_min_i32_e32 v11, s14, v11
	v_cvt_i32_f64_e32 v2, v[2:3]
	v_add_u32_e32 v3, 64, v1
	v_lshrrev_b32_e32 v4, 1, v4
	v_mad_u64_u32 v[76:77], s[14:15], v11, s9, v[68:69]
	v_mul_lo_u32 v128, s9, v2
	v_add_u32_e32 v2, 32, v1
	v_lshlrev_b32_e32 v5, 4, v1
	v_and_b32_e32 v4, 0xfc, v4
	s_movk_i32 s9, 0x6800
	v_lshrrev_b32_e32 v3, 1, v3
	v_add3_u32 v132, v5, v4, s9
	v_and_b32_e32 v3, 0xfc, v3
	s_movk_i32 s9, 0x6600
	v_lshrrev_b32_e32 v2, 1, v2
	v_lshrrev_b32_e32 v0, 3, v1
	v_add3_u32 v133, v5, v3, s9
	v_and_b32_e32 v2, 0xfc, v2
	s_movk_i32 s9, 0x6400
	s_mov_b32 s0, 0
	v_and_b32_e32 v10, 31, v1
	v_lshlrev_b32_e32 v11, 7, v35
	v_add3_u32 v134, v5, v2, s9
	v_lshlrev_b32_e32 v2, 2, v0
	v_lshl_or_b32 v10, v10, 2, v11
	v_add3_u32 v135, v5, v2, s1
	v_mov_b32_e32 v2, 0x6a40
	s_mov_b32 s1, s0
	v_add_u32_e32 v41, 0x420, v39
	v_add_u32_e32 v43, 0x840, v39
	;; [unrolled: 1-line block ×14, first 2 shown]
	v_lshl_add_u32 v72, s4, 6, v70
	v_add_u32_e32 v77, 0x4200, v10
	v_add_u32_e32 v81, 0x4600, v10
	;; [unrolled: 1-line block ×8, first 2 shown]
	v_mul_u32_u24_e32 v130, 0x84, v1
	v_add_u32_e32 v131, 0x4200, v11
	v_lshl_add_u32 v136, v35, 4, v2
	v_pk_mov_b32 v[32:33], s[0:1], s[0:1] op_sel:[0,1]
	v_add_u32_e32 v137, v6, v7
	v_add_u32_e32 v138, v8, v9
	v_pk_mov_b32 v[24:25], s[0:1], s[0:1] op_sel:[0,1]
	v_pk_mov_b32 v[16:17], s[0:1], s[0:1] op_sel:[0,1]
	;; [unrolled: 1-line block ×15, first 2 shown]
.LBB165_5:                              ; =>This Loop Header: Depth=1
                                        ;     Child Loop BB165_6 Depth 2
	s_mul_i32 s9, s0, 34
	s_mul_hi_u32 s1, s0, 34
	s_add_u32 s14, s5, s9
	s_addc_u32 s15, s7, s1
	v_mad_u64_u32 v[84:85], s[16:17], v0, 34, s[14:15]
	v_add_co_u32_e32 v78, vcc, v84, v34
	v_addc_co_u32_e32 v80, vcc, 0, v85, vcc
	v_add_co_u32_e32 v84, vcc, 2, v78
	v_addc_co_u32_e32 v85, vcc, 0, v80, vcc
	v_mad_u64_u32 v[88:89], s[16:17], v36, 34, v[84:85]
	v_mad_u64_u32 v[90:91], s[16:17], v38, 34, v[84:85]
	;; [unrolled: 1-line block ×8, first 2 shown]
	global_load_dword v78, v[88:89], off
	global_load_dword v80, v[90:91], off
	;; [unrolled: 1-line block ×8, first 2 shown]
	v_mad_u64_u32 v[88:89], s[16:17], v52, 34, v[84:85]
	v_mad_u64_u32 v[90:91], s[16:17], v54, 34, v[84:85]
	;; [unrolled: 1-line block ×8, first 2 shown]
	global_load_dword v108, v[88:89], off
	global_load_dword v109, v[90:91], off
	;; [unrolled: 1-line block ×3, first 2 shown]
                                        ; kill: killed $vgpr92_vgpr93
                                        ; kill: killed $vgpr90_vgpr91
                                        ; kill: killed $vgpr88_vgpr89
	global_load_dword v111, v[94:95], off
	global_load_dword v112, v[96:97], off
	;; [unrolled: 1-line block ×5, first 2 shown]
	v_mad_u64_u32 v[84:85], s[14:15], v68, 34, s[14:15]
	v_mad_u64_u32 v[88:89], s[14:15], v70, 34, v[84:85]
	;; [unrolled: 1-line block ×3, first 2 shown]
	v_add_u32_e32 v100, s0, v0
	global_load_ushort v116, v[88:89], off
	global_load_ushort v117, v[84:85], off
	v_add_u32_e32 v84, v100, v73
	v_add_u32_e32 v88, v100, v79
	;; [unrolled: 1-line block ×5, first 2 shown]
	v_mad_i64_i32 v[84:85], s[14:15], v84, 36, v[74:75]
	v_mad_i64_i32 v[88:89], s[14:15], v88, 36, v[74:75]
	;; [unrolled: 1-line block ×5, first 2 shown]
	v_add_u32_e32 v96, v100, v124
	v_add_u32_e32 v98, v100, v126
	;; [unrolled: 1-line block ×4, first 2 shown]
	v_mad_i64_i32 v[96:97], s[14:15], v96, 36, v[74:75]
	v_mad_i64_i32 v[98:99], s[14:15], v98, 36, v[74:75]
	;; [unrolled: 1-line block ×3, first 2 shown]
	v_mad_u64_u32 v[102:103], s[14:15], v102, 36, s[2:3]
	global_load_dword v84, v[84:85], off offset:4
	s_nop 0
	global_load_dword v85, v[88:89], off offset:4
	s_nop 0
	global_load_dword v88, v[90:91], off offset:4
	global_load_dword v89, v[92:93], off offset:4
	s_nop 0
	global_load_dword v90, v[94:95], off offset:4
	global_load_dword v91, v[102:103], off
	global_load_dword v92, v[96:97], off offset:4
	global_load_dword v93, v[98:99], off offset:4
	s_nop 0
	global_load_dword v94, v[100:101], off offset:4
	s_mov_b32 s1, -8
	v_mov_b32_e32 v139, v136
	v_mov_b32_e32 v140, v135
	;; [unrolled: 1-line block ×4, first 2 shown]
	s_waitcnt vmcnt(26)
	ds_write_b32 v39, v78
	s_waitcnt vmcnt(25)
	ds_write_b32 v41, v80
	;; [unrolled: 2-line block ×14, first 2 shown]
	v_mov_b32_e32 v143, v132
	v_mov_b32_e32 v144, v131
	;; [unrolled: 1-line block ×3, first 2 shown]
	s_waitcnt vmcnt(10)
	v_cvt_f32_f16_e32 v78, v116
	s_waitcnt vmcnt(9)
	v_cvt_f32_f16_e32 v80, v117
	ds_write_b32 v67, v114
	ds_write_b32 v69, v115
	;; [unrolled: 1-line block ×4, first 2 shown]
	s_waitcnt vmcnt(8)
	ds_write_b32 v77, v84
	s_waitcnt vmcnt(7)
	ds_write_b32 v81, v85
	;; [unrolled: 2-line block ×5, first 2 shown]
	s_waitcnt vmcnt(3)
	v_cvt_f32_f16_e32 v78, v91
	s_waitcnt vmcnt(2)
	ds_write_b32 v125, v92
	s_waitcnt vmcnt(1)
	ds_write_b32 v127, v93
	;; [unrolled: 2-line block ×3, first 2 shown]
	ds_write_b32 v71, v78
	s_waitcnt lgkmcnt(0)
	s_barrier
.LBB165_6:                              ;   Parent Loop BB165_5 Depth=1
                                        ; =>  This Inner Loop Header: Depth=2
	v_add_u32_e32 v80, 0x1080, v145
	ds_read2_b32 v[118:119], v139 offset1:32
	ds_read_b128 v[146:149], v144
	ds_read_b128 v[150:153], v144 offset:16
	ds_read_b32 v82, v140
	ds_read2_b32 v[90:91], v145 offset1:1
	ds_read2_b32 v[98:99], v145 offset0:2 offset1:3
	ds_read2_b32 v[104:105], v145 offset0:4 offset1:5
	;; [unrolled: 1-line block ×3, first 2 shown]
	ds_read_b32 v78, v141
	ds_read2_b32 v[84:85], v80 offset1:1
	v_add_u32_e32 v80, 0x1088, v145
	ds_read2_b32 v[92:93], v80 offset1:1
	v_add_u32_e32 v80, 0x1090, v145
	;; [unrolled: 2-line block ×3, first 2 shown]
	v_add_u32_e32 v86, 0x2100, v145
	ds_read2_b32 v[110:111], v80 offset1:1
	ds_read_b32 v80, v142
	ds_read2_b32 v[88:89], v86 offset1:1
	v_add_u32_e32 v86, 0x2108, v145
	ds_read2_b32 v[96:97], v86 offset1:1
	v_add_u32_e32 v86, 0x2110, v145
	;; [unrolled: 2-line block ×3, first 2 shown]
	v_add_u32_e32 v94, 0x3180, v145
	ds_read2_b32 v[114:115], v86 offset1:1
	ds_read_b32 v86, v143
	ds_read2_b32 v[94:95], v94 offset1:1
	v_add_u32_e32 v102, 0x3188, v145
	ds_read2_b32 v[102:103], v102 offset1:1
	v_add_u32_e32 v112, 0x3190, v145
	ds_read2_b32 v[112:113], v112 offset1:1
	v_mov_b32_e32 v156, 0
	v_mov_b32_e32 v158, 0
	;; [unrolled: 1-line block ×4, first 2 shown]
	s_waitcnt lgkmcnt(14)
	v_dot4c_i32_i8_e32 v156, v90, v146
	s_waitcnt lgkmcnt(12)
	v_dot4c_i32_i8_e32 v158, v84, v146
	s_waitcnt lgkmcnt(7)
	v_dot4c_i32_i8_e32 v159, v88, v146
	s_waitcnt lgkmcnt(2)
	v_dot4c_i32_i8_e32 v160, v94, v146
	v_add_u32_e32 v116, 0x3198, v145
	ds_read2_b32 v[116:117], v116 offset1:1
	v_dot4c_i32_i8_e32 v156, v91, v147
	v_dot4c_i32_i8_e32 v158, v85, v147
	v_dot4c_i32_i8_e32 v159, v89, v147
	v_dot4c_i32_i8_e32 v160, v95, v147
	v_dot4c_i32_i8_e32 v156, v98, v148
	v_dot4c_i32_i8_e32 v158, v92, v148
	v_dot4c_i32_i8_e32 v159, v96, v148
	s_waitcnt lgkmcnt(2)
	v_dot4c_i32_i8_e32 v160, v102, v148
	v_dot4c_i32_i8_e32 v156, v99, v149
	v_dot4c_i32_i8_e32 v158, v93, v149
	v_dot4c_i32_i8_e32 v159, v97, v149
	v_dot4c_i32_i8_e32 v160, v103, v149
	v_dot4c_i32_i8_e32 v156, v104, v150
	v_dot4c_i32_i8_e32 v158, v100, v150
	v_dot4c_i32_i8_e32 v159, v106, v150
	s_waitcnt lgkmcnt(1)
	v_dot4c_i32_i8_e32 v160, v112, v150
	;; [unrolled: 9-line block ×3, first 2 shown]
	v_dot4c_i32_i8_e32 v156, v109, v153
	v_dot4c_i32_i8_e32 v158, v111, v153
	;; [unrolled: 1-line block ×4, first 2 shown]
	ds_read_b128 v[146:149], v144 offset:1024
	ds_read_b128 v[150:153], v144 offset:1040
	v_mov_b32_e32 v157, 0
	v_cvt_f32_i32_e32 v156, v156
	v_pk_mul_f32 v[154:155], v[82:83], v[118:119] op_sel_hi:[0,1]
	s_waitcnt lgkmcnt(1)
	v_dot4c_i32_i8_e32 v157, v90, v146
	v_dot4c_i32_i8_e32 v157, v91, v147
	;; [unrolled: 1-line block ×4, first 2 shown]
	s_waitcnt lgkmcnt(0)
	v_dot4c_i32_i8_e32 v157, v104, v150
	v_dot4c_i32_i8_e32 v157, v105, v151
	;; [unrolled: 1-line block ×4, first 2 shown]
	s_add_i32 s1, s1, 8
	v_add_u32_e32 v145, 32, v145
	v_add_u32_e32 v143, 4, v143
	v_cvt_f32_i32_e32 v157, v157
	v_add_u32_e32 v142, 4, v142
	v_add_u32_e32 v141, 4, v141
	;; [unrolled: 1-line block ×3, first 2 shown]
	v_pk_fma_f32 v[32:33], v[154:155], v[156:157], v[32:33]
	v_mov_b32_e32 v156, 0
	v_dot4c_i32_i8_e32 v156, v84, v146
	v_dot4c_i32_i8_e32 v156, v85, v147
	;; [unrolled: 1-line block ×8, first 2 shown]
	v_pk_mul_f32 v[154:155], v[78:79], v[118:119] op_sel_hi:[0,1]
	s_cmp_lt_u32 s1, 24
	s_nop 0
	v_cvt_f32_i32_e32 v157, v156
	v_cvt_f32_i32_e32 v156, v158
	v_mov_b32_e32 v158, 0
	v_pk_fma_f32 v[30:31], v[154:155], v[156:157], v[30:31]
	v_mov_b32_e32 v156, 0
	v_dot4c_i32_i8_e32 v156, v88, v146
	v_dot4c_i32_i8_e32 v156, v89, v147
	;; [unrolled: 1-line block ×8, first 2 shown]
	v_pk_mul_f32 v[154:155], v[80:81], v[118:119] op_sel_hi:[0,1]
	v_pk_mul_f32 v[118:119], v[86:87], v[118:119] op_sel_hi:[0,1]
	s_nop 0
	v_cvt_f32_i32_e32 v157, v156
	v_cvt_f32_i32_e32 v156, v159
	v_mov_b32_e32 v159, 0
	v_pk_fma_f32 v[28:29], v[154:155], v[156:157], v[28:29]
	v_mov_b32_e32 v154, 0
	v_dot4c_i32_i8_e32 v154, v94, v146
	v_dot4c_i32_i8_e32 v154, v95, v147
	v_dot4c_i32_i8_e32 v154, v102, v148
	v_dot4c_i32_i8_e32 v154, v103, v149
	v_dot4c_i32_i8_e32 v154, v112, v150
	v_dot4c_i32_i8_e32 v154, v113, v151
	v_dot4c_i32_i8_e32 v154, v116, v152
	v_dot4c_i32_i8_e32 v154, v117, v153
	v_cvt_f32_i32_e32 v146, v160
	v_mov_b32_e32 v156, 0
	v_mov_b32_e32 v160, 0
	v_cvt_f32_i32_e32 v147, v154
	v_mov_b32_e32 v157, 0
	v_pk_fma_f32 v[26:27], v[118:119], v[146:147], v[26:27]
	ds_read2_b32 v[118:119], v139 offset0:64 offset1:96
	ds_read_b128 v[146:149], v144 offset:2048
	ds_read_b128 v[150:153], v144 offset:2064
	s_waitcnt lgkmcnt(2)
	v_pk_mul_f32 v[154:155], v[82:83], v[118:119] op_sel_hi:[0,1]
	s_waitcnt lgkmcnt(1)
	v_dot4c_i32_i8_e32 v156, v90, v146
	v_dot4c_i32_i8_e32 v158, v84, v146
	;; [unrolled: 1-line block ×16, first 2 shown]
	s_waitcnt lgkmcnt(0)
	v_dot4c_i32_i8_e32 v156, v104, v150
	v_dot4c_i32_i8_e32 v158, v100, v150
	;; [unrolled: 1-line block ×16, first 2 shown]
	ds_read_b128 v[146:149], v144 offset:3072
	ds_read_b128 v[150:153], v144 offset:3088
	v_cvt_f32_i32_e32 v156, v156
	s_waitcnt lgkmcnt(1)
	v_dot4c_i32_i8_e32 v157, v90, v146
	v_dot4c_i32_i8_e32 v157, v91, v147
	;; [unrolled: 1-line block ×4, first 2 shown]
	s_waitcnt lgkmcnt(0)
	v_dot4c_i32_i8_e32 v157, v104, v150
	v_dot4c_i32_i8_e32 v157, v105, v151
	;; [unrolled: 1-line block ×4, first 2 shown]
	s_nop 2
	v_cvt_f32_i32_e32 v157, v157
	v_pk_fma_f32 v[24:25], v[154:155], v[156:157], v[24:25]
	v_mov_b32_e32 v156, 0
	v_dot4c_i32_i8_e32 v156, v84, v146
	v_dot4c_i32_i8_e32 v156, v85, v147
	;; [unrolled: 1-line block ×8, first 2 shown]
	v_pk_mul_f32 v[154:155], v[78:79], v[118:119] op_sel_hi:[0,1]
	s_nop 1
	v_cvt_f32_i32_e32 v157, v156
	v_cvt_f32_i32_e32 v156, v158
	v_mov_b32_e32 v158, 0
	v_pk_fma_f32 v[22:23], v[154:155], v[156:157], v[22:23]
	v_mov_b32_e32 v156, 0
	v_dot4c_i32_i8_e32 v156, v88, v146
	v_dot4c_i32_i8_e32 v156, v89, v147
	;; [unrolled: 1-line block ×8, first 2 shown]
	v_pk_mul_f32 v[154:155], v[80:81], v[118:119] op_sel_hi:[0,1]
	v_pk_mul_f32 v[118:119], v[86:87], v[118:119] op_sel_hi:[0,1]
	s_nop 0
	v_cvt_f32_i32_e32 v157, v156
	v_cvt_f32_i32_e32 v156, v159
	v_mov_b32_e32 v159, 0
	v_pk_fma_f32 v[20:21], v[154:155], v[156:157], v[20:21]
	v_mov_b32_e32 v154, 0
	v_dot4c_i32_i8_e32 v154, v94, v146
	v_dot4c_i32_i8_e32 v154, v95, v147
	;; [unrolled: 1-line block ×8, first 2 shown]
	v_cvt_f32_i32_e32 v146, v160
	v_mov_b32_e32 v156, 0
	v_mov_b32_e32 v160, 0
	v_cvt_f32_i32_e32 v147, v154
	v_mov_b32_e32 v157, 0
	v_pk_fma_f32 v[18:19], v[118:119], v[146:147], v[18:19]
	ds_read2_b32 v[118:119], v139 offset0:128 offset1:160
	ds_read_b128 v[146:149], v144 offset:4096
	ds_read_b128 v[150:153], v144 offset:4112
	s_waitcnt lgkmcnt(2)
	v_pk_mul_f32 v[154:155], v[82:83], v[118:119] op_sel_hi:[0,1]
	s_waitcnt lgkmcnt(1)
	v_dot4c_i32_i8_e32 v156, v90, v146
	v_dot4c_i32_i8_e32 v158, v84, v146
	;; [unrolled: 1-line block ×16, first 2 shown]
	s_waitcnt lgkmcnt(0)
	v_dot4c_i32_i8_e32 v156, v104, v150
	v_dot4c_i32_i8_e32 v158, v100, v150
	;; [unrolled: 1-line block ×16, first 2 shown]
	ds_read_b128 v[146:149], v144 offset:5120
	ds_read_b128 v[150:153], v144 offset:5136
	v_cvt_f32_i32_e32 v156, v156
	s_waitcnt lgkmcnt(1)
	v_dot4c_i32_i8_e32 v157, v90, v146
	v_dot4c_i32_i8_e32 v157, v91, v147
	;; [unrolled: 1-line block ×4, first 2 shown]
	s_waitcnt lgkmcnt(0)
	v_dot4c_i32_i8_e32 v157, v104, v150
	v_dot4c_i32_i8_e32 v157, v105, v151
	;; [unrolled: 1-line block ×4, first 2 shown]
	s_nop 2
	v_cvt_f32_i32_e32 v157, v157
	v_pk_fma_f32 v[16:17], v[154:155], v[156:157], v[16:17]
	v_mov_b32_e32 v156, 0
	v_dot4c_i32_i8_e32 v156, v84, v146
	v_dot4c_i32_i8_e32 v156, v85, v147
	;; [unrolled: 1-line block ×8, first 2 shown]
	v_pk_mul_f32 v[154:155], v[78:79], v[118:119] op_sel_hi:[0,1]
	s_nop 1
	v_cvt_f32_i32_e32 v157, v156
	v_cvt_f32_i32_e32 v156, v158
	v_mov_b32_e32 v158, 0
	v_pk_fma_f32 v[14:15], v[154:155], v[156:157], v[14:15]
	v_mov_b32_e32 v156, 0
	v_dot4c_i32_i8_e32 v156, v88, v146
	v_dot4c_i32_i8_e32 v156, v89, v147
	;; [unrolled: 1-line block ×8, first 2 shown]
	v_pk_mul_f32 v[154:155], v[80:81], v[118:119] op_sel_hi:[0,1]
	v_pk_mul_f32 v[118:119], v[86:87], v[118:119] op_sel_hi:[0,1]
	s_nop 0
	v_cvt_f32_i32_e32 v157, v156
	v_cvt_f32_i32_e32 v156, v159
	v_pk_fma_f32 v[12:13], v[154:155], v[156:157], v[12:13]
	v_mov_b32_e32 v154, 0
	v_dot4c_i32_i8_e32 v154, v94, v146
	v_dot4c_i32_i8_e32 v154, v95, v147
	;; [unrolled: 1-line block ×8, first 2 shown]
	v_cvt_f32_i32_e32 v146, v160
	v_mov_b32_e32 v155, 0
	v_mov_b32_e32 v156, 0
	v_cvt_f32_i32_e32 v147, v154
	v_mov_b32_e32 v154, 0
	v_mov_b32_e32 v157, 0
	v_pk_fma_f32 v[10:11], v[118:119], v[146:147], v[10:11]
	ds_read2_b32 v[118:119], v139 offset0:192 offset1:224
	ds_read_b128 v[146:149], v144 offset:6144
	ds_read_b128 v[150:153], v144 offset:6160
	v_add_u32_e32 v139, 4, v139
	s_waitcnt lgkmcnt(1)
	v_dot4c_i32_i8_e32 v154, v90, v146
	v_dot4c_i32_i8_e32 v155, v84, v146
	;; [unrolled: 1-line block ×16, first 2 shown]
	s_waitcnt lgkmcnt(0)
	v_dot4c_i32_i8_e32 v154, v104, v150
	v_dot4c_i32_i8_e32 v155, v100, v150
	;; [unrolled: 1-line block ×16, first 2 shown]
	ds_read_b128 v[146:149], v144 offset:7168
	ds_read_b128 v[150:153], v144 offset:7184
	v_add_u32_e32 v144, 32, v144
	s_waitcnt lgkmcnt(1)
	v_dot4c_i32_i8_e32 v158, v90, v146
	v_dot4c_i32_i8_e32 v158, v91, v147
	v_pk_mul_f32 v[90:91], v[82:83], v[118:119] op_sel_hi:[0,1]
	v_mov_b32_e32 v82, 0
	v_dot4c_i32_i8_e32 v82, v84, v146
	v_dot4c_i32_i8_e32 v82, v85, v147
	v_pk_mul_f32 v[84:85], v[78:79], v[118:119] op_sel_hi:[0,1]
	v_mov_b32_e32 v78, 0
	v_dot4c_i32_i8_e32 v78, v88, v146
	v_dot4c_i32_i8_e32 v78, v89, v147
	;; [unrolled: 1-line block ×6, first 2 shown]
	s_waitcnt lgkmcnt(0)
	v_dot4c_i32_i8_e32 v158, v104, v150
	v_dot4c_i32_i8_e32 v78, v106, v150
	;; [unrolled: 1-line block ×10, first 2 shown]
	v_cvt_f32_i32_e32 v98, v154
	v_cvt_f32_i32_e32 v99, v158
	v_dot4c_i32_i8_e32 v82, v100, v150
	v_cvt_f32_i32_e32 v89, v78
	v_mov_b32_e32 v78, 0
	v_dot4c_i32_i8_e32 v82, v101, v151
	v_dot4c_i32_i8_e32 v78, v94, v146
	;; [unrolled: 1-line block ×6, first 2 shown]
	v_pk_fma_f32 v[8:9], v[90:91], v[98:99], v[8:9]
	v_cvt_f32_i32_e32 v90, v155
	v_cvt_f32_i32_e32 v91, v82
	v_dot4c_i32_i8_e32 v78, v103, v149
	v_cvt_f32_i32_e32 v88, v156
	v_dot4c_i32_i8_e32 v78, v112, v150
	v_dot4c_i32_i8_e32 v78, v113, v151
	;; [unrolled: 1-line block ×3, first 2 shown]
	v_pk_fma_f32 v[6:7], v[84:85], v[90:91], v[6:7]
	v_pk_mul_f32 v[84:85], v[80:81], v[118:119] op_sel_hi:[0,1]
	v_dot4c_i32_i8_e32 v78, v117, v153
	v_pk_fma_f32 v[4:5], v[84:85], v[88:89], v[4:5]
	v_cvt_f32_i32_e32 v88, v157
	v_pk_mul_f32 v[84:85], v[86:87], v[118:119] op_sel_hi:[0,1]
	v_cvt_f32_i32_e32 v89, v78
	v_pk_fma_f32 v[2:3], v[84:85], v[88:89], v[2:3]
	s_cbranch_scc1 .LBB165_6
; %bb.7:                                ;   in Loop: Header=BB165_5 Depth=1
	s_add_i32 s0, s0, 4
	s_cmp_ge_i32 s0, s4
	s_barrier
	s_cbranch_scc0 .LBB165_5
; %bb.8:
	v_mov_b32_e32 v34, v35
.LBB165_9:
	v_cmp_gt_u32_e32 vcc, s8, v37
	s_and_saveexec_b64 s[0:1], vcc
	s_cbranch_execz .LBB165_60
; %bb.10:
	v_add_u32_e32 v0, s6, v1
	v_mul_lo_u32 v35, v37, s10
	v_cmp_gt_u32_e32 vcc, s10, v0
	s_and_saveexec_b64 s[2:3], vcc
	s_cbranch_execz .LBB165_12
; %bb.11:
	v_bfe_u32 v1, v32, 16, 1
	s_movk_i32 s0, 0x7fff
	v_add3_u32 v1, v32, v1, s0
	v_lshrrev_b32_e32 v1, 16, v1
	v_mov_b32_e32 v36, 0x7fc0
	v_cmp_o_f32_e64 s[0:1], v32, v32
	v_cndmask_b32_e64 v1, v36, v1, s[0:1]
	v_add_u32_e32 v36, v0, v35
	v_mov_b32_e32 v37, 0
	v_lshlrev_b64 v[36:37], 1, v[36:37]
	s_waitcnt lgkmcnt(0)
	v_mov_b32_e32 v32, s13
	v_add_co_u32_e64 v36, s[0:1], s12, v36
	v_addc_co_u32_e64 v37, s[0:1], v32, v37, s[0:1]
	global_store_short v[36:37], v1, off
.LBB165_12:
	s_or_b64 exec, exec, s[2:3]
	v_add_u32_e32 v1, 32, v0
	v_cmp_gt_u32_e64 s[0:1], s10, v1
	s_and_saveexec_b64 s[4:5], s[0:1]
	s_cbranch_execz .LBB165_14
; %bb.13:
	v_bfe_u32 v32, v30, 16, 1
	s_movk_i32 s2, 0x7fff
	v_add3_u32 v32, v30, v32, s2
	v_lshrrev_b32_e32 v32, 16, v32
	v_mov_b32_e32 v36, 0x7fc0
	v_cmp_o_f32_e64 s[2:3], v30, v30
	v_cndmask_b32_e64 v30, v36, v32, s[2:3]
	v_add_u32_e32 v36, v1, v35
	v_mov_b32_e32 v37, 0
	v_lshlrev_b64 v[36:37], 1, v[36:37]
	s_waitcnt lgkmcnt(0)
	v_mov_b32_e32 v32, s13
	v_add_co_u32_e64 v36, s[2:3], s12, v36
	v_addc_co_u32_e64 v37, s[2:3], v32, v37, s[2:3]
	global_store_short v[36:37], v30, off
.LBB165_14:
	s_or_b64 exec, exec, s[4:5]
	v_add_u32_e32 v30, 64, v0
	v_cmp_gt_u32_e64 s[2:3], s10, v30
	s_and_saveexec_b64 s[6:7], s[2:3]
	;; [unrolled: 22-line block ×3, first 2 shown]
	s_cbranch_execz .LBB165_18
; %bb.17:
	v_bfe_u32 v32, v26, 16, 1
	s_movk_i32 s6, 0x7fff
	v_add3_u32 v32, v26, v32, s6
	v_lshrrev_b32_e32 v32, 16, v32
	v_mov_b32_e32 v36, 0x7fc0
	v_cmp_o_f32_e64 s[6:7], v26, v26
	v_cndmask_b32_e64 v26, v36, v32, s[6:7]
	v_add_u32_e32 v36, v28, v35
	v_mov_b32_e32 v37, 0
	v_lshlrev_b64 v[36:37], 1, v[36:37]
	s_waitcnt lgkmcnt(0)
	v_mov_b32_e32 v32, s13
	v_add_co_u32_e64 v36, s[6:7], s12, v36
	v_addc_co_u32_e64 v37, s[6:7], v32, v37, s[6:7]
	global_store_short v[36:37], v26, off
.LBB165_18:
	s_or_b64 exec, exec, s[14:15]
	v_add3_u32 v26, v34, s11, 8
	v_cmp_gt_u32_e64 s[6:7], s8, v26
	s_and_b64 exec, exec, s[6:7]
	s_cbranch_execz .LBB165_60
; %bb.19:
	v_mul_lo_u32 v26, v26, s10
	s_and_saveexec_b64 s[14:15], vcc
	s_cbranch_execnz .LBB165_61
; %bb.20:
	s_or_b64 exec, exec, s[14:15]
	s_and_saveexec_b64 s[14:15], s[0:1]
	s_cbranch_execnz .LBB165_62
.LBB165_21:
	s_or_b64 exec, exec, s[14:15]
	s_and_saveexec_b64 s[14:15], s[2:3]
	s_cbranch_execnz .LBB165_63
.LBB165_22:
	s_or_b64 exec, exec, s[14:15]
	s_and_saveexec_b64 s[14:15], s[4:5]
	s_cbranch_execz .LBB165_24
.LBB165_23:
	v_bfe_u32 v29, v27, 16, 1
	s_movk_i32 s6, 0x7fff
	v_add3_u32 v29, v27, v29, s6
	v_cmp_o_f32_e64 s[6:7], v27, v27
	v_add_u32_e32 v26, v26, v28
	v_mov_b32_e32 v27, 0
	v_lshrrev_b32_e32 v29, 16, v29
	v_mov_b32_e32 v31, 0x7fc0
	v_lshlrev_b64 v[26:27], 1, v[26:27]
	v_cndmask_b32_e64 v29, v31, v29, s[6:7]
	s_waitcnt lgkmcnt(0)
	v_mov_b32_e32 v31, s13
	v_add_co_u32_e64 v26, s[6:7], s12, v26
	v_addc_co_u32_e64 v27, s[6:7], v31, v27, s[6:7]
	global_store_short v[26:27], v29, off
.LBB165_24:
	s_or_b64 exec, exec, s[14:15]
	v_add3_u32 v26, v34, s11, 16
	v_cmp_gt_u32_e64 s[6:7], s8, v26
	s_and_b64 exec, exec, s[6:7]
	s_cbranch_execz .LBB165_60
; %bb.25:
	v_mul_lo_u32 v26, v26, s10
	s_and_saveexec_b64 s[14:15], vcc
	s_cbranch_execnz .LBB165_64
; %bb.26:
	s_or_b64 exec, exec, s[14:15]
	s_and_saveexec_b64 s[14:15], s[0:1]
	s_cbranch_execnz .LBB165_65
.LBB165_27:
	s_or_b64 exec, exec, s[14:15]
	s_and_saveexec_b64 s[14:15], s[2:3]
	s_cbranch_execnz .LBB165_66
.LBB165_28:
	s_or_b64 exec, exec, s[14:15]
	s_and_saveexec_b64 s[14:15], s[4:5]
	s_cbranch_execz .LBB165_30
.LBB165_29:
	v_bfe_u32 v20, v18, 16, 1
	s_movk_i32 s6, 0x7fff
	v_add3_u32 v20, v18, v20, s6
	v_add_u32_e32 v26, v26, v28
	v_mov_b32_e32 v27, 0
	v_lshrrev_b32_e32 v20, 16, v20
	v_mov_b32_e32 v22, 0x7fc0
	v_cmp_o_f32_e64 s[6:7], v18, v18
	v_lshlrev_b64 v[26:27], 1, v[26:27]
	v_cndmask_b32_e64 v18, v22, v20, s[6:7]
	s_waitcnt lgkmcnt(0)
	v_mov_b32_e32 v20, s13
	v_add_co_u32_e64 v26, s[6:7], s12, v26
	v_addc_co_u32_e64 v27, s[6:7], v20, v27, s[6:7]
	global_store_short v[26:27], v18, off
.LBB165_30:
	s_or_b64 exec, exec, s[14:15]
	v_add3_u32 v18, v34, s11, 24
	v_cmp_gt_u32_e64 s[6:7], s8, v18
	s_and_b64 exec, exec, s[6:7]
	s_cbranch_execz .LBB165_60
; %bb.31:
	v_mul_lo_u32 v18, v18, s10
	s_and_saveexec_b64 s[14:15], vcc
	s_cbranch_execnz .LBB165_67
; %bb.32:
	s_or_b64 exec, exec, s[14:15]
	s_and_saveexec_b64 s[14:15], s[0:1]
	s_cbranch_execnz .LBB165_68
.LBB165_33:
	s_or_b64 exec, exec, s[14:15]
	s_and_saveexec_b64 s[14:15], s[2:3]
	s_cbranch_execnz .LBB165_69
.LBB165_34:
	s_or_b64 exec, exec, s[14:15]
	s_and_saveexec_b64 s[14:15], s[4:5]
	s_cbranch_execz .LBB165_36
.LBB165_35:
	v_bfe_u32 v20, v19, 16, 1
	s_movk_i32 s6, 0x7fff
	v_add3_u32 v20, v19, v20, s6
	v_cmp_o_f32_e64 s[6:7], v19, v19
	v_add_u32_e32 v18, v18, v28
	v_mov_b32_e32 v19, 0
	v_lshrrev_b32_e32 v20, 16, v20
	v_mov_b32_e32 v21, 0x7fc0
	v_lshlrev_b64 v[18:19], 1, v[18:19]
	v_cndmask_b32_e64 v20, v21, v20, s[6:7]
	s_waitcnt lgkmcnt(0)
	v_mov_b32_e32 v21, s13
	v_add_co_u32_e64 v18, s[6:7], s12, v18
	v_addc_co_u32_e64 v19, s[6:7], v21, v19, s[6:7]
	global_store_short v[18:19], v20, off
.LBB165_36:
	s_or_b64 exec, exec, s[14:15]
	v_add3_u32 v18, v34, s11, 32
	v_cmp_gt_u32_e64 s[6:7], s8, v18
	s_and_b64 exec, exec, s[6:7]
	s_cbranch_execz .LBB165_60
; %bb.37:
	v_mul_lo_u32 v18, v18, s10
	s_and_saveexec_b64 s[14:15], vcc
	s_cbranch_execnz .LBB165_70
; %bb.38:
	s_or_b64 exec, exec, s[14:15]
	s_and_saveexec_b64 s[14:15], s[0:1]
	s_cbranch_execnz .LBB165_71
.LBB165_39:
	s_or_b64 exec, exec, s[14:15]
	s_and_saveexec_b64 s[14:15], s[2:3]
	s_cbranch_execnz .LBB165_72
.LBB165_40:
	s_or_b64 exec, exec, s[14:15]
	s_and_saveexec_b64 s[14:15], s[4:5]
	s_cbranch_execz .LBB165_42
.LBB165_41:
	v_bfe_u32 v12, v10, 16, 1
	s_movk_i32 s6, 0x7fff
	v_add3_u32 v12, v10, v12, s6
	v_add_u32_e32 v18, v18, v28
	v_mov_b32_e32 v19, 0
	v_lshrrev_b32_e32 v12, 16, v12
	v_mov_b32_e32 v14, 0x7fc0
	v_cmp_o_f32_e64 s[6:7], v10, v10
	v_lshlrev_b64 v[18:19], 1, v[18:19]
	v_cndmask_b32_e64 v10, v14, v12, s[6:7]
	s_waitcnt lgkmcnt(0)
	v_mov_b32_e32 v12, s13
	v_add_co_u32_e64 v18, s[6:7], s12, v18
	v_addc_co_u32_e64 v19, s[6:7], v12, v19, s[6:7]
	global_store_short v[18:19], v10, off
.LBB165_42:
	s_or_b64 exec, exec, s[14:15]
	v_add3_u32 v10, v34, s11, 40
	v_cmp_gt_u32_e64 s[6:7], s8, v10
	s_and_b64 exec, exec, s[6:7]
	s_cbranch_execz .LBB165_60
; %bb.43:
	v_mul_lo_u32 v10, v10, s10
	s_and_saveexec_b64 s[14:15], vcc
	s_cbranch_execnz .LBB165_73
; %bb.44:
	s_or_b64 exec, exec, s[14:15]
	s_and_saveexec_b64 s[14:15], s[0:1]
	s_cbranch_execnz .LBB165_74
.LBB165_45:
	s_or_b64 exec, exec, s[14:15]
	s_and_saveexec_b64 s[14:15], s[2:3]
	s_cbranch_execnz .LBB165_75
.LBB165_46:
	s_or_b64 exec, exec, s[14:15]
	s_and_saveexec_b64 s[14:15], s[4:5]
	s_cbranch_execz .LBB165_48
.LBB165_47:
	v_bfe_u32 v12, v11, 16, 1
	s_movk_i32 s6, 0x7fff
	v_add3_u32 v12, v11, v12, s6
	v_cmp_o_f32_e64 s[6:7], v11, v11
	v_add_u32_e32 v10, v10, v28
	v_mov_b32_e32 v11, 0
	v_lshrrev_b32_e32 v12, 16, v12
	v_mov_b32_e32 v13, 0x7fc0
	v_lshlrev_b64 v[10:11], 1, v[10:11]
	v_cndmask_b32_e64 v12, v13, v12, s[6:7]
	s_waitcnt lgkmcnt(0)
	v_mov_b32_e32 v13, s13
	v_add_co_u32_e64 v10, s[6:7], s12, v10
	v_addc_co_u32_e64 v11, s[6:7], v13, v11, s[6:7]
	global_store_short v[10:11], v12, off
.LBB165_48:
	s_or_b64 exec, exec, s[14:15]
	v_add3_u32 v10, v34, s11, 48
	v_cmp_gt_u32_e64 s[6:7], s8, v10
	s_and_b64 exec, exec, s[6:7]
	s_cbranch_execz .LBB165_60
; %bb.49:
	v_mul_lo_u32 v10, v10, s10
	s_and_saveexec_b64 s[14:15], vcc
	s_cbranch_execnz .LBB165_76
; %bb.50:
	s_or_b64 exec, exec, s[14:15]
	s_and_saveexec_b64 s[14:15], s[0:1]
	s_cbranch_execnz .LBB165_77
.LBB165_51:
	s_or_b64 exec, exec, s[14:15]
	s_and_saveexec_b64 s[14:15], s[2:3]
	s_cbranch_execnz .LBB165_78
.LBB165_52:
	s_or_b64 exec, exec, s[14:15]
	s_and_saveexec_b64 s[14:15], s[4:5]
	s_cbranch_execz .LBB165_54
.LBB165_53:
	v_bfe_u32 v4, v2, 16, 1
	s_movk_i32 s6, 0x7fff
	v_add3_u32 v4, v2, v4, s6
	v_add_u32_e32 v10, v10, v28
	v_mov_b32_e32 v11, 0
	v_lshrrev_b32_e32 v4, 16, v4
	v_mov_b32_e32 v6, 0x7fc0
	v_cmp_o_f32_e64 s[6:7], v2, v2
	v_lshlrev_b64 v[10:11], 1, v[10:11]
	v_cndmask_b32_e64 v2, v6, v4, s[6:7]
	s_waitcnt lgkmcnt(0)
	v_mov_b32_e32 v4, s13
	v_add_co_u32_e64 v10, s[6:7], s12, v10
	v_addc_co_u32_e64 v11, s[6:7], v4, v11, s[6:7]
	global_store_short v[10:11], v2, off
.LBB165_54:
	s_or_b64 exec, exec, s[14:15]
	v_add3_u32 v2, v34, s11, 56
	v_cmp_gt_u32_e64 s[6:7], s8, v2
	s_and_b64 exec, exec, s[6:7]
	s_cbranch_execz .LBB165_60
; %bb.55:
	v_mul_lo_u32 v2, v2, s10
	s_and_saveexec_b64 s[6:7], vcc
	s_cbranch_execnz .LBB165_79
; %bb.56:
	s_or_b64 exec, exec, s[6:7]
	s_and_saveexec_b64 s[6:7], s[0:1]
	s_cbranch_execnz .LBB165_80
.LBB165_57:
	s_or_b64 exec, exec, s[6:7]
	s_and_saveexec_b64 s[0:1], s[2:3]
	s_cbranch_execnz .LBB165_81
.LBB165_58:
	s_or_b64 exec, exec, s[0:1]
	s_and_b64 exec, exec, s[4:5]
	s_cbranch_execz .LBB165_60
.LBB165_59:
	v_bfe_u32 v0, v3, 16, 1
	s_movk_i32 s0, 0x7fff
	v_add3_u32 v0, v3, v0, s0
	v_lshrrev_b32_e32 v0, 16, v0
	v_mov_b32_e32 v1, 0x7fc0
	v_cmp_o_f32_e32 vcc, v3, v3
	v_cndmask_b32_e32 v3, v1, v0, vcc
	v_add_u32_e32 v0, v2, v28
	v_mov_b32_e32 v1, 0
	v_lshlrev_b64 v[0:1], 1, v[0:1]
	s_waitcnt lgkmcnt(0)
	v_mov_b32_e32 v2, s13
	v_add_co_u32_e32 v0, vcc, s12, v0
	v_addc_co_u32_e32 v1, vcc, v2, v1, vcc
	global_store_short v[0:1], v3, off
.LBB165_60:
	s_endpgm
.LBB165_61:
	v_bfe_u32 v32, v33, 16, 1
	s_movk_i32 s6, 0x7fff
	v_add3_u32 v32, v33, v32, s6
	v_lshrrev_b32_e32 v32, 16, v32
	v_mov_b32_e32 v35, 0x7fc0
	v_cmp_o_f32_e64 s[6:7], v33, v33
	v_cndmask_b32_e64 v35, v35, v32, s[6:7]
	v_add_u32_e32 v32, v26, v0
	v_mov_b32_e32 v33, 0
	v_lshlrev_b64 v[32:33], 1, v[32:33]
	s_waitcnt lgkmcnt(0)
	v_mov_b32_e32 v36, s13
	v_add_co_u32_e64 v32, s[6:7], s12, v32
	v_addc_co_u32_e64 v33, s[6:7], v36, v33, s[6:7]
	global_store_short v[32:33], v35, off
	s_or_b64 exec, exec, s[14:15]
	s_and_saveexec_b64 s[14:15], s[0:1]
	s_cbranch_execz .LBB165_21
.LBB165_62:
	v_bfe_u32 v32, v31, 16, 1
	s_movk_i32 s6, 0x7fff
	v_add3_u32 v32, v31, v32, s6
	v_lshrrev_b32_e32 v32, 16, v32
	v_mov_b32_e32 v33, 0x7fc0
	v_cmp_o_f32_e64 s[6:7], v31, v31
	v_cndmask_b32_e64 v31, v33, v32, s[6:7]
	v_add_u32_e32 v32, v26, v1
	v_mov_b32_e32 v33, 0
	v_lshlrev_b64 v[32:33], 1, v[32:33]
	s_waitcnt lgkmcnt(0)
	v_mov_b32_e32 v35, s13
	v_add_co_u32_e64 v32, s[6:7], s12, v32
	v_addc_co_u32_e64 v33, s[6:7], v35, v33, s[6:7]
	global_store_short v[32:33], v31, off
	s_or_b64 exec, exec, s[14:15]
	s_and_saveexec_b64 s[14:15], s[2:3]
	s_cbranch_execz .LBB165_22
.LBB165_63:
	v_bfe_u32 v31, v29, 16, 1
	s_movk_i32 s6, 0x7fff
	v_add3_u32 v31, v29, v31, s6
	v_lshrrev_b32_e32 v31, 16, v31
	v_mov_b32_e32 v32, 0x7fc0
	v_cmp_o_f32_e64 s[6:7], v29, v29
	v_cndmask_b32_e64 v29, v32, v31, s[6:7]
	v_add_u32_e32 v32, v26, v30
	v_mov_b32_e32 v33, 0
	v_lshlrev_b64 v[32:33], 1, v[32:33]
	s_waitcnt lgkmcnt(0)
	v_mov_b32_e32 v31, s13
	v_add_co_u32_e64 v32, s[6:7], s12, v32
	v_addc_co_u32_e64 v33, s[6:7], v31, v33, s[6:7]
	global_store_short v[32:33], v29, off
	s_or_b64 exec, exec, s[14:15]
	s_and_saveexec_b64 s[14:15], s[4:5]
	s_cbranch_execnz .LBB165_23
	s_branch .LBB165_24
.LBB165_64:
	v_bfe_u32 v27, v24, 16, 1
	s_movk_i32 s6, 0x7fff
	v_add3_u32 v27, v24, v27, s6
	v_add_u32_e32 v32, v26, v0
	v_mov_b32_e32 v33, 0
	v_lshrrev_b32_e32 v27, 16, v27
	v_mov_b32_e32 v29, 0x7fc0
	v_cmp_o_f32_e64 s[6:7], v24, v24
	v_lshlrev_b64 v[32:33], 1, v[32:33]
	v_cndmask_b32_e64 v24, v29, v27, s[6:7]
	s_waitcnt lgkmcnt(0)
	v_mov_b32_e32 v27, s13
	v_add_co_u32_e64 v32, s[6:7], s12, v32
	v_addc_co_u32_e64 v33, s[6:7], v27, v33, s[6:7]
	global_store_short v[32:33], v24, off
	s_or_b64 exec, exec, s[14:15]
	s_and_saveexec_b64 s[14:15], s[0:1]
	s_cbranch_execz .LBB165_27
.LBB165_65:
	v_bfe_u32 v24, v22, 16, 1
	s_movk_i32 s6, 0x7fff
	v_add3_u32 v24, v22, v24, s6
	v_add_u32_e32 v32, v26, v1
	v_mov_b32_e32 v33, 0
	v_lshrrev_b32_e32 v24, 16, v24
	v_mov_b32_e32 v27, 0x7fc0
	v_cmp_o_f32_e64 s[6:7], v22, v22
	v_lshlrev_b64 v[32:33], 1, v[32:33]
	v_cndmask_b32_e64 v22, v27, v24, s[6:7]
	s_waitcnt lgkmcnt(0)
	v_mov_b32_e32 v24, s13
	v_add_co_u32_e64 v32, s[6:7], s12, v32
	v_addc_co_u32_e64 v33, s[6:7], v24, v33, s[6:7]
	global_store_short v[32:33], v22, off
	s_or_b64 exec, exec, s[14:15]
	s_and_saveexec_b64 s[14:15], s[2:3]
	s_cbranch_execz .LBB165_28
.LBB165_66:
	v_bfe_u32 v22, v20, 16, 1
	s_movk_i32 s6, 0x7fff
	v_add3_u32 v22, v20, v22, s6
	v_add_u32_e32 v32, v26, v30
	v_mov_b32_e32 v33, 0
	v_lshrrev_b32_e32 v22, 16, v22
	v_mov_b32_e32 v24, 0x7fc0
	v_cmp_o_f32_e64 s[6:7], v20, v20
	v_lshlrev_b64 v[32:33], 1, v[32:33]
	v_cndmask_b32_e64 v20, v24, v22, s[6:7]
	s_waitcnt lgkmcnt(0)
	v_mov_b32_e32 v22, s13
	v_add_co_u32_e64 v32, s[6:7], s12, v32
	v_addc_co_u32_e64 v33, s[6:7], v22, v33, s[6:7]
	global_store_short v[32:33], v20, off
	s_or_b64 exec, exec, s[14:15]
	s_and_saveexec_b64 s[14:15], s[4:5]
	s_cbranch_execnz .LBB165_29
	s_branch .LBB165_30
.LBB165_67:
	v_bfe_u32 v20, v25, 16, 1
	s_movk_i32 s6, 0x7fff
	v_add3_u32 v20, v25, v20, s6
	v_cmp_o_f32_e64 s[6:7], v25, v25
	v_add_u32_e32 v24, v18, v0
	v_mov_b32_e32 v25, 0
	v_lshrrev_b32_e32 v20, 16, v20
	v_mov_b32_e32 v22, 0x7fc0
	v_lshlrev_b64 v[24:25], 1, v[24:25]
	v_cndmask_b32_e64 v20, v22, v20, s[6:7]
	s_waitcnt lgkmcnt(0)
	v_mov_b32_e32 v22, s13
	v_add_co_u32_e64 v24, s[6:7], s12, v24
	v_addc_co_u32_e64 v25, s[6:7], v22, v25, s[6:7]
	global_store_short v[24:25], v20, off
	s_or_b64 exec, exec, s[14:15]
	s_and_saveexec_b64 s[14:15], s[0:1]
	s_cbranch_execz .LBB165_33
.LBB165_68:
	v_bfe_u32 v20, v23, 16, 1
	s_movk_i32 s6, 0x7fff
	v_add3_u32 v20, v23, v20, s6
	v_lshrrev_b32_e32 v20, 16, v20
	v_mov_b32_e32 v22, 0x7fc0
	v_cmp_o_f32_e64 s[6:7], v23, v23
	v_cndmask_b32_e64 v20, v22, v20, s[6:7]
	v_add_u32_e32 v22, v18, v1
	v_mov_b32_e32 v23, 0
	v_lshlrev_b64 v[22:23], 1, v[22:23]
	s_waitcnt lgkmcnt(0)
	v_mov_b32_e32 v24, s13
	v_add_co_u32_e64 v22, s[6:7], s12, v22
	v_addc_co_u32_e64 v23, s[6:7], v24, v23, s[6:7]
	global_store_short v[22:23], v20, off
	s_or_b64 exec, exec, s[14:15]
	s_and_saveexec_b64 s[14:15], s[2:3]
	s_cbranch_execz .LBB165_34
.LBB165_69:
	v_bfe_u32 v20, v21, 16, 1
	s_movk_i32 s6, 0x7fff
	v_add3_u32 v20, v21, v20, s6
	v_lshrrev_b32_e32 v20, 16, v20
	v_mov_b32_e32 v22, 0x7fc0
	v_cmp_o_f32_e64 s[6:7], v21, v21
	v_cndmask_b32_e64 v22, v22, v20, s[6:7]
	v_add_u32_e32 v20, v18, v30
	v_mov_b32_e32 v21, 0
	v_lshlrev_b64 v[20:21], 1, v[20:21]
	s_waitcnt lgkmcnt(0)
	v_mov_b32_e32 v23, s13
	v_add_co_u32_e64 v20, s[6:7], s12, v20
	v_addc_co_u32_e64 v21, s[6:7], v23, v21, s[6:7]
	global_store_short v[20:21], v22, off
	s_or_b64 exec, exec, s[14:15]
	s_and_saveexec_b64 s[14:15], s[4:5]
	s_cbranch_execnz .LBB165_35
	s_branch .LBB165_36
.LBB165_70:
	v_bfe_u32 v19, v16, 16, 1
	s_movk_i32 s6, 0x7fff
	v_add3_u32 v19, v16, v19, s6
	v_lshrrev_b32_e32 v19, 16, v19
	v_mov_b32_e32 v20, 0x7fc0
	v_cmp_o_f32_e64 s[6:7], v16, v16
	v_cndmask_b32_e64 v16, v20, v19, s[6:7]
	v_add_u32_e32 v20, v18, v0
	v_mov_b32_e32 v21, 0
	v_lshlrev_b64 v[20:21], 1, v[20:21]
	s_waitcnt lgkmcnt(0)
	v_mov_b32_e32 v19, s13
	v_add_co_u32_e64 v20, s[6:7], s12, v20
	v_addc_co_u32_e64 v21, s[6:7], v19, v21, s[6:7]
	global_store_short v[20:21], v16, off
	s_or_b64 exec, exec, s[14:15]
	s_and_saveexec_b64 s[14:15], s[0:1]
	s_cbranch_execz .LBB165_39
.LBB165_71:
	v_bfe_u32 v16, v14, 16, 1
	s_movk_i32 s6, 0x7fff
	v_add3_u32 v16, v14, v16, s6
	v_add_u32_e32 v20, v18, v1
	v_mov_b32_e32 v21, 0
	v_lshrrev_b32_e32 v16, 16, v16
	v_mov_b32_e32 v19, 0x7fc0
	v_cmp_o_f32_e64 s[6:7], v14, v14
	v_lshlrev_b64 v[20:21], 1, v[20:21]
	v_cndmask_b32_e64 v14, v19, v16, s[6:7]
	s_waitcnt lgkmcnt(0)
	v_mov_b32_e32 v16, s13
	v_add_co_u32_e64 v20, s[6:7], s12, v20
	v_addc_co_u32_e64 v21, s[6:7], v16, v21, s[6:7]
	global_store_short v[20:21], v14, off
	s_or_b64 exec, exec, s[14:15]
	s_and_saveexec_b64 s[14:15], s[2:3]
	s_cbranch_execz .LBB165_40
.LBB165_72:
	v_bfe_u32 v14, v12, 16, 1
	s_movk_i32 s6, 0x7fff
	v_add3_u32 v14, v12, v14, s6
	v_add_u32_e32 v20, v18, v30
	v_mov_b32_e32 v21, 0
	v_lshrrev_b32_e32 v14, 16, v14
	v_mov_b32_e32 v16, 0x7fc0
	v_cmp_o_f32_e64 s[6:7], v12, v12
	v_lshlrev_b64 v[20:21], 1, v[20:21]
	v_cndmask_b32_e64 v12, v16, v14, s[6:7]
	s_waitcnt lgkmcnt(0)
	v_mov_b32_e32 v14, s13
	v_add_co_u32_e64 v20, s[6:7], s12, v20
	v_addc_co_u32_e64 v21, s[6:7], v14, v21, s[6:7]
	global_store_short v[20:21], v12, off
	s_or_b64 exec, exec, s[14:15]
	s_and_saveexec_b64 s[14:15], s[4:5]
	s_cbranch_execnz .LBB165_41
	s_branch .LBB165_42
.LBB165_73:
	v_bfe_u32 v12, v17, 16, 1
	s_movk_i32 s6, 0x7fff
	v_add3_u32 v12, v17, v12, s6
	v_cmp_o_f32_e64 s[6:7], v17, v17
	v_add_u32_e32 v16, v10, v0
	v_mov_b32_e32 v17, 0
	v_lshrrev_b32_e32 v12, 16, v12
	v_mov_b32_e32 v14, 0x7fc0
	v_lshlrev_b64 v[16:17], 1, v[16:17]
	v_cndmask_b32_e64 v12, v14, v12, s[6:7]
	s_waitcnt lgkmcnt(0)
	v_mov_b32_e32 v14, s13
	v_add_co_u32_e64 v16, s[6:7], s12, v16
	v_addc_co_u32_e64 v17, s[6:7], v14, v17, s[6:7]
	global_store_short v[16:17], v12, off
	s_or_b64 exec, exec, s[14:15]
	s_and_saveexec_b64 s[14:15], s[0:1]
	s_cbranch_execz .LBB165_45
.LBB165_74:
	v_bfe_u32 v12, v15, 16, 1
	s_movk_i32 s6, 0x7fff
	v_add3_u32 v12, v15, v12, s6
	v_lshrrev_b32_e32 v12, 16, v12
	v_mov_b32_e32 v14, 0x7fc0
	v_cmp_o_f32_e64 s[6:7], v15, v15
	v_cndmask_b32_e64 v12, v14, v12, s[6:7]
	v_add_u32_e32 v14, v10, v1
	v_mov_b32_e32 v15, 0
	v_lshlrev_b64 v[14:15], 1, v[14:15]
	s_waitcnt lgkmcnt(0)
	v_mov_b32_e32 v16, s13
	v_add_co_u32_e64 v14, s[6:7], s12, v14
	v_addc_co_u32_e64 v15, s[6:7], v16, v15, s[6:7]
	global_store_short v[14:15], v12, off
	s_or_b64 exec, exec, s[14:15]
	s_and_saveexec_b64 s[14:15], s[2:3]
	s_cbranch_execz .LBB165_46
.LBB165_75:
	v_bfe_u32 v12, v13, 16, 1
	s_movk_i32 s6, 0x7fff
	v_add3_u32 v12, v13, v12, s6
	v_lshrrev_b32_e32 v12, 16, v12
	v_mov_b32_e32 v14, 0x7fc0
	v_cmp_o_f32_e64 s[6:7], v13, v13
	v_cndmask_b32_e64 v14, v14, v12, s[6:7]
	v_add_u32_e32 v12, v10, v30
	v_mov_b32_e32 v13, 0
	v_lshlrev_b64 v[12:13], 1, v[12:13]
	s_waitcnt lgkmcnt(0)
	v_mov_b32_e32 v15, s13
	v_add_co_u32_e64 v12, s[6:7], s12, v12
	v_addc_co_u32_e64 v13, s[6:7], v15, v13, s[6:7]
	global_store_short v[12:13], v14, off
	s_or_b64 exec, exec, s[14:15]
	s_and_saveexec_b64 s[14:15], s[4:5]
	s_cbranch_execnz .LBB165_47
	s_branch .LBB165_48
.LBB165_76:
	v_bfe_u32 v11, v8, 16, 1
	s_movk_i32 s6, 0x7fff
	v_add3_u32 v11, v8, v11, s6
	v_lshrrev_b32_e32 v11, 16, v11
	v_mov_b32_e32 v12, 0x7fc0
	v_cmp_o_f32_e64 s[6:7], v8, v8
	v_cndmask_b32_e64 v8, v12, v11, s[6:7]
	v_add_u32_e32 v12, v10, v0
	v_mov_b32_e32 v13, 0
	v_lshlrev_b64 v[12:13], 1, v[12:13]
	s_waitcnt lgkmcnt(0)
	v_mov_b32_e32 v11, s13
	v_add_co_u32_e64 v12, s[6:7], s12, v12
	v_addc_co_u32_e64 v13, s[6:7], v11, v13, s[6:7]
	global_store_short v[12:13], v8, off
	s_or_b64 exec, exec, s[14:15]
	s_and_saveexec_b64 s[14:15], s[0:1]
	s_cbranch_execz .LBB165_51
.LBB165_77:
	v_bfe_u32 v8, v6, 16, 1
	s_movk_i32 s6, 0x7fff
	v_add3_u32 v8, v6, v8, s6
	v_add_u32_e32 v12, v10, v1
	v_mov_b32_e32 v13, 0
	v_lshrrev_b32_e32 v8, 16, v8
	v_mov_b32_e32 v11, 0x7fc0
	v_cmp_o_f32_e64 s[6:7], v6, v6
	v_lshlrev_b64 v[12:13], 1, v[12:13]
	v_cndmask_b32_e64 v6, v11, v8, s[6:7]
	s_waitcnt lgkmcnt(0)
	v_mov_b32_e32 v8, s13
	v_add_co_u32_e64 v12, s[6:7], s12, v12
	v_addc_co_u32_e64 v13, s[6:7], v8, v13, s[6:7]
	global_store_short v[12:13], v6, off
	s_or_b64 exec, exec, s[14:15]
	s_and_saveexec_b64 s[14:15], s[2:3]
	s_cbranch_execz .LBB165_52
.LBB165_78:
	v_bfe_u32 v6, v4, 16, 1
	s_movk_i32 s6, 0x7fff
	v_add3_u32 v6, v4, v6, s6
	v_add_u32_e32 v12, v10, v30
	v_mov_b32_e32 v13, 0
	v_lshrrev_b32_e32 v6, 16, v6
	v_mov_b32_e32 v8, 0x7fc0
	v_cmp_o_f32_e64 s[6:7], v4, v4
	v_lshlrev_b64 v[12:13], 1, v[12:13]
	v_cndmask_b32_e64 v4, v8, v6, s[6:7]
	s_waitcnt lgkmcnt(0)
	v_mov_b32_e32 v6, s13
	v_add_co_u32_e64 v12, s[6:7], s12, v12
	v_addc_co_u32_e64 v13, s[6:7], v6, v13, s[6:7]
	global_store_short v[12:13], v4, off
	s_or_b64 exec, exec, s[14:15]
	s_and_saveexec_b64 s[14:15], s[4:5]
	s_cbranch_execnz .LBB165_53
	s_branch .LBB165_54
.LBB165_79:
	v_bfe_u32 v4, v9, 16, 1
	s_movk_i32 s8, 0x7fff
	v_add3_u32 v4, v9, v4, s8
	v_cmp_o_f32_e32 vcc, v9, v9
	v_add_u32_e32 v8, v2, v0
	v_mov_b32_e32 v9, 0
	v_lshrrev_b32_e32 v4, 16, v4
	v_mov_b32_e32 v6, 0x7fc0
	v_lshlrev_b64 v[8:9], 1, v[8:9]
	v_cndmask_b32_e32 v4, v6, v4, vcc
	s_waitcnt lgkmcnt(0)
	v_mov_b32_e32 v0, s13
	v_add_co_u32_e32 v8, vcc, s12, v8
	v_addc_co_u32_e32 v9, vcc, v0, v9, vcc
	global_store_short v[8:9], v4, off
	s_or_b64 exec, exec, s[6:7]
	s_and_saveexec_b64 s[6:7], s[0:1]
	s_cbranch_execz .LBB165_57
.LBB165_80:
	v_bfe_u32 v0, v7, 16, 1
	s_movk_i32 s0, 0x7fff
	v_add3_u32 v0, v7, v0, s0
	v_lshrrev_b32_e32 v0, 16, v0
	v_mov_b32_e32 v4, 0x7fc0
	v_cmp_o_f32_e32 vcc, v7, v7
	v_cndmask_b32_e32 v4, v4, v0, vcc
	v_add_u32_e32 v0, v2, v1
	v_mov_b32_e32 v1, 0
	v_lshlrev_b64 v[0:1], 1, v[0:1]
	s_waitcnt lgkmcnt(0)
	v_mov_b32_e32 v6, s13
	v_add_co_u32_e32 v0, vcc, s12, v0
	v_addc_co_u32_e32 v1, vcc, v6, v1, vcc
	global_store_short v[0:1], v4, off
	s_or_b64 exec, exec, s[6:7]
	s_and_saveexec_b64 s[0:1], s[2:3]
	s_cbranch_execz .LBB165_58
.LBB165_81:
	v_bfe_u32 v0, v5, 16, 1
	s_movk_i32 s2, 0x7fff
	v_add3_u32 v0, v5, v0, s2
	v_lshrrev_b32_e32 v0, 16, v0
	v_mov_b32_e32 v1, 0x7fc0
	v_cmp_o_f32_e32 vcc, v5, v5
	v_cndmask_b32_e32 v4, v1, v0, vcc
	v_add_u32_e32 v0, v2, v30
	v_mov_b32_e32 v1, 0
	v_lshlrev_b64 v[0:1], 1, v[0:1]
	s_waitcnt lgkmcnt(0)
	v_mov_b32_e32 v5, s13
	v_add_co_u32_e32 v0, vcc, s12, v0
	v_addc_co_u32_e32 v1, vcc, v5, v1, vcc
	global_store_short v[0:1], v4, off
	s_or_b64 exec, exec, s[0:1]
	s_and_b64 exec, exec, s[4:5]
	s_cbranch_execnz .LBB165_59
	s_branch .LBB165_60
	.section	.rodata,"a",@progbits
	.p2align	6, 0x0
	.amdhsa_kernel _ZL12mul_mat_q8_0IN3c108BFloat16ELb0EEvPKvS3_PT_iiiii
		.amdhsa_group_segment_fixed_size 28224
		.amdhsa_private_segment_fixed_size 0
		.amdhsa_kernarg_size 44
		.amdhsa_user_sgpr_count 6
		.amdhsa_user_sgpr_private_segment_buffer 1
		.amdhsa_user_sgpr_dispatch_ptr 0
		.amdhsa_user_sgpr_queue_ptr 0
		.amdhsa_user_sgpr_kernarg_segment_ptr 1
		.amdhsa_user_sgpr_dispatch_id 0
		.amdhsa_user_sgpr_flat_scratch_init 0
		.amdhsa_user_sgpr_kernarg_preload_length 0
		.amdhsa_user_sgpr_kernarg_preload_offset 0
		.amdhsa_user_sgpr_private_segment_size 0
		.amdhsa_uses_dynamic_stack 0
		.amdhsa_system_sgpr_private_segment_wavefront_offset 0
		.amdhsa_system_sgpr_workgroup_id_x 1
		.amdhsa_system_sgpr_workgroup_id_y 1
		.amdhsa_system_sgpr_workgroup_id_z 0
		.amdhsa_system_sgpr_workgroup_info 0
		.amdhsa_system_vgpr_workitem_id 1
		.amdhsa_next_free_vgpr 161
		.amdhsa_next_free_sgpr 18
		.amdhsa_accum_offset 164
		.amdhsa_reserve_vcc 1
		.amdhsa_reserve_flat_scratch 0
		.amdhsa_float_round_mode_32 0
		.amdhsa_float_round_mode_16_64 0
		.amdhsa_float_denorm_mode_32 3
		.amdhsa_float_denorm_mode_16_64 3
		.amdhsa_dx10_clamp 1
		.amdhsa_ieee_mode 1
		.amdhsa_fp16_overflow 0
		.amdhsa_tg_split 0
		.amdhsa_exception_fp_ieee_invalid_op 0
		.amdhsa_exception_fp_denorm_src 0
		.amdhsa_exception_fp_ieee_div_zero 0
		.amdhsa_exception_fp_ieee_overflow 0
		.amdhsa_exception_fp_ieee_underflow 0
		.amdhsa_exception_fp_ieee_inexact 0
		.amdhsa_exception_int_div_zero 0
	.end_amdhsa_kernel
	.section	.text._ZL12mul_mat_q8_0IN3c108BFloat16ELb0EEvPKvS3_PT_iiiii,"axG",@progbits,_ZL12mul_mat_q8_0IN3c108BFloat16ELb0EEvPKvS3_PT_iiiii,comdat
.Lfunc_end165:
	.size	_ZL12mul_mat_q8_0IN3c108BFloat16ELb0EEvPKvS3_PT_iiiii, .Lfunc_end165-_ZL12mul_mat_q8_0IN3c108BFloat16ELb0EEvPKvS3_PT_iiiii
                                        ; -- End function
	.section	.AMDGPU.csdata,"",@progbits
; Kernel info:
; codeLenInByte = 8252
; NumSgprs: 22
; NumVgprs: 161
; NumAgprs: 0
; TotalNumVgprs: 161
; ScratchSize: 0
; MemoryBound: 0
; FloatMode: 240
; IeeeMode: 1
; LDSByteSize: 28224 bytes/workgroup (compile time only)
; SGPRBlocks: 2
; VGPRBlocks: 20
; NumSGPRsForWavesPerEU: 22
; NumVGPRsForWavesPerEU: 161
; AccumOffset: 164
; Occupancy: 2
; WaveLimiterHint : 0
; COMPUTE_PGM_RSRC2:SCRATCH_EN: 0
; COMPUTE_PGM_RSRC2:USER_SGPR: 6
; COMPUTE_PGM_RSRC2:TRAP_HANDLER: 0
; COMPUTE_PGM_RSRC2:TGID_X_EN: 1
; COMPUTE_PGM_RSRC2:TGID_Y_EN: 1
; COMPUTE_PGM_RSRC2:TGID_Z_EN: 0
; COMPUTE_PGM_RSRC2:TIDIG_COMP_CNT: 1
; COMPUTE_PGM_RSRC3_GFX90A:ACCUM_OFFSET: 40
; COMPUTE_PGM_RSRC3_GFX90A:TG_SPLIT: 0
	.section	.text._ZL12mul_mat_q8_0IN3c108BFloat16ELb1EEvPKvS3_PT_iiiii,"axG",@progbits,_ZL12mul_mat_q8_0IN3c108BFloat16ELb1EEvPKvS3_PT_iiiii,comdat
	.globl	_ZL12mul_mat_q8_0IN3c108BFloat16ELb1EEvPKvS3_PT_iiiii ; -- Begin function _ZL12mul_mat_q8_0IN3c108BFloat16ELb1EEvPKvS3_PT_iiiii
	.p2align	8
	.type	_ZL12mul_mat_q8_0IN3c108BFloat16ELb1EEvPKvS3_PT_iiiii,@function
_ZL12mul_mat_q8_0IN3c108BFloat16ELb1EEvPKvS3_PT_iiiii: ; @_ZL12mul_mat_q8_0IN3c108BFloat16ELb1EEvPKvS3_PT_iiiii
; %bb.0:
	s_load_dwordx4 s[8:11], s[4:5], 0x18
	s_load_dword s14, s[4:5], 0x28
	s_lshl_b32 s15, s7, 6
	v_bfe_u32 v35, v0, 10, 10
	s_waitcnt lgkmcnt(0)
	s_cmp_gt_i32 s8, 31
	s_cbranch_scc1 .LBB166_2
; %bb.1:
	v_bfe_u32 v34, v0, 10, 10
	v_and_b32_e32 v1, 0x3ff, v0
	v_add_u32_e32 v37, s15, v34
	s_mov_b64 s[0:1], 0
	s_mov_b32 s2, 0
	s_branch .LBB166_3
.LBB166_2:
	s_mov_b64 s[0:1], -1
                                        ; implicit-def: $sgpr2
                                        ; implicit-def: $vgpr34
                                        ; implicit-def: $vgpr1
                                        ; implicit-def: $vgpr37
.LBB166_3:
	s_load_dwordx2 s[12:13], s[4:5], 0x10
	s_lshl_b32 s6, s6, 7
	s_andn2_b64 vcc, exec, s[0:1]
	v_mov_b32_e32 v3, s2
	v_mov_b32_e32 v2, s2
	;; [unrolled: 1-line block ×32, first 2 shown]
	s_cbranch_vccnz .LBB166_9
; %bb.4:
	s_load_dwordx4 s[0:3], s[4:5], 0x0
	s_ashr_i32 s4, s8, 31
	s_lshr_b32 s4, s4, 27
	s_ashr_i32 s5, s11, 31
	s_add_i32 s4, s8, s4
	s_lshr_b32 s5, s5, 27
	s_ashr_i32 s4, s4, 5
	s_add_i32 s5, s11, s5
	s_ashr_i32 s8, s5, 5
	s_mul_i32 s5, s4, s6
	s_mul_hi_i32 s7, s5, 34
	s_mul_i32 s5, s5, 34
	s_waitcnt lgkmcnt(0)
	s_add_u32 s5, s0, s5
	s_addc_u32 s7, s1, s7
	s_not_b32 s0, s6
	s_add_i32 s1, s0, s9
	v_and_b32_e32 v1, 0x3ff, v0
	v_lshlrev_b32_e32 v2, 2, v1
	v_min_i32_e32 v3, s1, v35
	s_movk_i32 s9, 0x84
	v_add_u32_e32 v6, 8, v35
	v_mul_lo_u32 v36, v3, s4
	v_mad_u64_u32 v[38:39], s[16:17], v3, s9, v[2:3]
	v_min_i32_e32 v3, s1, v6
	v_add_u32_e32 v7, 16, v35
	v_mul_lo_u32 v40, v3, s4
	v_mad_u64_u32 v[42:43], s[16:17], v3, s9, v[2:3]
	v_min_i32_e32 v3, s1, v7
	;; [unrolled: 4-line block ×7, first 2 shown]
	v_mul_lo_u32 v64, v3, s4
	v_mad_u64_u32 v[66:67], s[16:17], v3, s9, v[2:3]
	v_add_u32_e32 v3, 64, v35
	v_min_i32_e32 v3, s1, v3
	v_mul_lo_u32 v68, v3, s4
	v_mad_u64_u32 v[70:71], s[16:17], v3, s9, v[2:3]
	v_add_u32_e32 v3, 0x48, v35
	v_min_i32_e32 v3, s1, v3
	v_mul_lo_u32 v72, v3, s4
	v_mad_u64_u32 v[74:75], s[16:17], v3, s9, v[2:3]
	v_add_u32_e32 v3, 0x50, v35
	v_min_i32_e32 v3, s1, v3
	v_mul_lo_u32 v76, v3, s4
	v_mad_u64_u32 v[78:79], s[16:17], v3, s9, v[2:3]
	v_add_u32_e32 v3, 0x58, v35
	v_min_i32_e32 v3, s1, v3
	v_mul_lo_u32 v80, v3, s4
	v_mad_u64_u32 v[82:83], s[16:17], v3, s9, v[2:3]
	v_add_u32_e32 v3, 0x60, v35
	v_min_i32_e32 v3, s1, v3
	v_mul_lo_u32 v84, v3, s4
	v_mad_u64_u32 v[86:87], s[16:17], v3, s9, v[2:3]
	v_add_u32_e32 v3, 0x68, v35
	v_min_i32_e32 v3, s1, v3
	v_mul_lo_u32 v88, v3, s4
	v_mad_u64_u32 v[90:91], s[16:17], v3, s9, v[2:3]
	v_add_u32_e32 v3, 0x70, v35
	v_min_i32_e32 v3, s1, v3
	v_mul_lo_u32 v92, v3, s4
	v_mad_u64_u32 v[94:95], s[16:17], v3, s9, v[2:3]
	v_add_u32_e32 v3, 0x78, v35
	v_min_i32_e32 v3, s1, v3
	v_and_b32_e32 v34, 28, v2
	v_mad_u64_u32 v[98:99], s[16:17], v3, s9, v[2:3]
	v_lshrrev_b32_e32 v2, 2, v1
	v_lshl_add_u32 v4, v35, 3, v2
	v_min_i32_e32 v2, s1, v4
	v_mul_lo_u32 v96, v3, s4
	v_ashrrev_i32_e32 v3, 31, v2
	v_lshrrev_b32_e32 v3, 29, v3
	v_add_u32_e32 v3, v2, v3
	v_and_b32_e32 v100, 3, v1
	v_mul_lo_u32 v102, v2, s4
	v_ashrrev_i32_e32 v3, 3, v3
	v_lshlrev_b32_e32 v14, 4, v2
	v_add_u32_e32 v2, 64, v4
	v_lshlrev_b32_e32 v3, 2, v3
	v_lshlrev_b32_e32 v5, 2, v100
	s_movk_i32 s9, 0x6200
	v_min_i32_e32 v2, s1, v2
	v_add3_u32 v13, v3, v5, s9
	v_ashrrev_i32_e32 v3, 31, v2
	v_lshrrev_b32_e32 v3, 29, v3
	v_add_u32_e32 v3, v2, v3
	v_ashrrev_i32_e32 v3, 3, v3
	v_mov_b32_e32 v18, s3
	v_add_co_u32_e32 v106, vcc, s2, v34
	v_and_b32_e32 v4, 63, v4
	v_lshlrev_b32_e32 v3, 2, v3
	v_add_u32_e32 v37, s15, v35
	s_add_i32 s1, s10, -1
	v_addc_co_u32_e32 v107, vcc, 0, v18, vcc
	v_or_b32_e32 v18, s15, v4
	v_lshl_or_b32 v4, v4, 4, v5
	v_mul_lo_u32 v104, v2, s4
	v_add3_u32 v15, v3, v5, s9
	v_lshlrev_b32_e32 v16, 4, v2
	v_cvt_f64_i32_e32 v[2:3], s1
	v_add_u32_e32 v39, 0x6a40, v4
	v_cvt_f64_u32_e32 v[4:5], v37
	v_and_b32_e32 v17, 31, v1
	v_min_i32_e32 v18, s1, v18
	v_min_f64 v[4:5], v[4:5], v[2:3]
	v_mad_u64_u32 v[108:109], s[16:17], v18, s8, v[100:101]
	v_cvt_i32_f64_e32 v4, v[4:5]
	v_lshlrev_b32_e32 v17, 2, v17
	v_lshlrev_b32_e32 v18, 7, v35
	v_mul_lo_u32 v41, s8, v4
	v_or_b32_e32 v4, v18, v17
	v_add_u32_e32 v43, 0x4200, v4
	v_add_u32_e32 v4, 8, v37
	v_cvt_f64_u32_e32 v[4:5], v4
	v_min_f64 v[4:5], v[4:5], v[2:3]
	v_cvt_i32_f64_e32 v4, v[4:5]
	v_mul_lo_u32 v45, s8, v4
	v_lshl_or_b32 v4, v6, 7, v17
	v_add_u32_e32 v47, 0x4200, v4
	v_add_u32_e32 v4, 16, v37
	v_cvt_f64_u32_e32 v[4:5], v4
	v_min_f64 v[4:5], v[4:5], v[2:3]
	v_cvt_i32_f64_e32 v4, v[4:5]
	v_mul_lo_u32 v49, s8, v4
	v_lshl_or_b32 v4, v7, 7, v17
	;; [unrolled: 7-line block ×6, first 2 shown]
	v_add_u32_e32 v67, 0x4200, v4
	v_add_u32_e32 v4, 56, v37
	v_cvt_f64_u32_e32 v[4:5], v4
	v_min_f64 v[2:3], v[4:5], v[2:3]
	v_cvt_i32_f64_e32 v2, v[2:3]
	v_add_u32_e32 v4, 0x60, v1
	v_mul_lo_u32 v69, s8, v2
	v_lshl_or_b32 v2, v12, 7, v17
	v_add_u32_e32 v3, 64, v1
	v_lshrrev_b32_e32 v4, 1, v4
	v_add_u32_e32 v71, 0x4200, v2
	v_add_u32_e32 v2, 32, v1
	v_lshlrev_b32_e32 v5, 4, v1
	v_and_b32_e32 v4, 0xfc, v4
	s_movk_i32 s1, 0x6800
	v_lshrrev_b32_e32 v3, 1, v3
	v_add3_u32 v77, v5, v4, s1
	v_and_b32_e32 v3, 0xfc, v3
	s_movk_i32 s1, 0x6600
	v_lshrrev_b32_e32 v2, 1, v2
	v_lshrrev_b32_e32 v0, 3, v1
	v_add3_u32 v79, v5, v3, s1
	v_and_b32_e32 v2, 0xfc, v2
	s_movk_i32 s1, 0x6400
	s_mov_b32 s0, 0
	v_add3_u32 v81, v5, v2, s1
	v_lshlrev_b32_e32 v2, 2, v0
	v_add3_u32 v83, v5, v2, s9
	v_mov_b32_e32 v2, 0x6a40
	s_mov_b32 s1, s0
	v_mul_u32_u24_e32 v73, 0x84, v1
	v_add_u32_e32 v75, 0x4200, v18
	v_lshl_add_u32 v85, v35, 4, v2
	v_pk_mov_b32 v[32:33], s[0:1], s[0:1] op_sel:[0,1]
	v_add_u32_e32 v87, v13, v14
	v_add_u32_e32 v89, v15, v16
	v_pk_mov_b32 v[24:25], s[0:1], s[0:1] op_sel:[0,1]
	v_pk_mov_b32 v[16:17], s[0:1], s[0:1] op_sel:[0,1]
	;; [unrolled: 1-line block ×15, first 2 shown]
.LBB166_5:                              ; =>This Loop Header: Depth=1
                                        ;     Child Loop BB166_6 Depth 2
	s_mul_i32 s8, s0, 34
	s_mul_hi_u32 s1, s0, 34
	s_add_u32 s8, s5, s8
	s_addc_u32 s9, s7, s1
	v_mad_u64_u32 v[110:111], s[16:17], v0, 34, s[8:9]
	v_add_co_u32_e32 v91, vcc, v110, v34
	v_addc_co_u32_e32 v93, vcc, 0, v111, vcc
	v_add_co_u32_e32 v110, vcc, 2, v91
	v_addc_co_u32_e32 v111, vcc, 0, v93, vcc
	v_mad_i64_i32 v[112:113], s[16:17], v36, 34, v[110:111]
	v_mad_i64_i32 v[114:115], s[16:17], v40, 34, v[110:111]
	;; [unrolled: 1-line block ×8, first 2 shown]
	global_load_dword v91, v[112:113], off
	global_load_dword v93, v[114:115], off
	;; [unrolled: 1-line block ×8, first 2 shown]
	v_mad_i64_i32 v[112:113], s[16:17], v68, 34, v[110:111]
	v_mad_i64_i32 v[114:115], s[16:17], v72, 34, v[110:111]
	;; [unrolled: 1-line block ×8, first 2 shown]
	global_load_dword v109, v[112:113], off
	global_load_dword v128, v[114:115], off
	;; [unrolled: 1-line block ×3, first 2 shown]
                                        ; kill: killed $vgpr116_vgpr117
                                        ; kill: killed $vgpr114_vgpr115
                                        ; kill: killed $vgpr112_vgpr113
	global_load_dword v130, v[118:119], off
	global_load_dword v131, v[120:121], off
	;; [unrolled: 1-line block ×5, first 2 shown]
	v_mad_u64_u32 v[110:111], s[8:9], v100, 34, s[8:9]
	v_mad_i64_i32 v[112:113], s[8:9], v102, 34, v[110:111]
	v_mad_i64_i32 v[110:111], s[8:9], v104, 34, v[110:111]
	v_add_u32_e32 v124, s0, v0
	global_load_ushort v135, v[112:113], off
	global_load_ushort v136, v[110:111], off
	v_add_u32_e32 v110, v124, v41
	v_add_u32_e32 v112, v124, v45
	;; [unrolled: 1-line block ×5, first 2 shown]
	v_mad_i64_i32 v[110:111], s[8:9], v110, 36, v[106:107]
	v_mad_i64_i32 v[112:113], s[8:9], v112, 36, v[106:107]
	;; [unrolled: 1-line block ×5, first 2 shown]
	v_add_u32_e32 v120, v124, v61
	v_add_u32_e32 v122, v124, v65
	;; [unrolled: 1-line block ×4, first 2 shown]
	v_mad_i64_i32 v[120:121], s[8:9], v120, 36, v[106:107]
	v_mad_i64_i32 v[122:123], s[8:9], v122, 36, v[106:107]
	;; [unrolled: 1-line block ×3, first 2 shown]
	v_mad_u64_u32 v[126:127], s[8:9], v126, 36, s[2:3]
	global_load_dword v110, v[110:111], off offset:4
	s_nop 0
	global_load_dword v111, v[112:113], off offset:4
	s_nop 0
	global_load_dword v112, v[114:115], off offset:4
	global_load_dword v113, v[116:117], off offset:4
	s_nop 0
	global_load_dword v114, v[118:119], off offset:4
	global_load_dword v115, v[126:127], off
	global_load_dword v116, v[120:121], off offset:4
	global_load_dword v117, v[122:123], off offset:4
	s_nop 0
	global_load_dword v118, v[124:125], off offset:4
	s_mov_b32 s1, -8
	s_waitcnt vmcnt(26)
	ds_write_b32 v38, v91
	s_waitcnt vmcnt(25)
	ds_write_b32 v42, v93
	;; [unrolled: 2-line block ×14, first 2 shown]
	v_mov_b32_e32 v95, v81
	v_mov_b32_e32 v97, v79
	;; [unrolled: 1-line block ×5, first 2 shown]
	s_waitcnt vmcnt(10)
	v_cvt_f32_f16_e32 v91, v135
	s_waitcnt vmcnt(9)
	v_cvt_f32_f16_e32 v93, v136
	ds_write_b32 v94, v133
	ds_write_b32 v98, v134
	;; [unrolled: 1-line block ×4, first 2 shown]
	s_waitcnt vmcnt(8)
	ds_write_b32 v43, v110
	s_waitcnt vmcnt(7)
	ds_write_b32 v47, v111
	;; [unrolled: 2-line block ×5, first 2 shown]
	s_waitcnt vmcnt(3)
	v_cvt_f32_f16_e32 v91, v115
	s_waitcnt vmcnt(2)
	ds_write_b32 v63, v116
	s_waitcnt vmcnt(1)
	ds_write_b32 v67, v117
	s_waitcnt vmcnt(0)
	ds_write_b32 v71, v118
	ds_write_b32 v39, v91
	v_mov_b32_e32 v91, v85
	v_mov_b32_e32 v93, v83
	s_waitcnt lgkmcnt(0)
	s_barrier
.LBB166_6:                              ;   Parent Loop BB166_5 Depth=1
                                        ; =>  This Inner Loop Header: Depth=2
	v_add_u32_e32 v111, 0x1088, v103
	ds_read2_b32 v[150:151], v91 offset1:32
	ds_read_b128 v[152:155], v101
	ds_read_b128 v[156:159], v101 offset:16
	ds_read_b32 v114, v93
	ds_read2_b32 v[122:123], v103 offset1:1
	ds_read2_b32 v[130:131], v103 offset0:2 offset1:3
	ds_read2_b32 v[136:137], v103 offset0:4 offset1:5
	;; [unrolled: 1-line block ×3, first 2 shown]
	v_add_u32_e32 v109, 0x1080, v103
	ds_read_b32 v110, v95
	ds_read2_b32 v[116:117], v109 offset1:1
	ds_read2_b32 v[124:125], v111 offset1:1
	v_add_u32_e32 v111, 0x1090, v103
	ds_read2_b32 v[132:133], v111 offset1:1
	v_add_u32_e32 v111, 0x1098, v103
	v_add_u32_e32 v113, 0x2108, v103
	ds_read2_b32 v[142:143], v111 offset1:1
	v_add_u32_e32 v111, 0x2100, v103
	ds_read_b32 v112, v97
	ds_read2_b32 v[120:121], v111 offset1:1
	ds_read2_b32 v[128:129], v113 offset1:1
	v_add_u32_e32 v113, 0x2110, v103
	ds_read2_b32 v[138:139], v113 offset1:1
	v_add_u32_e32 v113, 0x2118, v103
	;; [unrolled: 2-line block ×3, first 2 shown]
	ds_read_b32 v118, v99
	ds_read2_b32 v[126:127], v113 offset1:1
	v_add_u32_e32 v115, 0x3188, v103
	ds_read2_b32 v[134:135], v115 offset1:1
	v_add_u32_e32 v115, 0x3190, v103
	v_mov_b32_e32 v105, 0
	v_mov_b32_e32 v109, 0
	;; [unrolled: 1-line block ×4, first 2 shown]
	ds_read2_b32 v[144:145], v115 offset1:1
	s_waitcnt lgkmcnt(14)
	v_dot4c_i32_i8_e32 v105, v122, v152
	s_waitcnt lgkmcnt(12)
	v_dot4c_i32_i8_e32 v109, v116, v152
	;; [unrolled: 2-line block ×4, first 2 shown]
	v_add_u32_e32 v115, 0x3198, v103
	v_dot4c_i32_i8_e32 v105, v123, v153
	v_dot4c_i32_i8_e32 v109, v117, v153
	v_dot4c_i32_i8_e32 v111, v121, v153
	v_dot4c_i32_i8_e32 v113, v127, v153
	ds_read2_b32 v[148:149], v115 offset1:1
	v_dot4c_i32_i8_e32 v105, v130, v154
	v_dot4c_i32_i8_e32 v109, v124, v154
	v_dot4c_i32_i8_e32 v111, v128, v154
	s_waitcnt lgkmcnt(2)
	v_dot4c_i32_i8_e32 v113, v134, v154
	v_dot4c_i32_i8_e32 v105, v131, v155
	v_dot4c_i32_i8_e32 v109, v125, v155
	v_dot4c_i32_i8_e32 v111, v129, v155
	v_dot4c_i32_i8_e32 v113, v135, v155
	v_dot4c_i32_i8_e32 v105, v136, v156
	v_dot4c_i32_i8_e32 v109, v132, v156
	v_dot4c_i32_i8_e32 v111, v138, v156
	s_waitcnt lgkmcnt(1)
	v_dot4c_i32_i8_e32 v113, v144, v156
	v_dot4c_i32_i8_e32 v105, v137, v157
	v_dot4c_i32_i8_e32 v109, v133, v157
	v_dot4c_i32_i8_e32 v111, v139, v157
	v_dot4c_i32_i8_e32 v113, v145, v157
	;; [unrolled: 9-line block ×3, first 2 shown]
	ds_read_b128 v[152:155], v101 offset:1024
	ds_read_b128 v[156:159], v101 offset:1040
	v_mov_b32_e32 v115, 0
	v_cvt_f32_i32_e32 v162, v105
	v_mov_b32_e32 v105, 0
	s_waitcnt lgkmcnt(1)
	v_dot4c_i32_i8_e32 v115, v122, v152
	v_dot4c_i32_i8_e32 v115, v123, v153
	;; [unrolled: 1-line block ×4, first 2 shown]
	s_waitcnt lgkmcnt(0)
	v_dot4c_i32_i8_e32 v115, v136, v156
	v_dot4c_i32_i8_e32 v105, v116, v152
	;; [unrolled: 1-line block ×10, first 2 shown]
	v_cvt_f32_i32_e32 v163, v115
	v_dot4c_i32_i8_e32 v105, v142, v158
	v_pk_mul_f32 v[160:161], v[114:115], v[150:151] op_sel_hi:[0,1]
	v_dot4c_i32_i8_e32 v105, v143, v159
	v_pk_fma_f32 v[32:33], v[160:161], v[162:163], v[32:33]
	v_cvt_f32_i32_e32 v162, v109
	v_pk_mul_f32 v[160:161], v[110:111], v[150:151] op_sel_hi:[0,1]
	v_cvt_f32_i32_e32 v163, v105
	v_mov_b32_e32 v105, 0
	v_dot4c_i32_i8_e32 v105, v120, v152
	v_dot4c_i32_i8_e32 v105, v121, v153
	;; [unrolled: 1-line block ×8, first 2 shown]
	v_pk_fma_f32 v[30:31], v[160:161], v[162:163], v[30:31]
	v_pk_mul_f32 v[160:161], v[112:113], v[150:151] op_sel_hi:[0,1]
	v_pk_mul_f32 v[150:151], v[118:119], v[150:151] op_sel_hi:[0,1]
	v_cvt_f32_i32_e32 v163, v105
	v_mov_b32_e32 v105, 0
	v_dot4c_i32_i8_e32 v105, v126, v152
	v_dot4c_i32_i8_e32 v105, v127, v153
	;; [unrolled: 1-line block ×8, first 2 shown]
	v_cvt_f32_i32_e32 v152, v113
	v_cvt_f32_i32_e32 v162, v111
	v_mov_b32_e32 v109, 0
	v_cvt_f32_i32_e32 v153, v105
	v_mov_b32_e32 v105, 0
	v_mov_b32_e32 v111, 0
	;; [unrolled: 1-line block ×3, first 2 shown]
	v_pk_fma_f32 v[26:27], v[150:151], v[152:153], v[26:27]
	ds_read2_b32 v[150:151], v91 offset0:64 offset1:96
	ds_read_b128 v[152:155], v101 offset:2048
	ds_read_b128 v[156:159], v101 offset:2064
	v_mov_b32_e32 v115, 0
	v_pk_fma_f32 v[28:29], v[160:161], v[162:163], v[28:29]
	s_add_i32 s1, s1, 8
	s_waitcnt lgkmcnt(1)
	v_dot4c_i32_i8_e32 v105, v122, v152
	v_dot4c_i32_i8_e32 v109, v116, v152
	;; [unrolled: 1-line block ×16, first 2 shown]
	s_waitcnt lgkmcnt(0)
	v_dot4c_i32_i8_e32 v105, v136, v156
	v_dot4c_i32_i8_e32 v109, v132, v156
	;; [unrolled: 1-line block ×16, first 2 shown]
	ds_read_b128 v[152:155], v101 offset:3072
	ds_read_b128 v[156:159], v101 offset:3088
	v_cvt_f32_i32_e32 v162, v105
	v_mov_b32_e32 v105, 0
	v_add_u32_e32 v103, 32, v103
	s_waitcnt lgkmcnt(1)
	v_dot4c_i32_i8_e32 v115, v122, v152
	v_dot4c_i32_i8_e32 v115, v123, v153
	;; [unrolled: 1-line block ×4, first 2 shown]
	s_waitcnt lgkmcnt(0)
	v_dot4c_i32_i8_e32 v115, v136, v156
	v_dot4c_i32_i8_e32 v105, v116, v152
	;; [unrolled: 1-line block ×10, first 2 shown]
	v_cvt_f32_i32_e32 v163, v115
	v_dot4c_i32_i8_e32 v105, v142, v158
	v_pk_mul_f32 v[160:161], v[114:115], v[150:151] op_sel_hi:[0,1]
	v_dot4c_i32_i8_e32 v105, v143, v159
	v_pk_fma_f32 v[24:25], v[160:161], v[162:163], v[24:25]
	v_cvt_f32_i32_e32 v162, v109
	v_pk_mul_f32 v[160:161], v[110:111], v[150:151] op_sel_hi:[0,1]
	v_cvt_f32_i32_e32 v163, v105
	v_mov_b32_e32 v105, 0
	v_dot4c_i32_i8_e32 v105, v120, v152
	v_dot4c_i32_i8_e32 v105, v121, v153
	;; [unrolled: 1-line block ×8, first 2 shown]
	v_pk_fma_f32 v[22:23], v[160:161], v[162:163], v[22:23]
	v_pk_mul_f32 v[160:161], v[112:113], v[150:151] op_sel_hi:[0,1]
	v_pk_mul_f32 v[150:151], v[118:119], v[150:151] op_sel_hi:[0,1]
	v_cvt_f32_i32_e32 v163, v105
	v_mov_b32_e32 v105, 0
	v_dot4c_i32_i8_e32 v105, v126, v152
	v_dot4c_i32_i8_e32 v105, v127, v153
	;; [unrolled: 1-line block ×8, first 2 shown]
	v_cvt_f32_i32_e32 v152, v113
	v_cvt_f32_i32_e32 v162, v111
	v_mov_b32_e32 v109, 0
	v_cvt_f32_i32_e32 v153, v105
	v_mov_b32_e32 v105, 0
	v_mov_b32_e32 v111, 0
	;; [unrolled: 1-line block ×3, first 2 shown]
	v_pk_fma_f32 v[18:19], v[150:151], v[152:153], v[18:19]
	ds_read2_b32 v[150:151], v91 offset0:128 offset1:160
	ds_read_b128 v[152:155], v101 offset:4096
	ds_read_b128 v[156:159], v101 offset:4112
	v_mov_b32_e32 v115, 0
	v_pk_fma_f32 v[20:21], v[160:161], v[162:163], v[20:21]
	v_add_u32_e32 v99, 4, v99
	s_waitcnt lgkmcnt(1)
	v_dot4c_i32_i8_e32 v105, v122, v152
	v_dot4c_i32_i8_e32 v109, v116, v152
	;; [unrolled: 1-line block ×16, first 2 shown]
	s_waitcnt lgkmcnt(0)
	v_dot4c_i32_i8_e32 v105, v136, v156
	v_dot4c_i32_i8_e32 v109, v132, v156
	;; [unrolled: 1-line block ×16, first 2 shown]
	ds_read_b128 v[152:155], v101 offset:5120
	ds_read_b128 v[156:159], v101 offset:5136
	v_cvt_f32_i32_e32 v162, v105
	v_mov_b32_e32 v105, 0
	v_add_u32_e32 v97, 4, v97
	s_waitcnt lgkmcnt(1)
	v_dot4c_i32_i8_e32 v115, v122, v152
	v_dot4c_i32_i8_e32 v115, v123, v153
	v_dot4c_i32_i8_e32 v115, v130, v154
	v_dot4c_i32_i8_e32 v115, v131, v155
	s_waitcnt lgkmcnt(0)
	v_dot4c_i32_i8_e32 v115, v136, v156
	v_dot4c_i32_i8_e32 v105, v116, v152
	;; [unrolled: 1-line block ×10, first 2 shown]
	v_cvt_f32_i32_e32 v163, v115
	v_dot4c_i32_i8_e32 v105, v142, v158
	v_pk_mul_f32 v[160:161], v[114:115], v[150:151] op_sel_hi:[0,1]
	v_dot4c_i32_i8_e32 v105, v143, v159
	v_pk_fma_f32 v[16:17], v[160:161], v[162:163], v[16:17]
	v_cvt_f32_i32_e32 v162, v109
	v_pk_mul_f32 v[160:161], v[110:111], v[150:151] op_sel_hi:[0,1]
	v_cvt_f32_i32_e32 v163, v105
	v_mov_b32_e32 v105, 0
	v_dot4c_i32_i8_e32 v105, v120, v152
	v_dot4c_i32_i8_e32 v105, v121, v153
	;; [unrolled: 1-line block ×8, first 2 shown]
	v_pk_fma_f32 v[14:15], v[160:161], v[162:163], v[14:15]
	v_pk_mul_f32 v[160:161], v[112:113], v[150:151] op_sel_hi:[0,1]
	v_cvt_f32_i32_e32 v162, v111
	v_cvt_f32_i32_e32 v163, v105
	v_mov_b32_e32 v105, 0
	v_dot4c_i32_i8_e32 v105, v126, v152
	v_dot4c_i32_i8_e32 v105, v127, v153
	;; [unrolled: 1-line block ×8, first 2 shown]
	v_cvt_f32_i32_e32 v152, v113
	v_pk_mul_f32 v[150:151], v[118:119], v[150:151] op_sel_hi:[0,1]
	v_pk_fma_f32 v[12:13], v[160:161], v[162:163], v[12:13]
	v_cvt_f32_i32_e32 v153, v105
	v_mov_b32_e32 v105, 0
	v_mov_b32_e32 v109, 0
	;; [unrolled: 1-line block ×3, first 2 shown]
	v_pk_fma_f32 v[10:11], v[150:151], v[152:153], v[10:11]
	ds_read2_b32 v[150:151], v91 offset0:192 offset1:224
	ds_read_b128 v[152:155], v101 offset:6144
	ds_read_b128 v[156:159], v101 offset:6160
	v_mov_b32_e32 v160, 0
	v_mov_b32_e32 v111, 0
	s_waitcnt lgkmcnt(2)
	v_pk_mul_f32 v[114:115], v[114:115], v[150:151] op_sel_hi:[0,1]
	s_waitcnt lgkmcnt(1)
	v_dot4c_i32_i8_e32 v105, v122, v152
	v_dot4c_i32_i8_e32 v109, v116, v152
	;; [unrolled: 1-line block ×16, first 2 shown]
	s_waitcnt lgkmcnt(0)
	v_dot4c_i32_i8_e32 v105, v136, v156
	v_dot4c_i32_i8_e32 v109, v132, v156
	;; [unrolled: 1-line block ×16, first 2 shown]
	ds_read_b128 v[152:155], v101 offset:7168
	ds_read_b128 v[156:159], v101 offset:7184
	v_add_u32_e32 v101, 32, v101
	v_add_u32_e32 v95, 4, v95
	;; [unrolled: 1-line block ×3, first 2 shown]
	s_waitcnt lgkmcnt(1)
	v_dot4c_i32_i8_e32 v111, v122, v152
	v_dot4c_i32_i8_e32 v111, v123, v153
	;; [unrolled: 1-line block ×4, first 2 shown]
	v_cvt_f32_i32_e32 v122, v105
	v_mov_b32_e32 v105, 0
	s_waitcnt lgkmcnt(0)
	v_dot4c_i32_i8_e32 v111, v136, v156
	v_dot4c_i32_i8_e32 v105, v116, v152
	;; [unrolled: 1-line block ×10, first 2 shown]
	v_cvt_f32_i32_e32 v123, v111
	v_dot4c_i32_i8_e32 v105, v142, v158
	v_dot4c_i32_i8_e32 v105, v143, v159
	v_pk_mul_f32 v[110:111], v[110:111], v[150:151] op_sel_hi:[0,1]
	v_pk_fma_f32 v[8:9], v[114:115], v[122:123], v[8:9]
	v_cvt_f32_i32_e32 v114, v109
	v_cvt_f32_i32_e32 v115, v105
	v_mov_b32_e32 v105, 0
	v_dot4c_i32_i8_e32 v105, v120, v152
	v_dot4c_i32_i8_e32 v105, v121, v153
	;; [unrolled: 1-line block ×8, first 2 shown]
	v_pk_fma_f32 v[6:7], v[110:111], v[114:115], v[6:7]
	v_pk_mul_f32 v[110:111], v[112:113], v[150:151] op_sel_hi:[0,1]
	v_cvt_f32_i32_e32 v112, v119
	v_cvt_f32_i32_e32 v113, v105
	v_mov_b32_e32 v105, 0
	v_dot4c_i32_i8_e32 v105, v126, v152
	v_dot4c_i32_i8_e32 v105, v127, v153
	;; [unrolled: 1-line block ×8, first 2 shown]
	v_pk_fma_f32 v[4:5], v[110:111], v[112:113], v[4:5]
	v_cvt_f32_i32_e32 v112, v160
	v_pk_mul_f32 v[110:111], v[118:119], v[150:151] op_sel_hi:[0,1]
	v_cvt_f32_i32_e32 v113, v105
	v_add_u32_e32 v91, 4, v91
	s_cmp_lt_u32 s1, 24
	v_pk_fma_f32 v[2:3], v[110:111], v[112:113], v[2:3]
	s_cbranch_scc1 .LBB166_6
; %bb.7:                                ;   in Loop: Header=BB166_5 Depth=1
	s_add_i32 s0, s0, 4
	s_cmp_ge_i32 s0, s4
	s_barrier
	s_cbranch_scc0 .LBB166_5
; %bb.8:
	v_mov_b32_e32 v34, v35
.LBB166_9:
	v_cmp_gt_u32_e32 vcc, s10, v37
	s_and_saveexec_b64 s[0:1], vcc
	s_cbranch_execz .LBB166_60
; %bb.10:
	v_add_u32_e32 v0, s6, v1
	v_mul_lo_u32 v35, v37, s14
	v_cmp_gt_u32_e32 vcc, s14, v0
	s_and_saveexec_b64 s[2:3], vcc
	s_cbranch_execz .LBB166_12
; %bb.11:
	v_bfe_u32 v1, v32, 16, 1
	s_movk_i32 s0, 0x7fff
	v_add3_u32 v1, v32, v1, s0
	v_lshrrev_b32_e32 v1, 16, v1
	v_mov_b32_e32 v36, 0x7fc0
	v_cmp_o_f32_e64 s[0:1], v32, v32
	v_cndmask_b32_e64 v1, v36, v1, s[0:1]
	v_add_u32_e32 v36, v0, v35
	v_mov_b32_e32 v37, 0
	v_lshlrev_b64 v[36:37], 1, v[36:37]
	s_waitcnt lgkmcnt(0)
	v_mov_b32_e32 v32, s13
	v_add_co_u32_e64 v36, s[0:1], s12, v36
	v_addc_co_u32_e64 v37, s[0:1], v32, v37, s[0:1]
	global_store_short v[36:37], v1, off
.LBB166_12:
	s_or_b64 exec, exec, s[2:3]
	v_add_u32_e32 v1, 32, v0
	v_cmp_gt_u32_e64 s[0:1], s14, v1
	s_and_saveexec_b64 s[4:5], s[0:1]
	s_cbranch_execz .LBB166_14
; %bb.13:
	v_bfe_u32 v32, v30, 16, 1
	s_movk_i32 s2, 0x7fff
	v_add3_u32 v32, v30, v32, s2
	v_lshrrev_b32_e32 v32, 16, v32
	v_mov_b32_e32 v36, 0x7fc0
	v_cmp_o_f32_e64 s[2:3], v30, v30
	v_cndmask_b32_e64 v30, v36, v32, s[2:3]
	v_add_u32_e32 v36, v1, v35
	v_mov_b32_e32 v37, 0
	v_lshlrev_b64 v[36:37], 1, v[36:37]
	s_waitcnt lgkmcnt(0)
	v_mov_b32_e32 v32, s13
	v_add_co_u32_e64 v36, s[2:3], s12, v36
	v_addc_co_u32_e64 v37, s[2:3], v32, v37, s[2:3]
	global_store_short v[36:37], v30, off
.LBB166_14:
	s_or_b64 exec, exec, s[4:5]
	v_add_u32_e32 v30, 64, v0
	v_cmp_gt_u32_e64 s[2:3], s14, v30
	s_and_saveexec_b64 s[6:7], s[2:3]
	;; [unrolled: 22-line block ×3, first 2 shown]
	s_cbranch_execz .LBB166_18
; %bb.17:
	v_bfe_u32 v32, v26, 16, 1
	s_movk_i32 s6, 0x7fff
	v_add3_u32 v32, v26, v32, s6
	v_lshrrev_b32_e32 v32, 16, v32
	v_mov_b32_e32 v36, 0x7fc0
	v_cmp_o_f32_e64 s[6:7], v26, v26
	v_cndmask_b32_e64 v26, v36, v32, s[6:7]
	v_add_u32_e32 v36, v28, v35
	v_mov_b32_e32 v37, 0
	v_lshlrev_b64 v[36:37], 1, v[36:37]
	s_waitcnt lgkmcnt(0)
	v_mov_b32_e32 v32, s13
	v_add_co_u32_e64 v36, s[6:7], s12, v36
	v_addc_co_u32_e64 v37, s[6:7], v32, v37, s[6:7]
	global_store_short v[36:37], v26, off
.LBB166_18:
	s_or_b64 exec, exec, s[8:9]
	v_add3_u32 v26, v34, s15, 8
	v_cmp_gt_u32_e64 s[6:7], s10, v26
	s_and_b64 exec, exec, s[6:7]
	s_cbranch_execz .LBB166_60
; %bb.19:
	v_mul_lo_u32 v26, v26, s14
	s_and_saveexec_b64 s[8:9], vcc
	s_cbranch_execnz .LBB166_61
; %bb.20:
	s_or_b64 exec, exec, s[8:9]
	s_and_saveexec_b64 s[8:9], s[0:1]
	s_cbranch_execnz .LBB166_62
.LBB166_21:
	s_or_b64 exec, exec, s[8:9]
	s_and_saveexec_b64 s[8:9], s[2:3]
	s_cbranch_execnz .LBB166_63
.LBB166_22:
	s_or_b64 exec, exec, s[8:9]
	s_and_saveexec_b64 s[8:9], s[4:5]
	s_cbranch_execz .LBB166_24
.LBB166_23:
	v_bfe_u32 v29, v27, 16, 1
	s_movk_i32 s6, 0x7fff
	v_add3_u32 v29, v27, v29, s6
	v_cmp_o_f32_e64 s[6:7], v27, v27
	v_add_u32_e32 v26, v26, v28
	v_mov_b32_e32 v27, 0
	v_lshrrev_b32_e32 v29, 16, v29
	v_mov_b32_e32 v31, 0x7fc0
	v_lshlrev_b64 v[26:27], 1, v[26:27]
	v_cndmask_b32_e64 v29, v31, v29, s[6:7]
	s_waitcnt lgkmcnt(0)
	v_mov_b32_e32 v31, s13
	v_add_co_u32_e64 v26, s[6:7], s12, v26
	v_addc_co_u32_e64 v27, s[6:7], v31, v27, s[6:7]
	global_store_short v[26:27], v29, off
.LBB166_24:
	s_or_b64 exec, exec, s[8:9]
	v_add3_u32 v26, v34, s15, 16
	v_cmp_gt_u32_e64 s[6:7], s10, v26
	s_and_b64 exec, exec, s[6:7]
	s_cbranch_execz .LBB166_60
; %bb.25:
	v_mul_lo_u32 v26, v26, s14
	s_and_saveexec_b64 s[8:9], vcc
	s_cbranch_execnz .LBB166_64
; %bb.26:
	s_or_b64 exec, exec, s[8:9]
	s_and_saveexec_b64 s[8:9], s[0:1]
	s_cbranch_execnz .LBB166_65
.LBB166_27:
	s_or_b64 exec, exec, s[8:9]
	s_and_saveexec_b64 s[8:9], s[2:3]
	s_cbranch_execnz .LBB166_66
.LBB166_28:
	s_or_b64 exec, exec, s[8:9]
	s_and_saveexec_b64 s[8:9], s[4:5]
	s_cbranch_execz .LBB166_30
.LBB166_29:
	v_bfe_u32 v20, v18, 16, 1
	s_movk_i32 s6, 0x7fff
	v_add3_u32 v20, v18, v20, s6
	v_add_u32_e32 v26, v26, v28
	v_mov_b32_e32 v27, 0
	v_lshrrev_b32_e32 v20, 16, v20
	v_mov_b32_e32 v22, 0x7fc0
	v_cmp_o_f32_e64 s[6:7], v18, v18
	v_lshlrev_b64 v[26:27], 1, v[26:27]
	v_cndmask_b32_e64 v18, v22, v20, s[6:7]
	s_waitcnt lgkmcnt(0)
	v_mov_b32_e32 v20, s13
	v_add_co_u32_e64 v26, s[6:7], s12, v26
	v_addc_co_u32_e64 v27, s[6:7], v20, v27, s[6:7]
	global_store_short v[26:27], v18, off
.LBB166_30:
	s_or_b64 exec, exec, s[8:9]
	v_add3_u32 v18, v34, s15, 24
	v_cmp_gt_u32_e64 s[6:7], s10, v18
	s_and_b64 exec, exec, s[6:7]
	s_cbranch_execz .LBB166_60
; %bb.31:
	v_mul_lo_u32 v18, v18, s14
	s_and_saveexec_b64 s[8:9], vcc
	s_cbranch_execnz .LBB166_67
; %bb.32:
	s_or_b64 exec, exec, s[8:9]
	s_and_saveexec_b64 s[8:9], s[0:1]
	s_cbranch_execnz .LBB166_68
.LBB166_33:
	s_or_b64 exec, exec, s[8:9]
	s_and_saveexec_b64 s[8:9], s[2:3]
	s_cbranch_execnz .LBB166_69
.LBB166_34:
	s_or_b64 exec, exec, s[8:9]
	s_and_saveexec_b64 s[8:9], s[4:5]
	s_cbranch_execz .LBB166_36
.LBB166_35:
	v_bfe_u32 v20, v19, 16, 1
	s_movk_i32 s6, 0x7fff
	v_add3_u32 v20, v19, v20, s6
	v_cmp_o_f32_e64 s[6:7], v19, v19
	v_add_u32_e32 v18, v18, v28
	v_mov_b32_e32 v19, 0
	v_lshrrev_b32_e32 v20, 16, v20
	v_mov_b32_e32 v21, 0x7fc0
	v_lshlrev_b64 v[18:19], 1, v[18:19]
	v_cndmask_b32_e64 v20, v21, v20, s[6:7]
	s_waitcnt lgkmcnt(0)
	v_mov_b32_e32 v21, s13
	v_add_co_u32_e64 v18, s[6:7], s12, v18
	v_addc_co_u32_e64 v19, s[6:7], v21, v19, s[6:7]
	global_store_short v[18:19], v20, off
.LBB166_36:
	s_or_b64 exec, exec, s[8:9]
	v_add3_u32 v18, v34, s15, 32
	v_cmp_gt_u32_e64 s[6:7], s10, v18
	s_and_b64 exec, exec, s[6:7]
	s_cbranch_execz .LBB166_60
; %bb.37:
	v_mul_lo_u32 v18, v18, s14
	s_and_saveexec_b64 s[8:9], vcc
	s_cbranch_execnz .LBB166_70
; %bb.38:
	s_or_b64 exec, exec, s[8:9]
	s_and_saveexec_b64 s[8:9], s[0:1]
	s_cbranch_execnz .LBB166_71
.LBB166_39:
	s_or_b64 exec, exec, s[8:9]
	s_and_saveexec_b64 s[8:9], s[2:3]
	s_cbranch_execnz .LBB166_72
.LBB166_40:
	s_or_b64 exec, exec, s[8:9]
	s_and_saveexec_b64 s[8:9], s[4:5]
	s_cbranch_execz .LBB166_42
.LBB166_41:
	v_bfe_u32 v12, v10, 16, 1
	s_movk_i32 s6, 0x7fff
	v_add3_u32 v12, v10, v12, s6
	v_add_u32_e32 v18, v18, v28
	v_mov_b32_e32 v19, 0
	v_lshrrev_b32_e32 v12, 16, v12
	v_mov_b32_e32 v14, 0x7fc0
	v_cmp_o_f32_e64 s[6:7], v10, v10
	v_lshlrev_b64 v[18:19], 1, v[18:19]
	v_cndmask_b32_e64 v10, v14, v12, s[6:7]
	s_waitcnt lgkmcnt(0)
	v_mov_b32_e32 v12, s13
	v_add_co_u32_e64 v18, s[6:7], s12, v18
	v_addc_co_u32_e64 v19, s[6:7], v12, v19, s[6:7]
	global_store_short v[18:19], v10, off
.LBB166_42:
	s_or_b64 exec, exec, s[8:9]
	v_add3_u32 v10, v34, s15, 40
	v_cmp_gt_u32_e64 s[6:7], s10, v10
	s_and_b64 exec, exec, s[6:7]
	s_cbranch_execz .LBB166_60
; %bb.43:
	v_mul_lo_u32 v10, v10, s14
	s_and_saveexec_b64 s[8:9], vcc
	s_cbranch_execnz .LBB166_73
; %bb.44:
	s_or_b64 exec, exec, s[8:9]
	s_and_saveexec_b64 s[8:9], s[0:1]
	s_cbranch_execnz .LBB166_74
.LBB166_45:
	s_or_b64 exec, exec, s[8:9]
	s_and_saveexec_b64 s[8:9], s[2:3]
	s_cbranch_execnz .LBB166_75
.LBB166_46:
	s_or_b64 exec, exec, s[8:9]
	s_and_saveexec_b64 s[8:9], s[4:5]
	s_cbranch_execz .LBB166_48
.LBB166_47:
	v_bfe_u32 v12, v11, 16, 1
	s_movk_i32 s6, 0x7fff
	v_add3_u32 v12, v11, v12, s6
	v_cmp_o_f32_e64 s[6:7], v11, v11
	v_add_u32_e32 v10, v10, v28
	v_mov_b32_e32 v11, 0
	v_lshrrev_b32_e32 v12, 16, v12
	v_mov_b32_e32 v13, 0x7fc0
	v_lshlrev_b64 v[10:11], 1, v[10:11]
	v_cndmask_b32_e64 v12, v13, v12, s[6:7]
	s_waitcnt lgkmcnt(0)
	v_mov_b32_e32 v13, s13
	v_add_co_u32_e64 v10, s[6:7], s12, v10
	v_addc_co_u32_e64 v11, s[6:7], v13, v11, s[6:7]
	global_store_short v[10:11], v12, off
.LBB166_48:
	s_or_b64 exec, exec, s[8:9]
	v_add3_u32 v10, v34, s15, 48
	v_cmp_gt_u32_e64 s[6:7], s10, v10
	s_and_b64 exec, exec, s[6:7]
	s_cbranch_execz .LBB166_60
; %bb.49:
	v_mul_lo_u32 v10, v10, s14
	s_and_saveexec_b64 s[8:9], vcc
	s_cbranch_execnz .LBB166_76
; %bb.50:
	s_or_b64 exec, exec, s[8:9]
	s_and_saveexec_b64 s[8:9], s[0:1]
	s_cbranch_execnz .LBB166_77
.LBB166_51:
	s_or_b64 exec, exec, s[8:9]
	s_and_saveexec_b64 s[8:9], s[2:3]
	s_cbranch_execnz .LBB166_78
.LBB166_52:
	s_or_b64 exec, exec, s[8:9]
	s_and_saveexec_b64 s[8:9], s[4:5]
	s_cbranch_execz .LBB166_54
.LBB166_53:
	v_bfe_u32 v4, v2, 16, 1
	s_movk_i32 s6, 0x7fff
	v_add3_u32 v4, v2, v4, s6
	v_add_u32_e32 v10, v10, v28
	v_mov_b32_e32 v11, 0
	v_lshrrev_b32_e32 v4, 16, v4
	v_mov_b32_e32 v6, 0x7fc0
	v_cmp_o_f32_e64 s[6:7], v2, v2
	v_lshlrev_b64 v[10:11], 1, v[10:11]
	v_cndmask_b32_e64 v2, v6, v4, s[6:7]
	s_waitcnt lgkmcnt(0)
	v_mov_b32_e32 v4, s13
	v_add_co_u32_e64 v10, s[6:7], s12, v10
	v_addc_co_u32_e64 v11, s[6:7], v4, v11, s[6:7]
	global_store_short v[10:11], v2, off
.LBB166_54:
	s_or_b64 exec, exec, s[8:9]
	v_add3_u32 v2, v34, s15, 56
	v_cmp_gt_u32_e64 s[6:7], s10, v2
	s_and_b64 exec, exec, s[6:7]
	s_cbranch_execz .LBB166_60
; %bb.55:
	v_mul_lo_u32 v2, v2, s14
	s_and_saveexec_b64 s[6:7], vcc
	s_cbranch_execnz .LBB166_79
; %bb.56:
	s_or_b64 exec, exec, s[6:7]
	s_and_saveexec_b64 s[6:7], s[0:1]
	s_cbranch_execnz .LBB166_80
.LBB166_57:
	s_or_b64 exec, exec, s[6:7]
	s_and_saveexec_b64 s[0:1], s[2:3]
	s_cbranch_execnz .LBB166_81
.LBB166_58:
	s_or_b64 exec, exec, s[0:1]
	s_and_b64 exec, exec, s[4:5]
	s_cbranch_execz .LBB166_60
.LBB166_59:
	v_bfe_u32 v0, v3, 16, 1
	s_movk_i32 s0, 0x7fff
	v_add3_u32 v0, v3, v0, s0
	v_lshrrev_b32_e32 v0, 16, v0
	v_mov_b32_e32 v1, 0x7fc0
	v_cmp_o_f32_e32 vcc, v3, v3
	v_cndmask_b32_e32 v3, v1, v0, vcc
	v_add_u32_e32 v0, v2, v28
	v_mov_b32_e32 v1, 0
	v_lshlrev_b64 v[0:1], 1, v[0:1]
	s_waitcnt lgkmcnt(0)
	v_mov_b32_e32 v2, s13
	v_add_co_u32_e32 v0, vcc, s12, v0
	v_addc_co_u32_e32 v1, vcc, v2, v1, vcc
	global_store_short v[0:1], v3, off
.LBB166_60:
	s_endpgm
.LBB166_61:
	v_bfe_u32 v32, v33, 16, 1
	s_movk_i32 s6, 0x7fff
	v_add3_u32 v32, v33, v32, s6
	v_lshrrev_b32_e32 v32, 16, v32
	v_mov_b32_e32 v35, 0x7fc0
	v_cmp_o_f32_e64 s[6:7], v33, v33
	v_cndmask_b32_e64 v35, v35, v32, s[6:7]
	v_add_u32_e32 v32, v26, v0
	v_mov_b32_e32 v33, 0
	v_lshlrev_b64 v[32:33], 1, v[32:33]
	s_waitcnt lgkmcnt(0)
	v_mov_b32_e32 v36, s13
	v_add_co_u32_e64 v32, s[6:7], s12, v32
	v_addc_co_u32_e64 v33, s[6:7], v36, v33, s[6:7]
	global_store_short v[32:33], v35, off
	s_or_b64 exec, exec, s[8:9]
	s_and_saveexec_b64 s[8:9], s[0:1]
	s_cbranch_execz .LBB166_21
.LBB166_62:
	v_bfe_u32 v32, v31, 16, 1
	s_movk_i32 s6, 0x7fff
	v_add3_u32 v32, v31, v32, s6
	v_lshrrev_b32_e32 v32, 16, v32
	v_mov_b32_e32 v33, 0x7fc0
	v_cmp_o_f32_e64 s[6:7], v31, v31
	v_cndmask_b32_e64 v31, v33, v32, s[6:7]
	v_add_u32_e32 v32, v26, v1
	v_mov_b32_e32 v33, 0
	v_lshlrev_b64 v[32:33], 1, v[32:33]
	s_waitcnt lgkmcnt(0)
	v_mov_b32_e32 v35, s13
	v_add_co_u32_e64 v32, s[6:7], s12, v32
	v_addc_co_u32_e64 v33, s[6:7], v35, v33, s[6:7]
	global_store_short v[32:33], v31, off
	s_or_b64 exec, exec, s[8:9]
	s_and_saveexec_b64 s[8:9], s[2:3]
	s_cbranch_execz .LBB166_22
.LBB166_63:
	v_bfe_u32 v31, v29, 16, 1
	s_movk_i32 s6, 0x7fff
	v_add3_u32 v31, v29, v31, s6
	v_lshrrev_b32_e32 v31, 16, v31
	v_mov_b32_e32 v32, 0x7fc0
	v_cmp_o_f32_e64 s[6:7], v29, v29
	v_cndmask_b32_e64 v29, v32, v31, s[6:7]
	v_add_u32_e32 v32, v26, v30
	v_mov_b32_e32 v33, 0
	v_lshlrev_b64 v[32:33], 1, v[32:33]
	s_waitcnt lgkmcnt(0)
	v_mov_b32_e32 v31, s13
	v_add_co_u32_e64 v32, s[6:7], s12, v32
	v_addc_co_u32_e64 v33, s[6:7], v31, v33, s[6:7]
	global_store_short v[32:33], v29, off
	s_or_b64 exec, exec, s[8:9]
	s_and_saveexec_b64 s[8:9], s[4:5]
	s_cbranch_execnz .LBB166_23
	s_branch .LBB166_24
.LBB166_64:
	v_bfe_u32 v27, v24, 16, 1
	s_movk_i32 s6, 0x7fff
	v_add3_u32 v27, v24, v27, s6
	v_add_u32_e32 v32, v26, v0
	v_mov_b32_e32 v33, 0
	v_lshrrev_b32_e32 v27, 16, v27
	v_mov_b32_e32 v29, 0x7fc0
	v_cmp_o_f32_e64 s[6:7], v24, v24
	v_lshlrev_b64 v[32:33], 1, v[32:33]
	v_cndmask_b32_e64 v24, v29, v27, s[6:7]
	s_waitcnt lgkmcnt(0)
	v_mov_b32_e32 v27, s13
	v_add_co_u32_e64 v32, s[6:7], s12, v32
	v_addc_co_u32_e64 v33, s[6:7], v27, v33, s[6:7]
	global_store_short v[32:33], v24, off
	s_or_b64 exec, exec, s[8:9]
	s_and_saveexec_b64 s[8:9], s[0:1]
	s_cbranch_execz .LBB166_27
.LBB166_65:
	v_bfe_u32 v24, v22, 16, 1
	s_movk_i32 s6, 0x7fff
	v_add3_u32 v24, v22, v24, s6
	v_add_u32_e32 v32, v26, v1
	v_mov_b32_e32 v33, 0
	v_lshrrev_b32_e32 v24, 16, v24
	v_mov_b32_e32 v27, 0x7fc0
	v_cmp_o_f32_e64 s[6:7], v22, v22
	v_lshlrev_b64 v[32:33], 1, v[32:33]
	v_cndmask_b32_e64 v22, v27, v24, s[6:7]
	s_waitcnt lgkmcnt(0)
	v_mov_b32_e32 v24, s13
	v_add_co_u32_e64 v32, s[6:7], s12, v32
	v_addc_co_u32_e64 v33, s[6:7], v24, v33, s[6:7]
	global_store_short v[32:33], v22, off
	s_or_b64 exec, exec, s[8:9]
	s_and_saveexec_b64 s[8:9], s[2:3]
	s_cbranch_execz .LBB166_28
.LBB166_66:
	v_bfe_u32 v22, v20, 16, 1
	s_movk_i32 s6, 0x7fff
	v_add3_u32 v22, v20, v22, s6
	v_add_u32_e32 v32, v26, v30
	v_mov_b32_e32 v33, 0
	v_lshrrev_b32_e32 v22, 16, v22
	v_mov_b32_e32 v24, 0x7fc0
	v_cmp_o_f32_e64 s[6:7], v20, v20
	v_lshlrev_b64 v[32:33], 1, v[32:33]
	v_cndmask_b32_e64 v20, v24, v22, s[6:7]
	s_waitcnt lgkmcnt(0)
	v_mov_b32_e32 v22, s13
	v_add_co_u32_e64 v32, s[6:7], s12, v32
	v_addc_co_u32_e64 v33, s[6:7], v22, v33, s[6:7]
	global_store_short v[32:33], v20, off
	s_or_b64 exec, exec, s[8:9]
	s_and_saveexec_b64 s[8:9], s[4:5]
	s_cbranch_execnz .LBB166_29
	s_branch .LBB166_30
.LBB166_67:
	v_bfe_u32 v20, v25, 16, 1
	s_movk_i32 s6, 0x7fff
	v_add3_u32 v20, v25, v20, s6
	v_cmp_o_f32_e64 s[6:7], v25, v25
	v_add_u32_e32 v24, v18, v0
	v_mov_b32_e32 v25, 0
	v_lshrrev_b32_e32 v20, 16, v20
	v_mov_b32_e32 v22, 0x7fc0
	v_lshlrev_b64 v[24:25], 1, v[24:25]
	v_cndmask_b32_e64 v20, v22, v20, s[6:7]
	s_waitcnt lgkmcnt(0)
	v_mov_b32_e32 v22, s13
	v_add_co_u32_e64 v24, s[6:7], s12, v24
	v_addc_co_u32_e64 v25, s[6:7], v22, v25, s[6:7]
	global_store_short v[24:25], v20, off
	s_or_b64 exec, exec, s[8:9]
	s_and_saveexec_b64 s[8:9], s[0:1]
	s_cbranch_execz .LBB166_33
.LBB166_68:
	v_bfe_u32 v20, v23, 16, 1
	s_movk_i32 s6, 0x7fff
	v_add3_u32 v20, v23, v20, s6
	v_lshrrev_b32_e32 v20, 16, v20
	v_mov_b32_e32 v22, 0x7fc0
	v_cmp_o_f32_e64 s[6:7], v23, v23
	v_cndmask_b32_e64 v20, v22, v20, s[6:7]
	v_add_u32_e32 v22, v18, v1
	v_mov_b32_e32 v23, 0
	v_lshlrev_b64 v[22:23], 1, v[22:23]
	s_waitcnt lgkmcnt(0)
	v_mov_b32_e32 v24, s13
	v_add_co_u32_e64 v22, s[6:7], s12, v22
	v_addc_co_u32_e64 v23, s[6:7], v24, v23, s[6:7]
	global_store_short v[22:23], v20, off
	s_or_b64 exec, exec, s[8:9]
	s_and_saveexec_b64 s[8:9], s[2:3]
	s_cbranch_execz .LBB166_34
.LBB166_69:
	v_bfe_u32 v20, v21, 16, 1
	s_movk_i32 s6, 0x7fff
	v_add3_u32 v20, v21, v20, s6
	v_lshrrev_b32_e32 v20, 16, v20
	v_mov_b32_e32 v22, 0x7fc0
	v_cmp_o_f32_e64 s[6:7], v21, v21
	v_cndmask_b32_e64 v22, v22, v20, s[6:7]
	v_add_u32_e32 v20, v18, v30
	v_mov_b32_e32 v21, 0
	v_lshlrev_b64 v[20:21], 1, v[20:21]
	s_waitcnt lgkmcnt(0)
	v_mov_b32_e32 v23, s13
	v_add_co_u32_e64 v20, s[6:7], s12, v20
	v_addc_co_u32_e64 v21, s[6:7], v23, v21, s[6:7]
	global_store_short v[20:21], v22, off
	s_or_b64 exec, exec, s[8:9]
	s_and_saveexec_b64 s[8:9], s[4:5]
	s_cbranch_execnz .LBB166_35
	s_branch .LBB166_36
.LBB166_70:
	v_bfe_u32 v19, v16, 16, 1
	s_movk_i32 s6, 0x7fff
	v_add3_u32 v19, v16, v19, s6
	v_lshrrev_b32_e32 v19, 16, v19
	v_mov_b32_e32 v20, 0x7fc0
	v_cmp_o_f32_e64 s[6:7], v16, v16
	v_cndmask_b32_e64 v16, v20, v19, s[6:7]
	v_add_u32_e32 v20, v18, v0
	v_mov_b32_e32 v21, 0
	v_lshlrev_b64 v[20:21], 1, v[20:21]
	s_waitcnt lgkmcnt(0)
	v_mov_b32_e32 v19, s13
	v_add_co_u32_e64 v20, s[6:7], s12, v20
	v_addc_co_u32_e64 v21, s[6:7], v19, v21, s[6:7]
	global_store_short v[20:21], v16, off
	s_or_b64 exec, exec, s[8:9]
	s_and_saveexec_b64 s[8:9], s[0:1]
	s_cbranch_execz .LBB166_39
.LBB166_71:
	v_bfe_u32 v16, v14, 16, 1
	s_movk_i32 s6, 0x7fff
	v_add3_u32 v16, v14, v16, s6
	v_add_u32_e32 v20, v18, v1
	v_mov_b32_e32 v21, 0
	v_lshrrev_b32_e32 v16, 16, v16
	v_mov_b32_e32 v19, 0x7fc0
	v_cmp_o_f32_e64 s[6:7], v14, v14
	v_lshlrev_b64 v[20:21], 1, v[20:21]
	v_cndmask_b32_e64 v14, v19, v16, s[6:7]
	s_waitcnt lgkmcnt(0)
	v_mov_b32_e32 v16, s13
	v_add_co_u32_e64 v20, s[6:7], s12, v20
	v_addc_co_u32_e64 v21, s[6:7], v16, v21, s[6:7]
	global_store_short v[20:21], v14, off
	s_or_b64 exec, exec, s[8:9]
	s_and_saveexec_b64 s[8:9], s[2:3]
	s_cbranch_execz .LBB166_40
.LBB166_72:
	v_bfe_u32 v14, v12, 16, 1
	s_movk_i32 s6, 0x7fff
	v_add3_u32 v14, v12, v14, s6
	v_add_u32_e32 v20, v18, v30
	v_mov_b32_e32 v21, 0
	v_lshrrev_b32_e32 v14, 16, v14
	v_mov_b32_e32 v16, 0x7fc0
	v_cmp_o_f32_e64 s[6:7], v12, v12
	v_lshlrev_b64 v[20:21], 1, v[20:21]
	v_cndmask_b32_e64 v12, v16, v14, s[6:7]
	s_waitcnt lgkmcnt(0)
	v_mov_b32_e32 v14, s13
	v_add_co_u32_e64 v20, s[6:7], s12, v20
	v_addc_co_u32_e64 v21, s[6:7], v14, v21, s[6:7]
	global_store_short v[20:21], v12, off
	s_or_b64 exec, exec, s[8:9]
	s_and_saveexec_b64 s[8:9], s[4:5]
	s_cbranch_execnz .LBB166_41
	s_branch .LBB166_42
.LBB166_73:
	v_bfe_u32 v12, v17, 16, 1
	s_movk_i32 s6, 0x7fff
	v_add3_u32 v12, v17, v12, s6
	v_cmp_o_f32_e64 s[6:7], v17, v17
	v_add_u32_e32 v16, v10, v0
	v_mov_b32_e32 v17, 0
	v_lshrrev_b32_e32 v12, 16, v12
	v_mov_b32_e32 v14, 0x7fc0
	v_lshlrev_b64 v[16:17], 1, v[16:17]
	v_cndmask_b32_e64 v12, v14, v12, s[6:7]
	s_waitcnt lgkmcnt(0)
	v_mov_b32_e32 v14, s13
	v_add_co_u32_e64 v16, s[6:7], s12, v16
	v_addc_co_u32_e64 v17, s[6:7], v14, v17, s[6:7]
	global_store_short v[16:17], v12, off
	s_or_b64 exec, exec, s[8:9]
	s_and_saveexec_b64 s[8:9], s[0:1]
	s_cbranch_execz .LBB166_45
.LBB166_74:
	v_bfe_u32 v12, v15, 16, 1
	s_movk_i32 s6, 0x7fff
	v_add3_u32 v12, v15, v12, s6
	v_lshrrev_b32_e32 v12, 16, v12
	v_mov_b32_e32 v14, 0x7fc0
	v_cmp_o_f32_e64 s[6:7], v15, v15
	v_cndmask_b32_e64 v12, v14, v12, s[6:7]
	v_add_u32_e32 v14, v10, v1
	v_mov_b32_e32 v15, 0
	v_lshlrev_b64 v[14:15], 1, v[14:15]
	s_waitcnt lgkmcnt(0)
	v_mov_b32_e32 v16, s13
	v_add_co_u32_e64 v14, s[6:7], s12, v14
	v_addc_co_u32_e64 v15, s[6:7], v16, v15, s[6:7]
	global_store_short v[14:15], v12, off
	s_or_b64 exec, exec, s[8:9]
	s_and_saveexec_b64 s[8:9], s[2:3]
	s_cbranch_execz .LBB166_46
.LBB166_75:
	v_bfe_u32 v12, v13, 16, 1
	s_movk_i32 s6, 0x7fff
	v_add3_u32 v12, v13, v12, s6
	v_lshrrev_b32_e32 v12, 16, v12
	v_mov_b32_e32 v14, 0x7fc0
	v_cmp_o_f32_e64 s[6:7], v13, v13
	v_cndmask_b32_e64 v14, v14, v12, s[6:7]
	v_add_u32_e32 v12, v10, v30
	v_mov_b32_e32 v13, 0
	v_lshlrev_b64 v[12:13], 1, v[12:13]
	s_waitcnt lgkmcnt(0)
	v_mov_b32_e32 v15, s13
	v_add_co_u32_e64 v12, s[6:7], s12, v12
	v_addc_co_u32_e64 v13, s[6:7], v15, v13, s[6:7]
	global_store_short v[12:13], v14, off
	s_or_b64 exec, exec, s[8:9]
	s_and_saveexec_b64 s[8:9], s[4:5]
	s_cbranch_execnz .LBB166_47
	s_branch .LBB166_48
.LBB166_76:
	v_bfe_u32 v11, v8, 16, 1
	s_movk_i32 s6, 0x7fff
	v_add3_u32 v11, v8, v11, s6
	v_lshrrev_b32_e32 v11, 16, v11
	v_mov_b32_e32 v12, 0x7fc0
	v_cmp_o_f32_e64 s[6:7], v8, v8
	v_cndmask_b32_e64 v8, v12, v11, s[6:7]
	v_add_u32_e32 v12, v10, v0
	v_mov_b32_e32 v13, 0
	v_lshlrev_b64 v[12:13], 1, v[12:13]
	s_waitcnt lgkmcnt(0)
	v_mov_b32_e32 v11, s13
	v_add_co_u32_e64 v12, s[6:7], s12, v12
	v_addc_co_u32_e64 v13, s[6:7], v11, v13, s[6:7]
	global_store_short v[12:13], v8, off
	s_or_b64 exec, exec, s[8:9]
	s_and_saveexec_b64 s[8:9], s[0:1]
	s_cbranch_execz .LBB166_51
.LBB166_77:
	v_bfe_u32 v8, v6, 16, 1
	s_movk_i32 s6, 0x7fff
	v_add3_u32 v8, v6, v8, s6
	v_add_u32_e32 v12, v10, v1
	v_mov_b32_e32 v13, 0
	v_lshrrev_b32_e32 v8, 16, v8
	v_mov_b32_e32 v11, 0x7fc0
	v_cmp_o_f32_e64 s[6:7], v6, v6
	v_lshlrev_b64 v[12:13], 1, v[12:13]
	v_cndmask_b32_e64 v6, v11, v8, s[6:7]
	s_waitcnt lgkmcnt(0)
	v_mov_b32_e32 v8, s13
	v_add_co_u32_e64 v12, s[6:7], s12, v12
	v_addc_co_u32_e64 v13, s[6:7], v8, v13, s[6:7]
	global_store_short v[12:13], v6, off
	s_or_b64 exec, exec, s[8:9]
	s_and_saveexec_b64 s[8:9], s[2:3]
	s_cbranch_execz .LBB166_52
.LBB166_78:
	v_bfe_u32 v6, v4, 16, 1
	s_movk_i32 s6, 0x7fff
	v_add3_u32 v6, v4, v6, s6
	v_add_u32_e32 v12, v10, v30
	v_mov_b32_e32 v13, 0
	v_lshrrev_b32_e32 v6, 16, v6
	v_mov_b32_e32 v8, 0x7fc0
	v_cmp_o_f32_e64 s[6:7], v4, v4
	v_lshlrev_b64 v[12:13], 1, v[12:13]
	v_cndmask_b32_e64 v4, v8, v6, s[6:7]
	s_waitcnt lgkmcnt(0)
	v_mov_b32_e32 v6, s13
	v_add_co_u32_e64 v12, s[6:7], s12, v12
	v_addc_co_u32_e64 v13, s[6:7], v6, v13, s[6:7]
	global_store_short v[12:13], v4, off
	s_or_b64 exec, exec, s[8:9]
	s_and_saveexec_b64 s[8:9], s[4:5]
	s_cbranch_execnz .LBB166_53
	s_branch .LBB166_54
.LBB166_79:
	v_bfe_u32 v4, v9, 16, 1
	s_movk_i32 s8, 0x7fff
	v_add3_u32 v4, v9, v4, s8
	v_cmp_o_f32_e32 vcc, v9, v9
	v_add_u32_e32 v8, v2, v0
	v_mov_b32_e32 v9, 0
	v_lshrrev_b32_e32 v4, 16, v4
	v_mov_b32_e32 v6, 0x7fc0
	v_lshlrev_b64 v[8:9], 1, v[8:9]
	v_cndmask_b32_e32 v4, v6, v4, vcc
	s_waitcnt lgkmcnt(0)
	v_mov_b32_e32 v0, s13
	v_add_co_u32_e32 v8, vcc, s12, v8
	v_addc_co_u32_e32 v9, vcc, v0, v9, vcc
	global_store_short v[8:9], v4, off
	s_or_b64 exec, exec, s[6:7]
	s_and_saveexec_b64 s[6:7], s[0:1]
	s_cbranch_execz .LBB166_57
.LBB166_80:
	v_bfe_u32 v0, v7, 16, 1
	s_movk_i32 s0, 0x7fff
	v_add3_u32 v0, v7, v0, s0
	v_lshrrev_b32_e32 v0, 16, v0
	v_mov_b32_e32 v4, 0x7fc0
	v_cmp_o_f32_e32 vcc, v7, v7
	v_cndmask_b32_e32 v4, v4, v0, vcc
	v_add_u32_e32 v0, v2, v1
	v_mov_b32_e32 v1, 0
	v_lshlrev_b64 v[0:1], 1, v[0:1]
	s_waitcnt lgkmcnt(0)
	v_mov_b32_e32 v6, s13
	v_add_co_u32_e32 v0, vcc, s12, v0
	v_addc_co_u32_e32 v1, vcc, v6, v1, vcc
	global_store_short v[0:1], v4, off
	s_or_b64 exec, exec, s[6:7]
	s_and_saveexec_b64 s[0:1], s[2:3]
	s_cbranch_execz .LBB166_58
.LBB166_81:
	v_bfe_u32 v0, v5, 16, 1
	s_movk_i32 s2, 0x7fff
	v_add3_u32 v0, v5, v0, s2
	v_lshrrev_b32_e32 v0, 16, v0
	v_mov_b32_e32 v1, 0x7fc0
	v_cmp_o_f32_e32 vcc, v5, v5
	v_cndmask_b32_e32 v4, v1, v0, vcc
	v_add_u32_e32 v0, v2, v30
	v_mov_b32_e32 v1, 0
	v_lshlrev_b64 v[0:1], 1, v[0:1]
	s_waitcnt lgkmcnt(0)
	v_mov_b32_e32 v5, s13
	v_add_co_u32_e32 v0, vcc, s12, v0
	v_addc_co_u32_e32 v1, vcc, v5, v1, vcc
	global_store_short v[0:1], v4, off
	s_or_b64 exec, exec, s[0:1]
	s_and_b64 exec, exec, s[4:5]
	s_cbranch_execnz .LBB166_59
	s_branch .LBB166_60
	.section	.rodata,"a",@progbits
	.p2align	6, 0x0
	.amdhsa_kernel _ZL12mul_mat_q8_0IN3c108BFloat16ELb1EEvPKvS3_PT_iiiii
		.amdhsa_group_segment_fixed_size 28224
		.amdhsa_private_segment_fixed_size 0
		.amdhsa_kernarg_size 44
		.amdhsa_user_sgpr_count 6
		.amdhsa_user_sgpr_private_segment_buffer 1
		.amdhsa_user_sgpr_dispatch_ptr 0
		.amdhsa_user_sgpr_queue_ptr 0
		.amdhsa_user_sgpr_kernarg_segment_ptr 1
		.amdhsa_user_sgpr_dispatch_id 0
		.amdhsa_user_sgpr_flat_scratch_init 0
		.amdhsa_user_sgpr_kernarg_preload_length 0
		.amdhsa_user_sgpr_kernarg_preload_offset 0
		.amdhsa_user_sgpr_private_segment_size 0
		.amdhsa_uses_dynamic_stack 0
		.amdhsa_system_sgpr_private_segment_wavefront_offset 0
		.amdhsa_system_sgpr_workgroup_id_x 1
		.amdhsa_system_sgpr_workgroup_id_y 1
		.amdhsa_system_sgpr_workgroup_id_z 0
		.amdhsa_system_sgpr_workgroup_info 0
		.amdhsa_system_vgpr_workitem_id 1
		.amdhsa_next_free_vgpr 164
		.amdhsa_next_free_sgpr 18
		.amdhsa_accum_offset 164
		.amdhsa_reserve_vcc 1
		.amdhsa_reserve_flat_scratch 0
		.amdhsa_float_round_mode_32 0
		.amdhsa_float_round_mode_16_64 0
		.amdhsa_float_denorm_mode_32 3
		.amdhsa_float_denorm_mode_16_64 3
		.amdhsa_dx10_clamp 1
		.amdhsa_ieee_mode 1
		.amdhsa_fp16_overflow 0
		.amdhsa_tg_split 0
		.amdhsa_exception_fp_ieee_invalid_op 0
		.amdhsa_exception_fp_denorm_src 0
		.amdhsa_exception_fp_ieee_div_zero 0
		.amdhsa_exception_fp_ieee_overflow 0
		.amdhsa_exception_fp_ieee_underflow 0
		.amdhsa_exception_fp_ieee_inexact 0
		.amdhsa_exception_int_div_zero 0
	.end_amdhsa_kernel
	.section	.text._ZL12mul_mat_q8_0IN3c108BFloat16ELb1EEvPKvS3_PT_iiiii,"axG",@progbits,_ZL12mul_mat_q8_0IN3c108BFloat16ELb1EEvPKvS3_PT_iiiii,comdat
.Lfunc_end166:
	.size	_ZL12mul_mat_q8_0IN3c108BFloat16ELb1EEvPKvS3_PT_iiiii, .Lfunc_end166-_ZL12mul_mat_q8_0IN3c108BFloat16ELb1EEvPKvS3_PT_iiiii
                                        ; -- End function
	.section	.AMDGPU.csdata,"",@progbits
; Kernel info:
; codeLenInByte = 8508
; NumSgprs: 22
; NumVgprs: 164
; NumAgprs: 0
; TotalNumVgprs: 164
; ScratchSize: 0
; MemoryBound: 0
; FloatMode: 240
; IeeeMode: 1
; LDSByteSize: 28224 bytes/workgroup (compile time only)
; SGPRBlocks: 2
; VGPRBlocks: 20
; NumSGPRsForWavesPerEU: 22
; NumVGPRsForWavesPerEU: 164
; AccumOffset: 164
; Occupancy: 2
; WaveLimiterHint : 0
; COMPUTE_PGM_RSRC2:SCRATCH_EN: 0
; COMPUTE_PGM_RSRC2:USER_SGPR: 6
; COMPUTE_PGM_RSRC2:TRAP_HANDLER: 0
; COMPUTE_PGM_RSRC2:TGID_X_EN: 1
; COMPUTE_PGM_RSRC2:TGID_Y_EN: 1
; COMPUTE_PGM_RSRC2:TGID_Z_EN: 0
; COMPUTE_PGM_RSRC2:TIDIG_COMP_CNT: 1
; COMPUTE_PGM_RSRC3_GFX90A:ACCUM_OFFSET: 40
; COMPUTE_PGM_RSRC3_GFX90A:TG_SPLIT: 0
	.section	.text._ZL12mul_mat_q2_KIN3c108BFloat16ELb0EEvPKvS3_PT_iiiii,"axG",@progbits,_ZL12mul_mat_q2_KIN3c108BFloat16ELb0EEvPKvS3_PT_iiiii,comdat
	.globl	_ZL12mul_mat_q2_KIN3c108BFloat16ELb0EEvPKvS3_PT_iiiii ; -- Begin function _ZL12mul_mat_q2_KIN3c108BFloat16ELb0EEvPKvS3_PT_iiiii
	.p2align	8
	.type	_ZL12mul_mat_q2_KIN3c108BFloat16ELb0EEvPKvS3_PT_iiiii,@function
_ZL12mul_mat_q2_KIN3c108BFloat16ELb0EEvPKvS3_PT_iiiii: ; @_ZL12mul_mat_q2_KIN3c108BFloat16ELb0EEvPKvS3_PT_iiiii
; %bb.0:
	s_load_dword s14, s[4:5], 0x18
	s_load_dwordx4 s[8:11], s[4:5], 0x20
	s_waitcnt lgkmcnt(0)
	s_lshl_b32 s11, s7, 6
	v_bfe_u32 v45, v0, 10, 10
	s_cmpk_gt_i32 s14, 0xff
	s_cbranch_scc1 .LBB167_2
; %bb.1:
	v_bfe_u32 v1, v0, 10, 10
	s_mov_b32 s0, 0
	v_and_b32_e32 v43, 0x3ff, v0
	v_add_u32_e32 v47, s11, v1
	s_mov_b32 s1, s0
	s_mov_b64 s[2:3], 0
	s_branch .LBB167_3
.LBB167_2:
	s_mov_b64 s[2:3], -1
                                        ; implicit-def: $sgpr0_sgpr1
                                        ; implicit-def: $vgpr1
                                        ; implicit-def: $vgpr43
                                        ; implicit-def: $vgpr47
.LBB167_3:
	s_load_dwordx2 s[12:13], s[4:5], 0x10
	s_lshl_b32 s6, s6, 7
	s_andn2_b64 vcc, exec, s[2:3]
	v_pk_mov_b32 v[16:17], s[0:1], s[0:1] op_sel:[0,1]
	v_pk_mov_b32 v[24:25], s[0:1], s[0:1] op_sel:[0,1]
	;; [unrolled: 1-line block ×16, first 2 shown]
	s_cbranch_vccnz .LBB167_17
; %bb.4:
	s_load_dwordx4 s[0:3], s[4:5], 0x0
	s_ashr_i32 s4, s14, 31
	s_lshr_b32 s4, s4, 24
	s_add_i32 s14, s14, s4
	s_ashr_i32 s5, s9, 31
	s_ashr_i32 s4, s14, 8
	s_lshr_b32 s5, s5, 27
	s_add_i32 s5, s9, s5
	s_mul_i32 s7, s4, s6
	s_ashr_i32 s16, s5, 5
	s_mul_hi_i32 s9, s7, 0x54
	s_mulk_i32 s7, 0x54
	s_waitcnt lgkmcnt(0)
	s_add_u32 s7, s0, s7
	s_addc_u32 s9, s1, s9
	s_lshl_b32 s14, s4, 3
	v_and_b32_e32 v43, 0x3ff, v0
	v_mov_b32_e32 v0, s14
	v_mad_i32_i24 v48, s4, v45, v0
	v_add_u32_e32 v52, s14, v48
	v_add_u32_e32 v54, s14, v52
	;; [unrolled: 1-line block ×9, first 2 shown]
	v_lshlrev_b32_e32 v87, 4, v45
	v_lshrrev_b32_e32 v0, 1, v43
	v_add_u32_e32 v74, s14, v70
	v_and_b32_e32 v84, 1, v43
	v_add_u32_e32 v0, v0, v87
	v_add_u32_e32 v76, s14, v74
	v_and_b32_e32 v1, 0x7f, v0
	v_lshlrev_b32_e32 v3, 2, v84
	v_lshrrev_b32_e32 v0, 2, v0
	v_add_u32_e32 v78, s14, v76
	v_mul_i32_i24_e32 v86, s4, v1
	v_lshl_or_b32 v1, v1, 3, v3
	v_and_b32_e32 v0, 28, v0
	s_movk_i32 s17, 0x7280
	v_lshrrev_b32_e32 v91, 3, v43
	v_add_u32_e32 v80, s14, v78
	v_add3_u32 v89, v1, v0, s17
	v_lshl_add_u32 v0, v45, 2, v91
	v_and_b32_e32 v1, 7, v43
	v_add_u32_e32 v82, s14, v80
	v_cmp_lt_u32_e32 vcc, 3, v1
	v_and_b32_e32 v3, 0x7fc, v0
	v_lshlrev_b32_e32 v1, 2, v1
	s_movk_i32 s14, 0x6200
	s_lshl_b32 s15, s4, 5
	v_lshlrev_b32_e32 v2, 2, v43
	s_movk_i32 s1, 0x84
	v_add3_u32 v4, v3, v1, s14
	v_add_u32_e32 v3, 32, v0
	v_mov_b32_e32 v6, s15
	v_and_b32_e32 v44, 60, v2
	v_mad_u32_u24 v49, v45, s1, v2
	v_and_b32_e32 v90, 12, v2
	v_mul_i32_i24_e32 v92, s4, v0
	v_lshlrev_b32_e32 v5, 5, v0
	v_mad_i32_i24 v94, s4, v0, v6
	v_and_b32_e32 v6, 0xffc, v3
	v_lshlrev_b32_e32 v7, 5, v3
	v_add_u32_e32 v3, 64, v0
	v_add_u32_e32 v0, 0x60, v0
	v_and_b32_e32 v2, 28, v2
	v_cndmask_b32_e64 v88, 0, 1, vcc
	v_and_b32_e32 v8, 0xffc, v3
	v_lshlrev_b32_e32 v9, 5, v3
	v_and_b32_e32 v3, 0xffc, v0
	v_add_co_u32_e32 v100, vcc, s2, v2
	v_lshrrev_b32_e32 v2, 2, v43
	v_add3_u32 v10, v3, v1, s14
	v_mov_b32_e32 v3, s3
	v_lshl_add_u32 v2, v45, 3, v2
	v_addc_co_u32_e32 v101, vcc, 0, v3, vcc
	v_and_b32_e32 v3, 63, v2
	v_add3_u32 v6, v6, v1, s14
	v_add3_u32 v8, v8, v1, s14
	s_add_i32 s14, s8, -1
	v_or_b32_e32 v13, s11, v3
	v_add_u32_e32 v96, s15, v94
	v_and_b32_e32 v2, 3, v43
	v_min_i32_e32 v13, s14, v13
	v_add_u32_e32 v98, s15, v96
	v_lshlrev_b32_e32 v11, 5, v0
	v_cvt_f64_i32_e32 v[0:1], s14
	v_mad_u64_u32 v[102:103], s[14:15], v13, s16, v[2:3]
	v_lshlrev_b32_e32 v2, 2, v2
	v_add_u32_e32 v47, s11, v45
	v_lshl_or_b32 v2, v3, 4, v2
	v_add_u32_e32 v93, 0x76a0, v2
	v_cvt_f64_u32_e32 v[2:3], v47
	v_min_f64 v[2:3], v[2:3], v[0:1]
	v_cvt_i32_f64_e32 v2, v[2:3]
	v_mul_lo_u32 v95, s16, v2
	v_add_u32_e32 v2, 8, v47
	v_cvt_f64_u32_e32 v[2:3], v2
	v_min_f64 v[2:3], v[2:3], v[0:1]
	v_cvt_i32_f64_e32 v2, v[2:3]
	v_mul_lo_u32 v103, s16, v2
	;; [unrolled: 5-line block ×7, first 2 shown]
	v_add_u32_e32 v2, 56, v47
	v_cvt_f64_u32_e32 v[2:3], v2
	v_min_f64 v[0:1], v[2:3], v[0:1]
	v_lshrrev_b32_e32 v42, 4, v43
	v_cvt_i32_f64_e32 v0, v[0:1]
	v_mul_lo_u32 v131, s16, v0
	v_lshlrev_b32_e32 v0, 3, v43
	v_lshlrev_b32_e32 v15, 2, v42
	v_add_u32_e32 v1, 32, v43
	v_add3_u32 v134, v15, v0, s17
	v_mov_b32_e32 v0, 0x1080
	v_mad_u32_u24 v135, v43, s1, v0
	v_lshrrev_b32_e32 v0, 2, v1
	v_lshlrev_b32_e32 v2, 3, v1
	v_and_b32_e32 v0, 0x7c, v0
	v_and_b32_e32 v12, 31, v43
	v_lshlrev_b32_e32 v97, 7, v45
	v_add_u32_e32 v3, 64, v43
	v_add3_u32 v136, v2, v0, s17
	v_mov_b32_e32 v0, 0x2100
	v_lshl_or_b32 v12, v12, 2, v97
	v_mad_u32_u24 v137, v43, s1, v0
	v_lshrrev_b32_e32 v0, 2, v3
	v_add_u32_e32 v99, 0x4200, v12
	v_add_u32_e32 v105, 0x4600, v12
	;; [unrolled: 1-line block ×8, first 2 shown]
	v_lshlrev_b32_e32 v12, 3, v3
	v_and_b32_e32 v0, 0x7c, v0
	s_mov_b32 s0, 0
	v_add_u32_e32 v13, 0x60, v43
	v_add3_u32 v138, v12, v0, s17
	v_mov_b32_e32 v0, 0x3180
	v_mad_u32_u24 v139, v43, s1, v0
	v_lshrrev_b32_e32 v0, 2, v13
	s_mov_b32 s1, s0
	v_lshlrev_b32_e32 v14, 3, v13
	v_and_b32_e32 v0, 0x7c, v0
	v_and_b32_e32 v144, 0x1fc, v13
	v_lshlrev_b32_e32 v146, 5, v43
	v_and_b32_e32 v147, 0x1fc, v3
	v_and_b32_e32 v149, 0x1fc, v1
	;; [unrolled: 1-line block ×3, first 2 shown]
	v_pk_mov_b32 v[62:63], s[0:1], s[0:1] op_sel:[0,1]
	s_movk_i32 s5, 0x54
	v_mul_i32_i24_e32 v46, s4, v45
	v_add_u32_e32 v53, 0x420, v49
	v_add_u32_e32 v55, 0x840, v49
	;; [unrolled: 1-line block ×15, first 2 shown]
	v_mul_u32_u24_e32 v133, 0x84, v43
	v_add3_u32 v140, v14, v0, s17
	v_lshrrev_b32_e32 v141, 3, v1
	v_lshrrev_b32_e32 v142, 3, v3
	;; [unrolled: 1-line block ×3, first 2 shown]
	v_or_b32_e32 v145, 0x4200, v144
	v_or_b32_e32 v148, 0x4200, v147
	;; [unrolled: 1-line block ×4, first 2 shown]
	v_add_u32_e32 v153, 0x6e08, v144
	v_add_u32_e32 v154, 0x6a08, v147
	;; [unrolled: 1-line block ×14, first 2 shown]
	s_mov_b32 s1, 0x1010101
	v_mov_b32_e32 v167, 4
	v_mov_b32_e32 v168, 15
	v_pk_mov_b32 v[38:39], v[62:63], v[62:63] op_sel:[0,1]
	v_pk_mov_b32 v[30:31], v[62:63], v[62:63] op_sel:[0,1]
	;; [unrolled: 1-line block ×15, first 2 shown]
	s_branch .LBB167_6
.LBB167_5:                              ;   in Loop: Header=BB167_6 Depth=1
	s_add_i32 s0, s0, 2
	s_cmp_ge_i32 s0, s4
	s_cbranch_scc1 .LBB167_16
.LBB167_6:                              ; =>This Loop Header: Depth=1
                                        ;     Child Loop BB167_7 Depth 2
                                        ;     Child Loop BB167_9 Depth 2
	;; [unrolled: 1-line block ×4, first 2 shown]
	s_mul_i32 s14, s0, 0x54
	s_mul_hi_u32 s15, s0, 0x54
	s_add_u32 s14, s7, s14
	s_addc_u32 s15, s9, s15
	v_pk_mov_b32 v[0:1], s[14:15], s[14:15] op_sel:[0,1]
	v_mad_u64_u32 v[2:3], s[14:15], v42, s5, v[0:1]
	v_add_co_u32_e32 v2, vcc, v2, v44
	v_addc_co_u32_e32 v3, vcc, 0, v3, vcc
	v_add_co_u32_e32 v2, vcc, 16, v2
	v_addc_co_u32_e32 v3, vcc, 0, v3, vcc
	v_mad_u64_u32 v[4:5], s[14:15], v46, s5, v[2:3]
	v_mad_u64_u32 v[6:7], s[14:15], v48, s5, v[2:3]
	;; [unrolled: 1-line block ×8, first 2 shown]
	global_load_dword v104, v[4:5], off
	global_load_dword v106, v[6:7], off
	;; [unrolled: 1-line block ×8, first 2 shown]
	v_mad_u64_u32 v[4:5], s[14:15], v66, s5, v[2:3]
	v_mad_u64_u32 v[6:7], s[14:15], v68, s5, v[2:3]
	;; [unrolled: 1-line block ×8, first 2 shown]
	global_load_dword v120, v[4:5], off
	global_load_dword v121, v[6:7], off
	;; [unrolled: 1-line block ×8, first 2 shown]
	v_mad_u64_u32 v[2:3], s[14:15], v86, s5, v[0:1]
	v_mad_u64_u32 v[0:1], s[14:15], v88, s5, v[0:1]
	v_add_co_u32_e32 v0, vcc, v0, v90
	v_addc_co_u32_e32 v1, vcc, 0, v1, vcc
	v_mad_u64_u32 v[2:3], s[14:15], v84, s5, v[2:3]
	v_mad_u64_u32 v[4:5], s[14:15], v92, s5, v[0:1]
	;; [unrolled: 1-line block ×5, first 2 shown]
	s_lshl_b32 s14, s0, 3
	v_add_u32_e32 v112, s14, v91
	global_load_dword v173, v[2:3], off offset:80
	global_load_dword v174, v[4:5], off
	global_load_dword v175, v[6:7], off
	s_nop 0
	global_load_dword v8, v[8:9], off
	s_nop 0
	global_load_dword v176, v[0:1], off
	v_add_u32_e32 v0, v112, v95
	v_add_u32_e32 v2, v112, v103
	;; [unrolled: 1-line block ×6, first 2 shown]
	v_mad_i64_i32 v[0:1], s[16:17], v0, 36, v[100:101]
	v_mad_i64_i32 v[2:3], s[16:17], v2, 36, v[100:101]
	;; [unrolled: 1-line block ×5, first 2 shown]
	v_add_u32_e32 v12, v112, v127
	v_add_u32_e32 v14, v112, v129
	;; [unrolled: 1-line block ×3, first 2 shown]
	v_mad_i64_i32 v[12:13], s[16:17], v12, 36, v[100:101]
	v_mad_i64_i32 v[14:15], s[16:17], v14, 36, v[100:101]
	;; [unrolled: 1-line block ×3, first 2 shown]
	v_mad_u64_u32 v[114:115], s[16:17], v9, 36, s[2:3]
	global_load_dword v0, v[0:1], off offset:4
	s_nop 0
	global_load_dword v1, v[2:3], off offset:4
	s_nop 0
	global_load_dword v2, v[4:5], off offset:4
	global_load_dword v3, v[6:7], off offset:4
	s_nop 0
	global_load_dword v4, v[10:11], off offset:4
	global_load_dword v5, v[114:115], off
	global_load_dword v6, v[12:13], off offset:4
	global_load_dword v7, v[14:15], off offset:4
	s_nop 0
	global_load_dword v10, v[112:113], off offset:4
	s_waitcnt vmcnt(29)
	ds_write_b32 v49, v104
	s_waitcnt vmcnt(28)
	ds_write_b32 v53, v106
	s_waitcnt vmcnt(27)
	ds_write_b32 v55, v108
	s_waitcnt vmcnt(26)
	ds_write_b32 v57, v110
	s_waitcnt vmcnt(25)
	ds_write_b32 v59, v116
	s_waitcnt vmcnt(24)
	ds_write_b32 v61, v117
	s_waitcnt vmcnt(23)
	ds_write_b32 v65, v118
	s_waitcnt vmcnt(22)
	ds_write_b32 v67, v119
	s_waitcnt vmcnt(21)
	ds_write_b32 v69, v120
	s_waitcnt vmcnt(20)
	ds_write_b32 v71, v121
	s_waitcnt vmcnt(19)
	ds_write_b32 v75, v122
	s_waitcnt vmcnt(18)
	ds_write_b32 v77, v123
	s_waitcnt vmcnt(17)
	ds_write_b32 v79, v169
	s_waitcnt vmcnt(16)
	ds_write_b32 v81, v170
	s_waitcnt vmcnt(15)
	ds_write_b32 v83, v171
	s_waitcnt vmcnt(14)
	ds_write_b32 v85, v172
	s_waitcnt vmcnt(13)
	ds_write_b32 v89, v173
	s_waitcnt vmcnt(12)
	ds_write_b32 v163, v174
	s_waitcnt vmcnt(11)
	ds_write_b32 v164, v175
	s_waitcnt vmcnt(10)
	ds_write_b32 v165, v8
	s_waitcnt vmcnt(9)
	ds_write_b32 v166, v176
	s_waitcnt vmcnt(8)
	ds_write_b32 v99, v0
	s_waitcnt vmcnt(7)
	ds_write_b32 v105, v1
	s_waitcnt vmcnt(6)
	ds_write_b32 v109, v2
	s_waitcnt vmcnt(5)
	ds_write_b32 v124, v3
	s_waitcnt vmcnt(4)
	ds_write_b32 v126, v4
	s_waitcnt vmcnt(3)
	v_cvt_f32_f16_e32 v0, v5
	s_mov_b32 s17, -2
	v_mov_b32_e32 v11, v97
	v_mov_b32_e32 v13, v87
	s_mov_b32 s15, 0
	s_waitcnt vmcnt(2)
	ds_write_b32 v128, v6
	s_waitcnt vmcnt(1)
	ds_write_b32 v130, v7
	;; [unrolled: 2-line block ×3, first 2 shown]
	ds_write_b32 v93, v0
	s_waitcnt lgkmcnt(0)
	s_barrier
.LBB167_7:                              ;   Parent Loop BB167_6 Depth=1
                                        ; =>  This Inner Loop Header: Depth=2
	s_and_b32 s16, s15, -16
	v_add_u32_e32 v104, s16, v146
	s_add_i32 s16, s17, 2
	s_and_b32 s18, s16, 0x3ffffff8
	s_lshl_b32 s18, s18, 2
	v_add_u32_e32 v0, 0x7400, v13
	v_add_u32_e32 v8, s18, v133
	ds_read2_b32 v[112:113], v0 offset0:168 offset1:200
	ds_read_b128 v[4:7], v11 offset:16896
	ds_read_b128 v[0:3], v11 offset:16912
	ds_read2_b32 v[14:15], v8 offset1:1
	ds_read2_b32 v[114:115], v8 offset0:4 offset1:5
	s_lshr_b32 s19, s16, 2
	s_and_b32 s19, s19, 0x3ffffffc
	v_mov_b32_e32 v116, 0
	s_waitcnt lgkmcnt(1)
	v_ashrrev_i32_e32 v10, s16, v14
	v_and_b32_e32 v173, 0x3030303, v10
	v_ashrrev_i32_e32 v10, s16, v15
	ds_read2_b32 v[14:15], v8 offset0:2 offset1:3
	v_and_b32_e32 v170, 0x3030303, v10
	v_mov_b32_e32 v216, 0
	v_mov_b32_e32 v217, 0
	;; [unrolled: 1-line block ×3, first 2 shown]
	s_waitcnt lgkmcnt(0)
	v_ashrrev_i32_e32 v10, s16, v14
	v_and_b32_e32 v171, 0x3030303, v10
	v_ashrrev_i32_e32 v10, s16, v15
	v_and_b32_e32 v172, 0x3030303, v10
	;; [unrolled: 2-line block ×3, first 2 shown]
	v_ashrrev_i32_e32 v10, s16, v115
	ds_read2_b32 v[114:115], v8 offset0:6 offset1:7
	v_and_b32_e32 v122, 0x3030303, v10
	v_add_u32_e32 v10, s19, v134
	v_mov_b32_e32 v218, 0
	v_mov_b32_e32 v219, 0
	s_waitcnt lgkmcnt(0)
	v_ashrrev_i32_e32 v8, s16, v114
	v_and_b32_e32 v123, 0x3030303, v8
	v_ashrrev_i32_e32 v8, s16, v115
	v_and_b32_e32 v169, 0x3030303, v8
	v_add3_u32 v8, v152, s17, v104
	ds_read_b32 v10, v10
	ds_read_u16 v12, v8 offset:8194
	s_add_i32 s15, s15, 2
	s_cmp_lt_u32 s16, 6
	s_waitcnt lgkmcnt(0)
	v_bfe_u32 v8, v12, 4, 4
	v_mul_lo_u32 v174, v8, s1
	v_mov_b32_e32 v8, 0
	v_and_b32_e32 v189, 15, v12
	v_lshrrev_b32_sdwa v14, v167, v12 dst_sel:DWORD dst_unused:UNUSED_PAD src0_sel:DWORD src1_sel:BYTE_1
	v_and_b32_sdwa v190, v12, v168 dst_sel:DWORD dst_unused:UNUSED_PAD src0_sel:BYTE_1 src1_sel:DWORD
	v_add_u32_e32 v12, s18, v135
	v_dot4c_i32_i8_e32 v8, v173, v4
	v_mul_lo_u32 v187, v14, s1
	v_mov_b32_e32 v14, 0
	ds_read2_b32 v[118:119], v12 offset1:1
	v_dot4c_i32_i8_e32 v8, v170, v5
	v_dot4c_i32_i8_e32 v14, v15, v0
	;; [unrolled: 1-line block ×8, first 2 shown]
	v_mul_lo_u32 v8, v189, v8
	v_dot4c_i32_i8_e32 v116, v174, v5
	v_mad_u64_u32 v[114:115], s[20:21], v190, v14, v[8:9]
	s_waitcnt lgkmcnt(0)
	v_ashrrev_i32_e32 v14, s16, v118
	v_and_b32_e32 v186, 0x3030303, v14
	v_ashrrev_i32_e32 v14, s16, v119
	ds_read2_b32 v[118:119], v12 offset0:2 offset1:3
	v_and_b32_e32 v183, 0x3030303, v14
	v_cvt_f32_i32_e32 v115, v114
	v_dot4c_i32_i8_e32 v116, v174, v6
	v_dot4c_i32_i8_e32 v116, v174, v7
	s_waitcnt lgkmcnt(0)
	v_ashrrev_i32_e32 v14, s16, v118
	v_and_b32_e32 v184, 0x3030303, v14
	v_ashrrev_i32_e32 v14, s16, v119
	ds_read2_b32 v[118:119], v12 offset0:4 offset1:5
	v_and_b32_e32 v185, 0x3030303, v14
	v_dot4c_i32_i8_e32 v116, v187, v0
	v_dot4c_i32_i8_e32 v116, v187, v1
	;; [unrolled: 1-line block ×3, first 2 shown]
	s_waitcnt lgkmcnt(0)
	v_ashrrev_i32_e32 v14, s16, v118
	v_and_b32_e32 v175, 0x3030303, v14
	v_ashrrev_i32_e32 v14, s16, v119
	ds_read2_b32 v[118:119], v12 offset0:6 offset1:7
	v_and_b32_e32 v176, 0x3030303, v14
	v_add_u32_e32 v14, s19, v136
	v_dot4c_i32_i8_e32 v116, v187, v3
	v_cvt_f32_f16_e32 v8, v10
	s_waitcnt lgkmcnt(0)
	v_ashrrev_i32_e32 v12, s16, v118
	v_and_b32_e32 v177, 0x3030303, v12
	v_ashrrev_i32_e32 v12, s16, v119
	v_and_b32_e32 v178, 0x3030303, v12
	v_add3_u32 v12, v150, s17, v104
	ds_read_b32 v14, v14
	ds_read_u16 v106, v12 offset:9218
	v_mov_b32_e32 v118, 0
	v_cvt_f32_f16_sdwa v10, v10 dst_sel:DWORD dst_unused:UNUSED_PAD src0_sel:WORD_1
	s_waitcnt lgkmcnt(0)
	v_bfe_u32 v12, v106, 4, 4
	v_mul_lo_u32 v188, v12, s1
	v_mov_b32_e32 v12, 0
	v_lshrrev_b32_sdwa v108, v167, v106 dst_sel:DWORD dst_unused:UNUSED_PAD src0_sel:DWORD src1_sel:BYTE_1
	v_dot4c_i32_i8_e32 v12, v186, v4
	v_mul_lo_u32 v199, v108, s1
	v_mov_b32_e32 v108, 0
	v_dot4c_i32_i8_e32 v12, v183, v5
	v_dot4c_i32_i8_e32 v108, v175, v0
	;; [unrolled: 1-line block ×5, first 2 shown]
	v_and_b32_e32 v202, 15, v106
	v_dot4c_i32_i8_e32 v108, v177, v2
	v_dot4c_i32_i8_e32 v108, v178, v3
	v_mul_lo_u32 v12, v202, v12
	v_and_b32_sdwa v203, v106, v168 dst_sel:DWORD dst_unused:UNUSED_PAD src0_sel:BYTE_1 src1_sel:DWORD
	v_add_u32_e32 v106, s18, v137
	v_mad_u64_u32 v[120:121], s[20:21], v203, v108, v[12:13]
	v_cvt_f32_i32_e32 v117, v120
	ds_read2_b32 v[120:121], v106 offset1:1
	v_dot4c_i32_i8_e32 v118, v188, v4
	v_dot4c_i32_i8_e32 v118, v188, v5
	;; [unrolled: 1-line block ×4, first 2 shown]
	s_waitcnt lgkmcnt(0)
	v_ashrrev_i32_e32 v108, s16, v120
	v_and_b32_e32 v198, 0x3030303, v108
	v_ashrrev_i32_e32 v108, s16, v121
	ds_read2_b32 v[120:121], v106 offset0:2 offset1:3
	v_and_b32_e32 v195, 0x3030303, v108
	v_dot4c_i32_i8_e32 v118, v199, v0
	v_dot4c_i32_i8_e32 v118, v199, v1
	;; [unrolled: 1-line block ×3, first 2 shown]
	s_waitcnt lgkmcnt(0)
	v_ashrrev_i32_e32 v108, s16, v120
	v_and_b32_e32 v196, 0x3030303, v108
	v_ashrrev_i32_e32 v108, s16, v121
	ds_read2_b32 v[120:121], v106 offset0:4 offset1:5
	v_and_b32_e32 v197, 0x3030303, v108
	v_dot4c_i32_i8_e32 v118, v199, v3
	v_cvt_f32_f16_e32 v12, v14
	v_cvt_f32_f16_sdwa v14, v14 dst_sel:DWORD dst_unused:UNUSED_PAD src0_sel:WORD_1
	s_waitcnt lgkmcnt(0)
	v_ashrrev_i32_e32 v108, s16, v120
	v_and_b32_e32 v191, 0x3030303, v108
	v_ashrrev_i32_e32 v108, s16, v121
	ds_read2_b32 v[120:121], v106 offset0:6 offset1:7
	v_and_b32_e32 v192, 0x3030303, v108
	v_add_u32_e32 v108, s19, v138
	s_waitcnt lgkmcnt(0)
	v_ashrrev_i32_e32 v106, s16, v120
	v_and_b32_e32 v193, 0x3030303, v106
	v_ashrrev_i32_e32 v106, s16, v121
	v_and_b32_e32 v194, 0x3030303, v106
	v_add3_u32 v106, v148, s17, v104
	ds_read_b32 v110, v108
	ds_read_u16 v108, v106 offset:10242
	v_add3_u32 v104, v145, s17, v104
	s_mov_b32 s17, s16
	s_waitcnt lgkmcnt(0)
	v_bfe_u32 v106, v108, 4, 4
	v_mul_lo_u32 v201, v106, s1
	v_mov_b32_e32 v106, 0
	v_lshrrev_b32_sdwa v114, v167, v108 dst_sel:DWORD dst_unused:UNUSED_PAD src0_sel:DWORD src1_sel:BYTE_1
	v_dot4c_i32_i8_e32 v106, v198, v4
	v_mul_lo_u32 v209, v114, s1
	v_mov_b32_e32 v114, 0
	v_dot4c_i32_i8_e32 v106, v195, v5
	v_dot4c_i32_i8_e32 v114, v191, v0
	;; [unrolled: 1-line block ×5, first 2 shown]
	v_and_b32_e32 v211, 15, v108
	v_dot4c_i32_i8_e32 v114, v193, v2
	v_dot4c_i32_i8_e32 v114, v194, v3
	v_mul_lo_u32 v106, v211, v106
	v_and_b32_sdwa v212, v108, v168 dst_sel:DWORD dst_unused:UNUSED_PAD src0_sel:BYTE_1 src1_sel:DWORD
	v_dot4c_i32_i8_e32 v216, v201, v4
	v_mad_u64_u32 v[120:121], s[20:21], v212, v114, v[106:107]
	v_add_u32_e32 v106, s18, v139
	v_cvt_f32_i32_e32 v119, v120
	ds_read2_b32 v[120:121], v106 offset1:1
	v_dot4c_i32_i8_e32 v216, v201, v5
	v_dot4c_i32_i8_e32 v216, v201, v6
	;; [unrolled: 1-line block ×4, first 2 shown]
	s_waitcnt lgkmcnt(0)
	v_ashrrev_i32_e32 v114, s16, v120
	v_and_b32_e32 v208, 0x3030303, v114
	v_ashrrev_i32_e32 v114, s16, v121
	ds_read2_b32 v[120:121], v106 offset0:2 offset1:3
	v_and_b32_e32 v205, 0x3030303, v114
	v_dot4c_i32_i8_e32 v216, v209, v1
	v_dot4c_i32_i8_e32 v216, v209, v2
	;; [unrolled: 1-line block ×3, first 2 shown]
	s_waitcnt lgkmcnt(0)
	v_ashrrev_i32_e32 v114, s16, v120
	v_and_b32_e32 v206, 0x3030303, v114
	v_ashrrev_i32_e32 v114, s16, v121
	ds_read2_b32 v[120:121], v106 offset0:4 offset1:5
	v_and_b32_e32 v207, 0x3030303, v114
	v_cvt_f32_f16_e32 v108, v110
	v_cvt_f32_f16_sdwa v110, v110 dst_sel:DWORD dst_unused:UNUSED_PAD src0_sel:WORD_1
	s_waitcnt lgkmcnt(0)
	v_ashrrev_i32_e32 v114, s16, v120
	v_and_b32_e32 v179, 0x3030303, v114
	v_ashrrev_i32_e32 v114, s16, v121
	ds_read2_b32 v[120:121], v106 offset0:6 offset1:7
	v_and_b32_e32 v180, 0x3030303, v114
	s_waitcnt lgkmcnt(0)
	v_ashrrev_i32_e32 v106, s16, v120
	v_and_b32_e32 v181, 0x3030303, v106
	v_ashrrev_i32_e32 v106, s16, v121
	v_and_b32_e32 v182, 0x3030303, v106
	v_add_u32_e32 v106, s19, v140
	ds_read_b32 v106, v106
	ds_read_u16 v104, v104 offset:11266
	v_mov_b32_e32 v120, 0
	s_waitcnt lgkmcnt(0)
	v_bfe_u32 v114, v104, 4, 4
	v_mul_lo_u32 v210, v114, s1
	v_mov_b32_e32 v114, 0
	v_dot4c_i32_i8_e32 v114, v208, v4
	v_dot4c_i32_i8_e32 v217, v210, v4
	v_dot4c_i32_i8_e32 v114, v205, v5
	v_dot4c_i32_i8_e32 v217, v210, v5
	v_lshrrev_b32_sdwa v5, v167, v104 dst_sel:DWORD dst_unused:UNUSED_PAD src0_sel:DWORD src1_sel:BYTE_1
	v_mul_lo_u32 v200, v5, s1
	v_mov_b32_e32 v5, 0
	v_dot4c_i32_i8_e32 v217, v210, v6
	v_dot4c_i32_i8_e32 v5, v179, v0
	;; [unrolled: 1-line block ×6, first 2 shown]
	v_and_b32_e32 v213, 15, v104
	v_dot4c_i32_i8_e32 v217, v200, v0
	v_dot4c_i32_i8_e32 v5, v181, v2
	v_mul_lo_u32 v4, v213, v114
	v_dot4c_i32_i8_e32 v217, v200, v1
	v_dot4c_i32_i8_e32 v5, v182, v3
	v_and_b32_sdwa v204, v104, v168 dst_sel:DWORD dst_unused:UNUSED_PAD src0_sel:BYTE_1 src1_sel:DWORD
	v_dot4c_i32_i8_e32 v217, v200, v2
	v_dot4c_i32_i8_e32 v217, v200, v3
	v_mad_u64_u32 v[0:1], s[18:19], v204, v5, v[4:5]
	v_cvt_f32_i32_e32 v121, v0
	ds_read_b128 v[4:7], v11 offset:17920
	ds_read_b128 v[0:3], v11 offset:17936
	v_mov_b32_e32 v114, 0
	v_cvt_f32_f16_e32 v104, v106
	v_cvt_f32_f16_sdwa v106, v106 dst_sel:DWORD dst_unused:UNUSED_PAD src0_sel:WORD_1
	s_waitcnt lgkmcnt(1)
	v_dot4c_i32_i8_e32 v120, v174, v4
	v_dot4c_i32_i8_e32 v120, v174, v5
	;; [unrolled: 1-line block ×6, first 2 shown]
	s_waitcnt lgkmcnt(0)
	v_dot4c_i32_i8_e32 v214, v15, v0
	v_dot4c_i32_i8_e32 v114, v171, v6
	;; [unrolled: 1-line block ×8, first 2 shown]
	v_mul_lo_u32 v114, v114, v189
	v_dot4c_i32_i8_e32 v214, v169, v3
	v_dot4c_i32_i8_e32 v120, v187, v3
	s_nop 1
	v_mad_u64_u32 v[214:215], s[18:19], v214, v190, v[114:115]
	v_cvt_f32_i32_e32 v114, v214
	v_cvt_f32_i32_e32 v215, v116
	;; [unrolled: 1-line block ×3, first 2 shown]
	v_mov_b32_e32 v120, 0
	v_dot4c_i32_i8_e32 v120, v188, v4
	v_dot4c_i32_i8_e32 v120, v188, v5
	v_pk_mul_f32 v[214:215], v[10:11], v[214:215] op_sel_hi:[0,1]
	v_pk_fma_f32 v[214:215], v[8:9], v[114:115], v[214:215] op_sel_hi:[0,1,1] neg_lo:[0,0,1] neg_hi:[0,0,1]
	v_mov_b32_e32 v115, v112
	v_mov_b32_e32 v112, 0
	;; [unrolled: 1-line block ×3, first 2 shown]
	v_dot4c_i32_i8_e32 v112, v186, v4
	v_dot4c_i32_i8_e32 v120, v188, v6
	v_mov_b32_e32 v113, 0
	v_dot4c_i32_i8_e32 v112, v183, v5
	v_dot4c_i32_i8_e32 v120, v188, v7
	;; [unrolled: 1-line block ×10, first 2 shown]
	v_mul_lo_u32 v112, v112, v202
	v_dot4c_i32_i8_e32 v113, v178, v3
	v_dot4c_i32_i8_e32 v120, v199, v3
	v_pk_fma_f32 v[62:63], v[114:115], v[214:215], v[62:63]
	s_nop 0
	v_mad_u64_u32 v[112:113], s[18:19], v113, v203, v[112:113]
	v_cvt_f32_i32_e32 v116, v112
	v_cvt_f32_i32_e32 v113, v118
	;; [unrolled: 1-line block ×3, first 2 shown]
	v_pk_mul_f32 v[112:113], v[14:15], v[112:113] op_sel_hi:[0,1]
	v_pk_fma_f32 v[112:113], v[12:13], v[116:117], v[112:113] op_sel_hi:[0,1,1] neg_lo:[0,0,1] neg_hi:[0,0,1]
	v_mov_b32_e32 v116, 0
	v_dot4c_i32_i8_e32 v116, v201, v4
	v_pk_fma_f32 v[72:73], v[114:115], v[112:113], v[72:73]
	v_mov_b32_e32 v112, 0
	v_dot4c_i32_i8_e32 v116, v201, v5
	v_dot4c_i32_i8_e32 v112, v198, v4
	;; [unrolled: 1-line block ×3, first 2 shown]
	v_mov_b32_e32 v113, 0
	v_dot4c_i32_i8_e32 v112, v195, v5
	v_dot4c_i32_i8_e32 v116, v201, v7
	;; [unrolled: 1-line block ×10, first 2 shown]
	v_mul_lo_u32 v112, v112, v211
	v_dot4c_i32_i8_e32 v113, v194, v3
	v_dot4c_i32_i8_e32 v116, v209, v3
	v_mov_b32_e32 v117, 0
	s_nop 0
	v_mad_u64_u32 v[112:113], s[18:19], v113, v212, v[112:113]
	v_cvt_f32_i32_e32 v118, v112
	v_cvt_f32_i32_e32 v113, v216
	;; [unrolled: 1-line block ×3, first 2 shown]
	v_mov_b32_e32 v216, 0
	v_pk_mul_f32 v[112:113], v[110:111], v[112:113] op_sel_hi:[0,1]
	v_pk_fma_f32 v[112:113], v[108:109], v[118:119], v[112:113] op_sel_hi:[0,1,1] neg_lo:[0,0,1] neg_hi:[0,0,1]
	v_pk_fma_f32 v[50:51], v[114:115], v[112:113], v[50:51]
	v_mov_b32_e32 v113, 0
	v_mov_b32_e32 v112, 0
	v_dot4c_i32_i8_e32 v113, v210, v4
	v_dot4c_i32_i8_e32 v112, v208, v4
	;; [unrolled: 1-line block ×5, first 2 shown]
	v_mov_b32_e32 v5, 0
	v_dot4c_i32_i8_e32 v113, v210, v7
	v_dot4c_i32_i8_e32 v5, v179, v0
	;; [unrolled: 1-line block ×9, first 2 shown]
	v_mul_lo_u32 v4, v112, v213
	v_dot4c_i32_i8_e32 v5, v182, v3
	v_dot4c_i32_i8_e32 v113, v200, v3
	v_mov_b32_e32 v119, 0
	s_nop 0
	v_mad_u64_u32 v[0:1], s[18:19], v5, v204, v[4:5]
	v_cvt_f32_i32_e32 v120, v0
	v_cvt_f32_i32_e32 v1, v217
	v_cvt_f32_i32_e32 v0, v113
	v_mov_b32_e32 v217, 0
	v_pk_mul_f32 v[0:1], v[106:107], v[0:1] op_sel_hi:[0,1]
	v_pk_fma_f32 v[0:1], v[104:105], v[120:121], v[0:1] op_sel_hi:[0,1,1] neg_lo:[0,0,1] neg_hi:[0,0,1]
	v_pk_fma_f32 v[40:41], v[114:115], v[0:1], v[40:41]
	v_add_u32_e32 v0, 0x7600, v13
	ds_read2_b32 v[112:113], v0 offset0:104 offset1:136
	ds_read_b128 v[4:7], v11 offset:18944
	ds_read_b128 v[0:3], v11 offset:18960
	v_mov_b32_e32 v114, 0
	v_mov_b32_e32 v115, 0
	s_waitcnt lgkmcnt(1)
	v_dot4c_i32_i8_e32 v114, v173, v4
	v_dot4c_i32_i8_e32 v114, v170, v5
	s_waitcnt lgkmcnt(0)
	v_dot4c_i32_i8_e32 v115, v15, v0
	v_dot4c_i32_i8_e32 v114, v171, v6
	;; [unrolled: 1-line block ×7, first 2 shown]
	v_mul_lo_u32 v114, v114, v189
	v_dot4c_i32_i8_e32 v216, v188, v4
	v_mad_u64_u32 v[114:115], s[18:19], v115, v190, v[114:115]
	v_cvt_f32_i32_e32 v120, v114
	v_mov_b32_e32 v114, 0
	v_dot4c_i32_i8_e32 v114, v186, v4
	v_mov_b32_e32 v115, 0
	v_dot4c_i32_i8_e32 v114, v183, v5
	v_dot4c_i32_i8_e32 v115, v175, v0
	;; [unrolled: 1-line block ×8, first 2 shown]
	v_mul_lo_u32 v114, v114, v202
	v_dot4c_i32_i8_e32 v218, v210, v4
	v_mad_u64_u32 v[114:115], s[18:19], v115, v203, v[114:115]
	v_cvt_f32_i32_e32 v118, v114
	v_mov_b32_e32 v114, 0
	v_dot4c_i32_i8_e32 v114, v198, v4
	v_mov_b32_e32 v115, 0
	v_dot4c_i32_i8_e32 v114, v195, v5
	v_dot4c_i32_i8_e32 v115, v191, v0
	;; [unrolled: 1-line block ×8, first 2 shown]
	v_mul_lo_u32 v114, v114, v211
	v_dot4c_i32_i8_e32 v216, v188, v5
	v_mad_u64_u32 v[114:115], s[18:19], v115, v212, v[114:115]
	v_cvt_f32_i32_e32 v116, v114
	v_mov_b32_e32 v114, 0
	v_dot4c_i32_i8_e32 v114, v208, v4
	v_dot4c_i32_i8_e32 v217, v201, v5
	;; [unrolled: 1-line block ×4, first 2 shown]
	v_mov_b32_e32 v5, 0
	v_dot4c_i32_i8_e32 v117, v174, v6
	v_dot4c_i32_i8_e32 v216, v188, v6
	;; [unrolled: 1-line block ×20, first 2 shown]
	v_mul_lo_u32 v4, v114, v213
	v_dot4c_i32_i8_e32 v218, v200, v1
	v_dot4c_i32_i8_e32 v5, v182, v3
	;; [unrolled: 1-line block ×6, first 2 shown]
	v_mad_u64_u32 v[0:1], s[18:19], v5, v204, v[4:5]
	v_dot4c_i32_i8_e32 v117, v187, v3
	v_dot4c_i32_i8_e32 v216, v199, v3
	;; [unrolled: 1-line block ×4, first 2 shown]
	v_cvt_f32_i32_e32 v114, v0
	ds_read_b128 v[4:7], v11 offset:19968
	ds_read_b128 v[0:3], v11 offset:19984
	v_mov_b32_e32 v115, 0
	s_waitcnt lgkmcnt(1)
	v_dot4c_i32_i8_e32 v115, v173, v4
	v_dot4c_i32_i8_e32 v115, v170, v5
	;; [unrolled: 1-line block ×8, first 2 shown]
	s_waitcnt lgkmcnt(0)
	v_dot4c_i32_i8_e32 v119, v187, v0
	v_mul_lo_u32 v214, v115, v189
	v_mov_b32_e32 v115, 0
	v_dot4c_i32_i8_e32 v115, v15, v0
	v_dot4c_i32_i8_e32 v115, v122, v1
	;; [unrolled: 1-line block ×7, first 2 shown]
	s_nop 1
	v_mad_u64_u32 v[214:215], s[18:19], v115, v190, v[214:215]
	v_cvt_f32_i32_e32 v121, v214
	v_cvt_f32_i32_e32 v215, v119
	;; [unrolled: 1-line block ×3, first 2 shown]
	v_mov_b32_e32 v115, 0
	v_dot4c_i32_i8_e32 v115, v186, v4
	v_mov_b32_e32 v117, 0
	v_dot4c_i32_i8_e32 v115, v183, v5
	v_pk_mul_f32 v[214:215], v[10:11], v[214:215] op_sel_hi:[0,1]
	v_dot4c_i32_i8_e32 v117, v188, v4
	v_dot4c_i32_i8_e32 v115, v184, v6
	v_pk_fma_f32 v[120:121], v[8:9], v[120:121], v[214:215] op_sel_hi:[0,1,1] neg_lo:[0,0,1] neg_hi:[0,0,1]
	v_dot4c_i32_i8_e32 v117, v188, v5
	v_dot4c_i32_i8_e32 v115, v185, v7
	v_pk_fma_f32 v[38:39], v[112:113], v[120:121], v[38:39]
	v_dot4c_i32_i8_e32 v117, v188, v6
	v_dot4c_i32_i8_e32 v117, v188, v7
	v_mul_lo_u32 v120, v115, v202
	v_mov_b32_e32 v115, 0
	v_dot4c_i32_i8_e32 v115, v175, v0
	v_dot4c_i32_i8_e32 v117, v199, v0
	;; [unrolled: 1-line block ×8, first 2 shown]
	v_add_u32_e32 v214, 0x7800, v13
	v_mov_b32_e32 v215, 0
	v_mad_u64_u32 v[120:121], s[18:19], v115, v203, v[120:121]
	v_cvt_f32_i32_e32 v119, v120
	v_cvt_f32_i32_e32 v121, v117
	;; [unrolled: 1-line block ×3, first 2 shown]
	v_mov_b32_e32 v115, 0
	v_dot4c_i32_i8_e32 v115, v198, v4
	v_dot4c_i32_i8_e32 v115, v195, v5
	v_pk_mul_f32 v[120:121], v[14:15], v[120:121] op_sel_hi:[0,1]
	v_pk_fma_f32 v[118:119], v[12:13], v[118:119], v[120:121] op_sel_hi:[0,1,1] neg_lo:[0,0,1] neg_hi:[0,0,1]
	v_mov_b32_e32 v120, 0
	v_dot4c_i32_i8_e32 v120, v201, v4
	v_dot4c_i32_i8_e32 v115, v196, v6
	;; [unrolled: 1-line block ×4, first 2 shown]
	v_pk_fma_f32 v[36:37], v[112:113], v[118:119], v[36:37]
	v_dot4c_i32_i8_e32 v120, v201, v6
	v_dot4c_i32_i8_e32 v120, v201, v7
	v_mul_lo_u32 v118, v115, v211
	v_mov_b32_e32 v115, 0
	v_dot4c_i32_i8_e32 v115, v191, v0
	v_dot4c_i32_i8_e32 v120, v209, v0
	;; [unrolled: 1-line block ×8, first 2 shown]
	s_nop 1
	v_mad_u64_u32 v[118:119], s[18:19], v115, v212, v[118:119]
	v_cvt_f32_i32_e32 v117, v118
	v_cvt_f32_i32_e32 v119, v120
	;; [unrolled: 1-line block ×3, first 2 shown]
	v_mov_b32_e32 v115, 0
	v_dot4c_i32_i8_e32 v115, v208, v4
	v_dot4c_i32_i8_e32 v115, v205, v5
	v_pk_mul_f32 v[118:119], v[110:111], v[118:119] op_sel_hi:[0,1]
	v_pk_fma_f32 v[116:117], v[108:109], v[116:117], v[118:119] op_sel_hi:[0,1,1] neg_lo:[0,0,1] neg_hi:[0,0,1]
	v_pk_fma_f32 v[34:35], v[112:113], v[116:117], v[34:35]
	v_mov_b32_e32 v116, 0
	v_dot4c_i32_i8_e32 v116, v210, v4
	v_dot4c_i32_i8_e32 v116, v210, v5
	v_dot4c_i32_i8_e32 v116, v210, v6
	v_mov_b32_e32 v5, 0
	v_dot4c_i32_i8_e32 v116, v210, v7
	v_dot4c_i32_i8_e32 v5, v179, v0
	;; [unrolled: 1-line block ×9, first 2 shown]
	v_mul_lo_u32 v4, v115, v213
	v_dot4c_i32_i8_e32 v5, v182, v3
	v_dot4c_i32_i8_e32 v116, v200, v3
	v_mov_b32_e32 v117, 0
	v_mov_b32_e32 v119, 0
	v_mad_u64_u32 v[0:1], s[18:19], v5, v204, v[4:5]
	v_cvt_f32_i32_e32 v115, v0
	v_cvt_f32_i32_e32 v1, v116
	;; [unrolled: 1-line block ×3, first 2 shown]
	v_mov_b32_e32 v218, 0
	v_pk_mul_f32 v[0:1], v[106:107], v[0:1] op_sel_hi:[0,1]
	v_pk_fma_f32 v[0:1], v[104:105], v[114:115], v[0:1] op_sel_hi:[0,1,1] neg_lo:[0,0,1] neg_hi:[0,0,1]
	v_pk_fma_f32 v[32:33], v[112:113], v[0:1], v[32:33]
	ds_read2_b32 v[112:113], v214 offset0:40 offset1:72
	ds_read_b128 v[4:7], v11 offset:20992
	ds_read_b128 v[0:3], v11 offset:21008
	v_mov_b32_e32 v114, 0
	v_mov_b32_e32 v115, 0
	s_waitcnt lgkmcnt(1)
	v_dot4c_i32_i8_e32 v114, v173, v4
	v_dot4c_i32_i8_e32 v114, v170, v5
	s_waitcnt lgkmcnt(0)
	v_dot4c_i32_i8_e32 v115, v15, v0
	v_dot4c_i32_i8_e32 v114, v171, v6
	;; [unrolled: 1-line block ×7, first 2 shown]
	v_mul_lo_u32 v114, v114, v189
	v_dot4c_i32_i8_e32 v215, v188, v4
	v_mad_u64_u32 v[114:115], s[18:19], v115, v190, v[114:115]
	v_cvt_f32_i32_e32 v120, v114
	v_mov_b32_e32 v114, 0
	v_dot4c_i32_i8_e32 v114, v186, v4
	v_mov_b32_e32 v115, 0
	v_dot4c_i32_i8_e32 v114, v183, v5
	v_dot4c_i32_i8_e32 v115, v175, v0
	;; [unrolled: 1-line block ×8, first 2 shown]
	v_mul_lo_u32 v114, v114, v202
	v_dot4c_i32_i8_e32 v219, v210, v4
	v_mad_u64_u32 v[114:115], s[18:19], v115, v203, v[114:115]
	v_cvt_f32_i32_e32 v118, v114
	v_mov_b32_e32 v114, 0
	v_dot4c_i32_i8_e32 v114, v198, v4
	v_mov_b32_e32 v115, 0
	v_dot4c_i32_i8_e32 v114, v195, v5
	v_dot4c_i32_i8_e32 v115, v191, v0
	;; [unrolled: 1-line block ×8, first 2 shown]
	v_mul_lo_u32 v114, v114, v211
	v_dot4c_i32_i8_e32 v215, v188, v5
	v_mad_u64_u32 v[114:115], s[18:19], v115, v212, v[114:115]
	v_cvt_f32_i32_e32 v116, v114
	v_mov_b32_e32 v114, 0
	v_dot4c_i32_i8_e32 v114, v208, v4
	v_dot4c_i32_i8_e32 v218, v201, v5
	;; [unrolled: 1-line block ×4, first 2 shown]
	v_mov_b32_e32 v5, 0
	v_dot4c_i32_i8_e32 v117, v174, v6
	v_dot4c_i32_i8_e32 v215, v188, v6
	;; [unrolled: 1-line block ×20, first 2 shown]
	v_mul_lo_u32 v4, v114, v213
	v_dot4c_i32_i8_e32 v219, v200, v1
	v_dot4c_i32_i8_e32 v5, v182, v3
	;; [unrolled: 1-line block ×6, first 2 shown]
	v_mad_u64_u32 v[0:1], s[18:19], v5, v204, v[4:5]
	v_dot4c_i32_i8_e32 v117, v187, v3
	v_dot4c_i32_i8_e32 v215, v199, v3
	;; [unrolled: 1-line block ×4, first 2 shown]
	v_cvt_f32_i32_e32 v114, v0
	ds_read_b128 v[4:7], v11 offset:22016
	ds_read_b128 v[0:3], v11 offset:22032
	v_mov_b32_e32 v115, 0
	s_waitcnt lgkmcnt(1)
	v_dot4c_i32_i8_e32 v115, v173, v4
	v_dot4c_i32_i8_e32 v115, v170, v5
	v_dot4c_i32_i8_e32 v119, v174, v4
	v_dot4c_i32_i8_e32 v115, v171, v6
	v_dot4c_i32_i8_e32 v119, v174, v5
	v_dot4c_i32_i8_e32 v115, v172, v7
	v_dot4c_i32_i8_e32 v119, v174, v6
	v_dot4c_i32_i8_e32 v119, v174, v7
	s_waitcnt lgkmcnt(0)
	v_dot4c_i32_i8_e32 v119, v187, v0
	v_mul_lo_u32 v216, v115, v189
	v_mov_b32_e32 v115, 0
	v_dot4c_i32_i8_e32 v115, v15, v0
	v_dot4c_i32_i8_e32 v115, v122, v1
	;; [unrolled: 1-line block ×7, first 2 shown]
	s_nop 1
	v_mad_u64_u32 v[216:217], s[18:19], v115, v190, v[216:217]
	v_cvt_f32_i32_e32 v121, v216
	v_cvt_f32_i32_e32 v217, v119
	;; [unrolled: 1-line block ×3, first 2 shown]
	v_mov_b32_e32 v115, 0
	v_dot4c_i32_i8_e32 v115, v186, v4
	v_mov_b32_e32 v117, 0
	v_dot4c_i32_i8_e32 v115, v183, v5
	v_pk_mul_f32 v[216:217], v[10:11], v[216:217] op_sel_hi:[0,1]
	v_dot4c_i32_i8_e32 v117, v188, v4
	v_dot4c_i32_i8_e32 v115, v184, v6
	v_pk_fma_f32 v[120:121], v[8:9], v[120:121], v[216:217] op_sel_hi:[0,1,1] neg_lo:[0,0,1] neg_hi:[0,0,1]
	v_dot4c_i32_i8_e32 v117, v188, v5
	v_dot4c_i32_i8_e32 v115, v185, v7
	v_pk_fma_f32 v[30:31], v[112:113], v[120:121], v[30:31]
	v_dot4c_i32_i8_e32 v117, v188, v6
	v_dot4c_i32_i8_e32 v117, v188, v7
	v_mul_lo_u32 v120, v115, v202
	v_mov_b32_e32 v115, 0
	v_dot4c_i32_i8_e32 v115, v175, v0
	v_dot4c_i32_i8_e32 v117, v199, v0
	;; [unrolled: 1-line block ×8, first 2 shown]
	v_mov_b32_e32 v216, 0
	s_nop 0
	v_mad_u64_u32 v[120:121], s[18:19], v115, v203, v[120:121]
	v_cvt_f32_i32_e32 v119, v120
	v_cvt_f32_i32_e32 v121, v117
	v_cvt_f32_i32_e32 v120, v215
	v_mov_b32_e32 v115, 0
	v_dot4c_i32_i8_e32 v115, v198, v4
	v_dot4c_i32_i8_e32 v115, v195, v5
	v_pk_mul_f32 v[120:121], v[14:15], v[120:121] op_sel_hi:[0,1]
	v_pk_fma_f32 v[118:119], v[12:13], v[118:119], v[120:121] op_sel_hi:[0,1,1] neg_lo:[0,0,1] neg_hi:[0,0,1]
	v_mov_b32_e32 v120, 0
	v_dot4c_i32_i8_e32 v120, v201, v4
	v_dot4c_i32_i8_e32 v115, v196, v6
	;; [unrolled: 1-line block ×4, first 2 shown]
	v_pk_fma_f32 v[28:29], v[112:113], v[118:119], v[28:29]
	v_dot4c_i32_i8_e32 v120, v201, v6
	v_dot4c_i32_i8_e32 v120, v201, v7
	v_mul_lo_u32 v118, v115, v211
	v_mov_b32_e32 v115, 0
	v_dot4c_i32_i8_e32 v115, v191, v0
	v_dot4c_i32_i8_e32 v120, v209, v0
	;; [unrolled: 1-line block ×8, first 2 shown]
	v_mov_b32_e32 v215, 0
	s_nop 0
	v_mad_u64_u32 v[118:119], s[18:19], v115, v212, v[118:119]
	v_cvt_f32_i32_e32 v117, v118
	v_cvt_f32_i32_e32 v119, v120
	;; [unrolled: 1-line block ×3, first 2 shown]
	v_mov_b32_e32 v115, 0
	v_dot4c_i32_i8_e32 v115, v208, v4
	v_dot4c_i32_i8_e32 v115, v205, v5
	v_pk_mul_f32 v[118:119], v[110:111], v[118:119] op_sel_hi:[0,1]
	v_pk_fma_f32 v[116:117], v[108:109], v[116:117], v[118:119] op_sel_hi:[0,1,1] neg_lo:[0,0,1] neg_hi:[0,0,1]
	v_pk_fma_f32 v[26:27], v[112:113], v[116:117], v[26:27]
	v_mov_b32_e32 v116, 0
	v_dot4c_i32_i8_e32 v116, v210, v4
	v_dot4c_i32_i8_e32 v116, v210, v5
	;; [unrolled: 1-line block ×3, first 2 shown]
	v_mov_b32_e32 v5, 0
	v_dot4c_i32_i8_e32 v116, v210, v7
	v_dot4c_i32_i8_e32 v5, v179, v0
	;; [unrolled: 1-line block ×9, first 2 shown]
	v_mul_lo_u32 v4, v115, v213
	v_dot4c_i32_i8_e32 v5, v182, v3
	v_dot4c_i32_i8_e32 v116, v200, v3
	v_mov_b32_e32 v117, 0
	v_mov_b32_e32 v119, 0
	v_mad_u64_u32 v[0:1], s[18:19], v5, v204, v[4:5]
	v_cvt_f32_i32_e32 v115, v0
	v_cvt_f32_i32_e32 v1, v116
	;; [unrolled: 1-line block ×3, first 2 shown]
	v_pk_mul_f32 v[0:1], v[106:107], v[0:1] op_sel_hi:[0,1]
	v_pk_fma_f32 v[0:1], v[104:105], v[114:115], v[0:1] op_sel_hi:[0,1,1] neg_lo:[0,0,1] neg_hi:[0,0,1]
	v_pk_fma_f32 v[24:25], v[112:113], v[0:1], v[24:25]
	ds_read2_b32 v[112:113], v214 offset0:104 offset1:136
	ds_read_b128 v[4:7], v11 offset:23040
	ds_read_b128 v[0:3], v11 offset:23056
	v_mov_b32_e32 v114, 0
	v_mov_b32_e32 v115, 0
	;; [unrolled: 1-line block ×3, first 2 shown]
	s_waitcnt lgkmcnt(1)
	v_dot4c_i32_i8_e32 v114, v173, v4
	v_dot4c_i32_i8_e32 v114, v170, v5
	s_waitcnt lgkmcnt(0)
	v_dot4c_i32_i8_e32 v115, v15, v0
	v_dot4c_i32_i8_e32 v114, v171, v6
	;; [unrolled: 1-line block ×7, first 2 shown]
	v_mul_lo_u32 v114, v114, v189
	v_dot4c_i32_i8_e32 v215, v188, v4
	v_mad_u64_u32 v[114:115], s[18:19], v115, v190, v[114:115]
	v_cvt_f32_i32_e32 v120, v114
	v_mov_b32_e32 v114, 0
	v_dot4c_i32_i8_e32 v114, v186, v4
	v_mov_b32_e32 v115, 0
	v_dot4c_i32_i8_e32 v114, v183, v5
	v_dot4c_i32_i8_e32 v115, v175, v0
	;; [unrolled: 1-line block ×8, first 2 shown]
	v_mul_lo_u32 v114, v114, v202
	v_dot4c_i32_i8_e32 v214, v210, v4
	v_mad_u64_u32 v[114:115], s[18:19], v115, v203, v[114:115]
	v_cvt_f32_i32_e32 v118, v114
	v_mov_b32_e32 v114, 0
	v_dot4c_i32_i8_e32 v114, v198, v4
	v_mov_b32_e32 v115, 0
	v_dot4c_i32_i8_e32 v114, v195, v5
	v_dot4c_i32_i8_e32 v115, v191, v0
	;; [unrolled: 1-line block ×8, first 2 shown]
	v_mul_lo_u32 v114, v114, v211
	v_dot4c_i32_i8_e32 v215, v188, v5
	v_mad_u64_u32 v[114:115], s[18:19], v115, v212, v[114:115]
	v_cvt_f32_i32_e32 v116, v114
	v_mov_b32_e32 v114, 0
	v_dot4c_i32_i8_e32 v114, v208, v4
	v_dot4c_i32_i8_e32 v216, v201, v5
	;; [unrolled: 1-line block ×4, first 2 shown]
	v_mov_b32_e32 v5, 0
	v_dot4c_i32_i8_e32 v117, v174, v6
	v_dot4c_i32_i8_e32 v215, v188, v6
	;; [unrolled: 1-line block ×20, first 2 shown]
	v_mul_lo_u32 v4, v114, v213
	v_dot4c_i32_i8_e32 v214, v200, v1
	v_dot4c_i32_i8_e32 v5, v182, v3
	v_dot4c_i32_i8_e32 v117, v187, v2
	v_dot4c_i32_i8_e32 v215, v199, v2
	v_dot4c_i32_i8_e32 v216, v209, v2
	v_dot4c_i32_i8_e32 v214, v200, v2
	v_mad_u64_u32 v[0:1], s[18:19], v5, v204, v[4:5]
	v_dot4c_i32_i8_e32 v117, v187, v3
	v_dot4c_i32_i8_e32 v215, v199, v3
	;; [unrolled: 1-line block ×4, first 2 shown]
	v_cvt_f32_i32_e32 v114, v0
	ds_read_b128 v[4:7], v11 offset:24064
	ds_read_b128 v[0:3], v11 offset:24080
	v_mov_b32_e32 v115, 0
	s_waitcnt lgkmcnt(1)
	v_dot4c_i32_i8_e32 v115, v173, v4
	v_dot4c_i32_i8_e32 v115, v170, v5
	;; [unrolled: 1-line block ×8, first 2 shown]
	s_waitcnt lgkmcnt(0)
	v_dot4c_i32_i8_e32 v119, v187, v0
	v_mul_lo_u32 v170, v115, v189
	v_mov_b32_e32 v115, 0
	v_dot4c_i32_i8_e32 v115, v15, v0
	v_dot4c_i32_i8_e32 v115, v122, v1
	;; [unrolled: 1-line block ×7, first 2 shown]
	v_mov_b32_e32 v15, 0
	v_dot4c_i32_i8_e32 v15, v175, v0
	v_mad_u64_u32 v[122:123], s[18:19], v115, v190, v[170:171]
	v_cvt_f32_i32_e32 v121, v122
	v_cvt_f32_i32_e32 v123, v119
	v_cvt_f32_i32_e32 v122, v117
	v_dot4c_i32_i8_e32 v15, v176, v1
	v_dot4c_i32_i8_e32 v15, v177, v2
	;; [unrolled: 1-line block ×3, first 2 shown]
	v_pk_mul_f32 v[122:123], v[10:11], v[122:123] op_sel_hi:[0,1]
	v_mov_b32_e32 v10, 0
	v_dot4c_i32_i8_e32 v10, v188, v4
	v_pk_fma_f32 v[120:121], v[8:9], v[120:121], v[122:123] op_sel_hi:[0,1,1] neg_lo:[0,0,1] neg_hi:[0,0,1]
	v_mov_b32_e32 v8, 0
	v_dot4c_i32_i8_e32 v10, v188, v5
	v_dot4c_i32_i8_e32 v8, v186, v4
	;; [unrolled: 1-line block ×10, first 2 shown]
	v_pk_fma_f32 v[22:23], v[112:113], v[120:121], v[22:23]
	v_mul_lo_u32 v8, v8, v202
	v_dot4c_i32_i8_e32 v10, v199, v3
	v_mad_u64_u32 v[120:121], s[18:19], v15, v203, v[8:9]
	v_cvt_f32_i32_e32 v119, v120
	s_nop 0
	v_cvt_f32_i32_e32 v121, v10
	v_cvt_f32_i32_e32 v120, v215
	v_mov_b32_e32 v10, 0
	v_dot4c_i32_i8_e32 v10, v201, v4
	v_mov_b32_e32 v8, 0
	v_pk_mul_f32 v[14:15], v[14:15], v[120:121] op_sel_hi:[0,1]
	v_dot4c_i32_i8_e32 v10, v201, v5
	v_pk_fma_f32 v[14:15], v[12:13], v[118:119], v[14:15] op_sel_hi:[0,1,1] neg_lo:[0,0,1] neg_hi:[0,0,1]
	v_dot4c_i32_i8_e32 v8, v198, v4
	v_dot4c_i32_i8_e32 v10, v201, v6
	v_mov_b32_e32 v12, 0
	v_dot4c_i32_i8_e32 v8, v195, v5
	v_dot4c_i32_i8_e32 v10, v201, v7
	;; [unrolled: 1-line block ×10, first 2 shown]
	v_mul_lo_u32 v8, v8, v211
	v_dot4c_i32_i8_e32 v12, v194, v3
	v_pk_fma_f32 v[20:21], v[112:113], v[14:15], v[20:21]
	v_dot4c_i32_i8_e32 v10, v209, v3
	v_add_u32_e32 v13, 4, v13
	v_mad_u64_u32 v[14:15], s[18:19], v12, v212, v[8:9]
	s_nop 0
	v_cvt_f32_i32_e32 v15, v10
	v_mov_b32_e32 v10, 0
	v_mov_b32_e32 v8, 0
	v_dot4c_i32_i8_e32 v10, v210, v4
	v_dot4c_i32_i8_e32 v8, v208, v4
	;; [unrolled: 1-line block ×5, first 2 shown]
	v_mov_b32_e32 v5, 0
	v_dot4c_i32_i8_e32 v10, v210, v7
	v_dot4c_i32_i8_e32 v5, v179, v0
	;; [unrolled: 1-line block ×9, first 2 shown]
	v_mul_lo_u32 v4, v8, v213
	v_dot4c_i32_i8_e32 v5, v182, v3
	v_dot4c_i32_i8_e32 v10, v200, v3
	v_cvt_f32_i32_e32 v117, v14
	v_cvt_f32_i32_e32 v14, v216
	v_mad_u64_u32 v[0:1], s[18:19], v5, v204, v[4:5]
	v_cvt_f32_i32_e32 v115, v0
	v_cvt_f32_i32_e32 v1, v10
	;; [unrolled: 1-line block ×3, first 2 shown]
	v_pk_mul_f32 v[14:15], v[110:111], v[14:15] op_sel_hi:[0,1]
	v_pk_fma_f32 v[14:15], v[108:109], v[116:117], v[14:15] op_sel_hi:[0,1,1] neg_lo:[0,0,1] neg_hi:[0,0,1]
	v_pk_fma_f32 v[18:19], v[112:113], v[14:15], v[18:19]
	v_pk_mul_f32 v[0:1], v[106:107], v[0:1] op_sel_hi:[0,1]
	v_pk_fma_f32 v[0:1], v[104:105], v[114:115], v[0:1] op_sel_hi:[0,1,1] neg_lo:[0,0,1] neg_hi:[0,0,1]
	v_pk_fma_f32 v[16:17], v[112:113], v[0:1], v[16:17]
	v_add_u32_e32 v11, 32, v11
	s_cbranch_scc1 .LBB167_7
; %bb.8:                                ;   in Loop: Header=BB167_6 Depth=1
	v_add_u32_e32 v8, s14, v141
	v_add_u32_e32 v0, v8, v95
	;; [unrolled: 1-line block ×9, first 2 shown]
	v_mad_i64_i32 v[112:113], s[16:17], v8, 36, v[100:101]
	v_add_u32_e32 v8, 4, v9
	v_mad_i64_i32 v[0:1], s[16:17], v0, 36, v[100:101]
	v_mad_i64_i32 v[2:3], s[16:17], v2, 36, v[100:101]
	;; [unrolled: 1-line block ×4, first 2 shown]
	v_mad_u64_u32 v[114:115], s[16:17], v8, 36, s[2:3]
	s_barrier
	v_mad_i64_i32 v[10:11], s[16:17], v10, 36, v[100:101]
	v_mad_i64_i32 v[12:13], s[16:17], v12, 36, v[100:101]
	;; [unrolled: 1-line block ×3, first 2 shown]
	global_load_dword v8, v[114:115], off
	s_nop 0
	global_load_dword v0, v[0:1], off offset:4
	s_nop 0
	global_load_dword v1, v[2:3], off offset:4
	;; [unrolled: 2-line block ×3, first 2 shown]
	global_load_dword v3, v[6:7], off offset:4
	s_nop 0
	global_load_dword v4, v[10:11], off offset:4
	global_load_dword v5, v[12:13], off offset:4
	;; [unrolled: 1-line block ×4, first 2 shown]
	s_mov_b32 s15, 8
	s_mov_b32 s16, 0
	v_mov_b32_e32 v11, v158
	v_mov_b32_e32 v13, v157
	s_waitcnt vmcnt(8)
	v_cvt_f32_f16_e32 v8, v8
	s_waitcnt vmcnt(7)
	ds_write_b32 v99, v0
	s_waitcnt vmcnt(6)
	ds_write_b32 v105, v1
	;; [unrolled: 2-line block ×8, first 2 shown]
	ds_write_b32 v93, v8
	s_waitcnt lgkmcnt(0)
	s_barrier
.LBB167_9:                              ;   Parent Loop BB167_6 Depth=1
                                        ; =>  This Inner Loop Header: Depth=2
	s_add_i32 s17, s16, 8
	s_and_b32 s19, s17, 0x3ffffff8
	s_lshl_b32 s19, s19, 2
	v_add_u32_e32 v8, s19, v133
	ds_read2_b32 v[112:113], v13 offset1:32
	ds_read_b128 v[4:7], v11
	ds_read_b128 v[0:3], v11 offset:16
	ds_read2_b32 v[14:15], v8 offset1:1
	s_lshr_b32 s20, s17, 2
	s_and_b32 s18, s15, -16
	v_add_u32_e32 v104, s16, v146
	s_and_b32 s20, s20, 0x3ffffffc
	s_waitcnt lgkmcnt(0)
	v_ashrrev_i32_e32 v10, s16, v14
	v_and_b32_e32 v185, 0x3030303, v10
	v_ashrrev_i32_e32 v10, s16, v15
	ds_read2_b32 v[14:15], v8 offset0:2 offset1:3
	v_and_b32_e32 v182, 0x3030303, v10
	v_mov_b32_e32 v211, 0
	v_mov_b32_e32 v213, 0
	;; [unrolled: 1-line block ×3, first 2 shown]
	s_waitcnt lgkmcnt(0)
	v_ashrrev_i32_e32 v10, s16, v14
	v_and_b32_e32 v183, 0x3030303, v10
	v_ashrrev_i32_e32 v10, s16, v15
	ds_read2_b32 v[14:15], v8 offset0:4 offset1:5
	v_and_b32_e32 v184, 0x3030303, v10
	v_mov_b32_e32 v219, 0
	v_mov_b32_e32 v115, 0
	;; [unrolled: 1-line block ×3, first 2 shown]
	s_waitcnt lgkmcnt(0)
	v_ashrrev_i32_e32 v10, s16, v14
	v_and_b32_e32 v175, 0x3030303, v10
	v_ashrrev_i32_e32 v10, s16, v15
	ds_read2_b32 v[14:15], v8 offset0:6 offset1:7
	v_and_b32_e32 v176, 0x3030303, v10
	v_add_u32_e32 v10, s20, v134
	v_mov_b32_e32 v214, 0
	v_mov_b32_e32 v218, 0
	s_waitcnt lgkmcnt(0)
	v_ashrrev_i32_e32 v8, s16, v14
	v_and_b32_e32 v177, 0x3030303, v8
	v_ashrrev_i32_e32 v8, s16, v15
	v_and_b32_e32 v178, 0x3030303, v8
	v_add3_u32 v8, v156, s18, v104
	ds_read_b32 v10, v10
	ds_read_u16 v8, v8
	v_dot4c_i32_i8_e32 v115, v185, v4
	v_dot4c_i32_i8_e32 v115, v182, v5
	;; [unrolled: 1-line block ×3, first 2 shown]
	s_waitcnt lgkmcnt(1)
	v_cvt_f32_f16_sdwa v14, v10 dst_sel:DWORD dst_unused:UNUSED_PAD src0_sel:WORD_1
	s_waitcnt lgkmcnt(0)
	v_bfe_u32 v12, v8, 4, 4
	v_mul_lo_u32 v203, v12, s1
	v_and_b32_e32 v194, 15, v8
	v_lshrrev_b32_sdwa v12, v167, v8 dst_sel:DWORD dst_unused:UNUSED_PAD src0_sel:DWORD src1_sel:BYTE_1
	v_and_b32_sdwa v204, v8, v168 dst_sel:DWORD dst_unused:UNUSED_PAD src0_sel:BYTE_1 src1_sel:DWORD
	v_add_u32_e32 v8, s19, v135
	v_mul_lo_u32 v202, v12, s1
	v_mov_b32_e32 v12, 0
	ds_read2_b32 v[116:117], v8 offset1:1
	v_dot4c_i32_i8_e32 v12, v175, v0
	v_dot4c_i32_i8_e32 v12, v176, v1
	;; [unrolled: 1-line block ×7, first 2 shown]
	v_mul_lo_u32 v114, v204, v12
	v_cvt_f32_f16_e32 v12, v10
	s_waitcnt lgkmcnt(0)
	v_ashrrev_i32_e32 v10, s16, v116
	v_and_b32_e32 v199, 0x3030303, v10
	v_ashrrev_i32_e32 v10, s16, v117
	ds_read2_b32 v[116:117], v8 offset0:2 offset1:3
	v_and_b32_e32 v196, 0x3030303, v10
	v_dot4c_i32_i8_e32 v212, v199, v4
	v_dot4c_i32_i8_e32 v211, v203, v7
	;; [unrolled: 1-line block ×3, first 2 shown]
	s_waitcnt lgkmcnt(0)
	v_ashrrev_i32_e32 v10, s16, v116
	v_and_b32_e32 v197, 0x3030303, v10
	v_ashrrev_i32_e32 v10, s16, v117
	ds_read2_b32 v[116:117], v8 offset0:4 offset1:5
	v_and_b32_e32 v198, 0x3030303, v10
	v_dot4c_i32_i8_e32 v211, v202, v1
	v_dot4c_i32_i8_e32 v212, v196, v5
	;; [unrolled: 1-line block ×3, first 2 shown]
	s_waitcnt lgkmcnt(0)
	v_ashrrev_i32_e32 v10, s16, v116
	v_and_b32_e32 v189, 0x3030303, v10
	v_ashrrev_i32_e32 v10, s16, v117
	ds_read2_b32 v[116:117], v8 offset0:6 offset1:7
	v_and_b32_e32 v190, 0x3030303, v10
	v_add_u32_e32 v10, s20, v136
	v_dot4c_i32_i8_e32 v212, v197, v6
	v_dot4c_i32_i8_e32 v115, v184, v7
	s_waitcnt lgkmcnt(0)
	v_ashrrev_i32_e32 v8, s16, v116
	v_and_b32_e32 v191, 0x3030303, v8
	v_ashrrev_i32_e32 v8, s16, v117
	v_and_b32_e32 v192, 0x3030303, v8
	v_add3_u32 v8, v155, s18, v104
	ds_read_b32 v10, v10
	ds_read_u16 v8, v8
	v_dot4c_i32_i8_e32 v211, v202, v3
	v_dot4c_i32_i8_e32 v212, v198, v7
	v_mov_b32_e32 v220, 0
	s_waitcnt lgkmcnt(1)
	v_cvt_f32_f16_e32 v108, v10
	s_waitcnt lgkmcnt(0)
	v_bfe_u32 v15, v8, 4, 4
	v_mul_lo_u32 v201, v15, s1
	v_and_b32_e32 v207, 15, v8
	v_lshrrev_b32_sdwa v15, v167, v8 dst_sel:DWORD dst_unused:UNUSED_PAD src0_sel:DWORD src1_sel:BYTE_1
	v_and_b32_sdwa v210, v8, v168 dst_sel:DWORD dst_unused:UNUSED_PAD src0_sel:BYTE_1 src1_sel:DWORD
	v_add_u32_e32 v8, s19, v137
	ds_read2_b32 v[118:119], v8 offset1:1
	ds_read2_b32 v[120:121], v8 offset0:6 offset1:7
	v_cvt_f32_f16_sdwa v110, v10 dst_sel:DWORD dst_unused:UNUSED_PAD src0_sel:WORD_1
	v_mul_lo_u32 v209, v15, s1
	v_mov_b32_e32 v15, 0
	s_waitcnt lgkmcnt(1)
	v_ashrrev_i32_e32 v10, s16, v118
	v_and_b32_e32 v208, 0x3030303, v10
	v_ashrrev_i32_e32 v10, s16, v119
	ds_read2_b32 v[118:119], v8 offset0:2 offset1:3
	v_and_b32_e32 v122, 0x3030303, v10
	v_dot4c_i32_i8_e32 v15, v189, v0
	v_dot4c_i32_i8_e32 v15, v190, v1
	;; [unrolled: 1-line block ×3, first 2 shown]
	s_waitcnt lgkmcnt(0)
	v_ashrrev_i32_e32 v10, s16, v118
	v_and_b32_e32 v123, 0x3030303, v10
	v_ashrrev_i32_e32 v10, s16, v119
	ds_read2_b32 v[118:119], v8 offset0:4 offset1:5
	v_dot4c_i32_i8_e32 v15, v192, v3
	v_and_b32_e32 v169, 0x3030303, v10
	v_ashrrev_i32_e32 v8, s16, v120
	v_dot4c_i32_i8_e32 v213, v201, v4
	s_waitcnt lgkmcnt(0)
	v_ashrrev_i32_e32 v10, s16, v118
	v_mul_lo_u32 v116, v210, v15
	v_and_b32_e32 v15, 0x3030303, v10
	v_ashrrev_i32_e32 v10, s16, v119
	v_and_b32_e32 v119, 0x3030303, v8
	v_ashrrev_i32_e32 v8, s16, v121
	v_and_b32_e32 v117, 0x3030303, v10
	v_and_b32_e32 v121, 0x3030303, v8
	v_add3_u32 v8, v154, s18, v104
	v_add_u32_e32 v10, s20, v138
	ds_read_b32 v10, v10
	ds_read_u16 v8, v8
	v_add3_u32 v104, v153, s18, v104
	v_dot4c_i32_i8_e32 v213, v201, v5
	v_dot4c_i32_i8_e32 v214, v208, v4
	v_dot4c_i32_i8_e32 v213, v201, v6
	s_waitcnt lgkmcnt(0)
	v_bfe_u32 v106, v8, 4, 4
	v_mul_lo_u32 v174, v106, s1
	v_lshrrev_b32_sdwa v106, v167, v8 dst_sel:DWORD dst_unused:UNUSED_PAD src0_sel:DWORD src1_sel:BYTE_1
	v_mul_lo_u32 v193, v106, s1
	v_mov_b32_e32 v106, 0
	v_dot4c_i32_i8_e32 v106, v15, v0
	v_dot4c_i32_i8_e32 v106, v117, v1
	;; [unrolled: 1-line block ×4, first 2 shown]
	v_and_b32_sdwa v195, v8, v168 dst_sel:DWORD dst_unused:UNUSED_PAD src0_sel:BYTE_1 src1_sel:DWORD
	v_dot4c_i32_i8_e32 v215, v174, v4
	v_dot4c_i32_i8_e32 v215, v174, v5
	v_mul_lo_u32 v118, v195, v106
	v_add_u32_e32 v106, s19, v139
	ds_read2_b32 v[170:171], v106 offset1:1
	ds_read2_b32 v[172:173], v106 offset0:6 offset1:7
	v_dot4c_i32_i8_e32 v215, v174, v6
	v_dot4c_i32_i8_e32 v213, v201, v7
	;; [unrolled: 1-line block ×3, first 2 shown]
	s_waitcnt lgkmcnt(1)
	v_ashrrev_i32_e32 v120, s16, v170
	v_and_b32_e32 v187, 0x3030303, v120
	v_ashrrev_i32_e32 v120, s16, v171
	ds_read2_b32 v[170:171], v106 offset0:2 offset1:3
	v_and_b32_e32 v179, 0x3030303, v120
	v_dot4c_i32_i8_e32 v218, v187, v4
	v_dot4c_i32_i8_e32 v213, v209, v0
	;; [unrolled: 1-line block ×3, first 2 shown]
	s_waitcnt lgkmcnt(0)
	v_ashrrev_i32_e32 v120, s16, v170
	v_and_b32_e32 v180, 0x3030303, v120
	v_ashrrev_i32_e32 v120, s16, v171
	ds_read2_b32 v[170:171], v106 offset0:4 offset1:5
	v_ashrrev_i32_e32 v106, s16, v172
	v_and_b32_e32 v172, 0x3030303, v106
	v_ashrrev_i32_e32 v106, s16, v173
	v_and_b32_e32 v173, 0x3030303, v106
	v_add_u32_e32 v106, s20, v140
	ds_read_b32 v106, v106
	ds_read_u16 v104, v104
	v_and_b32_e32 v181, 0x3030303, v120
	s_waitcnt lgkmcnt(2)
	v_ashrrev_i32_e32 v120, s16, v170
	v_and_b32_e32 v170, 0x3030303, v120
	v_ashrrev_i32_e32 v120, s16, v171
	v_and_b32_e32 v171, 0x3030303, v120
	s_waitcnt lgkmcnt(0)
	v_bfe_u32 v120, v104, 4, 4
	v_mul_lo_u32 v188, v120, s1
	v_dot4c_i32_i8_e32 v219, v188, v4
	v_dot4c_i32_i8_e32 v219, v188, v5
	v_lshrrev_b32_sdwa v4, v167, v104 dst_sel:DWORD dst_unused:UNUSED_PAD src0_sel:DWORD src1_sel:BYTE_1
	v_dot4c_i32_i8_e32 v219, v188, v6
	v_mul_lo_u32 v205, v4, s1
	v_mov_b32_e32 v4, 0
	v_dot4c_i32_i8_e32 v219, v188, v7
	v_dot4c_i32_i8_e32 v4, v170, v0
	;; [unrolled: 1-line block ×16, first 2 shown]
	v_and_b32_sdwa v206, v104, v168 dst_sel:DWORD dst_unused:UNUSED_PAD src0_sel:BYTE_1 src1_sel:DWORD
	v_dot4c_i32_i8_e32 v213, v209, v3
	v_dot4c_i32_i8_e32 v214, v169, v7
	;; [unrolled: 1-line block ×5, first 2 shown]
	v_mul_lo_u32 v120, v206, v4
	ds_read_b128 v[4:7], v11 offset:1024
	ds_read_b128 v[0:3], v11 offset:1040
	v_mov_b32_e32 v216, 0
	v_mov_b32_e32 v217, 0
	v_mad_u64_u32 v[114:115], s[18:19], v194, v115, v[114:115]
	s_waitcnt lgkmcnt(1)
	v_dot4c_i32_i8_e32 v220, v203, v4
	v_dot4c_i32_i8_e32 v220, v203, v5
	;; [unrolled: 1-line block ×6, first 2 shown]
	s_waitcnt lgkmcnt(0)
	v_dot4c_i32_i8_e32 v217, v175, v0
	v_dot4c_i32_i8_e32 v216, v183, v6
	;; [unrolled: 1-line block ×8, first 2 shown]
	v_mul_lo_u32 v216, v216, v194
	v_dot4c_i32_i8_e32 v217, v178, v3
	v_dot4c_i32_i8_e32 v220, v202, v3
	v_cvt_f32_i32_e32 v115, v114
	v_cvt_f32_i32_e32 v213, v213
	v_mad_u64_u32 v[216:217], s[18:19], v217, v204, v[216:217]
	v_cvt_f32_i32_e32 v114, v216
	v_cvt_f32_i32_e32 v217, v211
	;; [unrolled: 1-line block ×3, first 2 shown]
	v_mov_b32_e32 v211, 0
	v_dot4c_i32_i8_e32 v211, v201, v4
	v_dot4c_i32_i8_e32 v211, v201, v5
	v_pk_mul_f32 v[216:217], v[14:15], v[216:217] op_sel_hi:[0,1]
	v_pk_fma_f32 v[216:217], v[12:13], v[114:115], v[216:217] op_sel_hi:[0,1,1] neg_lo:[0,0,1] neg_hi:[0,0,1]
	v_mov_b32_e32 v115, v112
	v_mov_b32_e32 v112, 0
	v_dot4c_i32_i8_e32 v211, v201, v6
	v_mov_b32_e32 v114, v113
	v_dot4c_i32_i8_e32 v112, v199, v4
	v_dot4c_i32_i8_e32 v211, v201, v7
	v_mov_b32_e32 v113, 0
	v_dot4c_i32_i8_e32 v112, v196, v5
	v_dot4c_i32_i8_e32 v113, v189, v0
	;; [unrolled: 1-line block ×10, first 2 shown]
	v_mul_lo_u32 v112, v112, v207
	v_dot4c_i32_i8_e32 v211, v209, v3
	v_pk_fma_f32 v[62:63], v[114:115], v[216:217], v[62:63]
	v_mad_u64_u32 v[112:113], s[18:19], v113, v210, v[112:113]
	v_mad_u64_u32 v[216:217], s[18:19], v207, v212, v[116:117]
	v_cvt_f32_i32_e32 v212, v211
	v_cvt_f32_i32_e32 v113, v216
	;; [unrolled: 1-line block ×3, first 2 shown]
	v_mov_b32_e32 v116, 0
	v_pk_mul_f32 v[212:213], v[110:111], v[212:213] op_sel_hi:[0,1]
	v_dot4c_i32_i8_e32 v116, v174, v4
	v_pk_fma_f32 v[112:113], v[108:109], v[112:113], v[212:213] op_sel_hi:[0,1,1] neg_lo:[0,0,1] neg_hi:[0,0,1]
	v_pk_fma_f32 v[72:73], v[114:115], v[112:113], v[72:73]
	v_mov_b32_e32 v112, 0
	v_dot4c_i32_i8_e32 v116, v174, v5
	v_dot4c_i32_i8_e32 v112, v208, v4
	;; [unrolled: 1-line block ×3, first 2 shown]
	v_mov_b32_e32 v113, 0
	v_dot4c_i32_i8_e32 v112, v122, v5
	v_dot4c_i32_i8_e32 v116, v174, v7
	;; [unrolled: 1-line block ×6, first 2 shown]
	v_and_b32_e32 v186, 15, v8
	v_dot4c_i32_i8_e32 v112, v169, v7
	v_dot4c_i32_i8_e32 v116, v193, v1
	;; [unrolled: 1-line block ×4, first 2 shown]
	v_mul_lo_u32 v112, v112, v186
	v_dot4c_i32_i8_e32 v113, v121, v3
	v_dot4c_i32_i8_e32 v116, v193, v3
	v_mad_u64_u32 v[212:213], s[18:19], v186, v214, v[118:119]
	s_nop 0
	v_mad_u64_u32 v[112:113], s[18:19], v113, v195, v[112:113]
	v_cvt_f32_f16_e32 v8, v10
	v_cvt_f32_f16_sdwa v10, v10 dst_sel:DWORD dst_unused:UNUSED_PAD src0_sel:WORD_1
	v_cvt_f32_i32_e32 v113, v212
	v_cvt_f32_i32_e32 v213, v215
	;; [unrolled: 1-line block ×4, first 2 shown]
	v_and_b32_e32 v200, 15, v104
	v_cvt_f32_f16_e32 v104, v106
	v_pk_mul_f32 v[212:213], v[10:11], v[212:213] op_sel_hi:[0,1]
	v_pk_fma_f32 v[112:113], v[8:9], v[112:113], v[212:213] op_sel_hi:[0,1,1] neg_lo:[0,0,1] neg_hi:[0,0,1]
	v_pk_fma_f32 v[50:51], v[114:115], v[112:113], v[50:51]
	v_mov_b32_e32 v113, 0
	v_mov_b32_e32 v112, 0
	v_dot4c_i32_i8_e32 v113, v188, v4
	v_dot4c_i32_i8_e32 v112, v187, v4
	;; [unrolled: 1-line block ×5, first 2 shown]
	v_mov_b32_e32 v5, 0
	v_dot4c_i32_i8_e32 v113, v188, v7
	v_dot4c_i32_i8_e32 v5, v170, v0
	;; [unrolled: 1-line block ×9, first 2 shown]
	v_mul_lo_u32 v4, v112, v200
	v_dot4c_i32_i8_e32 v5, v173, v3
	v_dot4c_i32_i8_e32 v113, v205, v3
	v_mad_u64_u32 v[2:3], s[18:19], v200, v218, v[120:121]
	s_nop 0
	v_mad_u64_u32 v[0:1], s[18:19], v5, v206, v[4:5]
	v_cvt_f32_f16_sdwa v106, v106 dst_sel:DWORD dst_unused:UNUSED_PAD src0_sel:WORD_1
	v_cvt_f32_i32_e32 v1, v2
	v_cvt_f32_i32_e32 v3, v219
	;; [unrolled: 1-line block ×4, first 2 shown]
	v_mov_b32_e32 v211, 0
	v_mov_b32_e32 v217, 0
	v_pk_mul_f32 v[2:3], v[106:107], v[2:3] op_sel_hi:[0,1]
	v_pk_fma_f32 v[0:1], v[104:105], v[0:1], v[2:3] op_sel_hi:[0,1,1] neg_lo:[0,0,1] neg_hi:[0,0,1]
	v_pk_fma_f32 v[40:41], v[114:115], v[0:1], v[40:41]
	ds_read2_b32 v[112:113], v13 offset0:64 offset1:96
	ds_read_b128 v[0:3], v11 offset:2048
	ds_read_b128 v[4:7], v11 offset:2064
	v_mov_b32_e32 v114, 0
	v_mov_b32_e32 v219, 0
	;; [unrolled: 1-line block ×3, first 2 shown]
	s_waitcnt lgkmcnt(1)
	v_dot4c_i32_i8_e32 v211, v203, v0
	s_waitcnt lgkmcnt(0)
	v_dot4c_i32_i8_e32 v114, v175, v4
	v_dot4c_i32_i8_e32 v114, v176, v5
	;; [unrolled: 1-line block ×7, first 2 shown]
	v_mul_lo_u32 v120, v114, v204
	v_mov_b32_e32 v114, 0
	v_dot4c_i32_i8_e32 v114, v189, v4
	v_dot4c_i32_i8_e32 v114, v190, v5
	;; [unrolled: 1-line block ×3, first 2 shown]
	v_mov_b32_e32 v115, 0
	v_dot4c_i32_i8_e32 v211, v203, v1
	v_mov_b32_e32 v216, 0
	v_dot4c_i32_i8_e32 v217, v201, v1
	v_dot4c_i32_i8_e32 v114, v192, v7
	v_mov_b32_e32 v218, 0
	v_dot4c_i32_i8_e32 v219, v174, v1
	v_mov_b32_e32 v220, 0
	v_dot4c_i32_i8_e32 v221, v188, v1
	v_dot4c_i32_i8_e32 v115, v185, v0
	;; [unrolled: 1-line block ×5, first 2 shown]
	v_mul_lo_u32 v118, v114, v210
	v_dot4c_i32_i8_e32 v218, v208, v0
	v_dot4c_i32_i8_e32 v219, v174, v2
	v_mov_b32_e32 v114, 0
	v_dot4c_i32_i8_e32 v220, v187, v0
	v_dot4c_i32_i8_e32 v221, v188, v2
	v_mov_b32_e32 v0, 0
	v_dot4c_i32_i8_e32 v211, v203, v3
	v_dot4c_i32_i8_e32 v217, v201, v3
	;; [unrolled: 1-line block ×38, first 2 shown]
	v_mul_lo_u32 v116, v114, v195
	v_dot4c_i32_i8_e32 v220, v181, v3
	v_dot4c_i32_i8_e32 v221, v205, v7
	v_mul_lo_u32 v114, v0, v206
	ds_read_b128 v[4:7], v11 offset:3072
	ds_read_b128 v[0:3], v11 offset:3088
	v_mov_b32_e32 v222, 0
	v_mov_b32_e32 v212, 0
	;; [unrolled: 1-line block ×3, first 2 shown]
	s_waitcnt lgkmcnt(1)
	v_dot4c_i32_i8_e32 v222, v203, v4
	v_dot4c_i32_i8_e32 v212, v185, v4
	v_dot4c_i32_i8_e32 v222, v203, v5
	v_dot4c_i32_i8_e32 v212, v182, v5
	v_dot4c_i32_i8_e32 v222, v203, v6
	s_waitcnt lgkmcnt(0)
	v_dot4c_i32_i8_e32 v213, v175, v0
	v_dot4c_i32_i8_e32 v212, v183, v6
	v_dot4c_i32_i8_e32 v222, v203, v7
	v_dot4c_i32_i8_e32 v213, v176, v1
	v_mad_u64_u32 v[214:215], s[18:19], v115, v194, v[120:121]
	v_mov_b32_e32 v115, 0
	v_dot4c_i32_i8_e32 v212, v184, v7
	v_dot4c_i32_i8_e32 v222, v202, v0
	;; [unrolled: 1-line block ×4, first 2 shown]
	v_mul_lo_u32 v212, v212, v194
	v_dot4c_i32_i8_e32 v222, v202, v1
	v_dot4c_i32_i8_e32 v213, v178, v3
	v_dot4c_i32_i8_e32 v115, v196, v5
	v_dot4c_i32_i8_e32 v222, v202, v2
	v_dot4c_i32_i8_e32 v115, v197, v6
	v_mad_u64_u32 v[212:213], s[18:19], v213, v204, v[212:213]
	v_dot4c_i32_i8_e32 v222, v202, v3
	v_cvt_f32_i32_e32 v213, v212
	v_cvt_f32_i32_e32 v212, v214
	;; [unrolled: 1-line block ×3, first 2 shown]
	v_mov_b32_e32 v211, 0
	v_dot4c_i32_i8_e32 v115, v198, v7
	v_cvt_f32_i32_e32 v215, v222
	v_dot4c_i32_i8_e32 v211, v201, v4
	v_dot4c_i32_i8_e32 v211, v201, v5
	v_mul_lo_u32 v120, v115, v207
	v_mov_b32_e32 v115, 0
	v_dot4c_i32_i8_e32 v115, v189, v0
	v_dot4c_i32_i8_e32 v211, v201, v6
	;; [unrolled: 1-line block ×5, first 2 shown]
	v_pk_mul_f32 v[214:215], v[14:15], v[214:215] op_sel_hi:[0,1]
	v_dot4c_i32_i8_e32 v211, v209, v0
	v_dot4c_i32_i8_e32 v115, v192, v3
	v_pk_fma_f32 v[212:213], v[12:13], v[212:213], v[214:215] op_sel_hi:[0,1,1] neg_lo:[0,0,1] neg_hi:[0,0,1]
	v_dot4c_i32_i8_e32 v211, v209, v1
	v_dot4c_i32_i8_e32 v211, v209, v2
	v_mad_u64_u32 v[214:215], s[18:19], v115, v210, v[120:121]
	v_mov_b32_e32 v115, 0
	v_dot4c_i32_i8_e32 v115, v208, v4
	v_pk_fma_f32 v[38:39], v[112:113], v[212:213], v[38:39]
	v_dot4c_i32_i8_e32 v211, v209, v3
	v_mad_u64_u32 v[212:213], s[18:19], v216, v207, v[118:119]
	v_dot4c_i32_i8_e32 v115, v122, v5
	v_cvt_f32_i32_e32 v213, v214
	v_cvt_f32_i32_e32 v215, v211
	;; [unrolled: 1-line block ×3, first 2 shown]
	v_dot4c_i32_i8_e32 v115, v123, v6
	v_cvt_f32_i32_e32 v212, v212
	v_dot4c_i32_i8_e32 v115, v169, v7
	v_pk_mul_f32 v[214:215], v[110:111], v[214:215] op_sel_hi:[0,1]
	v_mov_b32_e32 v120, 0
	v_pk_fma_f32 v[212:213], v[108:109], v[212:213], v[214:215] op_sel_hi:[0,1,1] neg_lo:[0,0,1] neg_hi:[0,0,1]
	v_mul_lo_u32 v118, v115, v186
	v_mov_b32_e32 v115, 0
	v_dot4c_i32_i8_e32 v115, v15, v0
	v_dot4c_i32_i8_e32 v115, v117, v1
	;; [unrolled: 1-line block ×3, first 2 shown]
	v_pk_fma_f32 v[36:37], v[112:113], v[212:213], v[36:37]
	v_dot4c_i32_i8_e32 v115, v121, v3
	v_mad_u64_u32 v[212:213], s[18:19], v218, v186, v[116:117]
	v_mov_b32_e32 v116, 0
	v_dot4c_i32_i8_e32 v120, v174, v4
	v_mad_u64_u32 v[214:215], s[18:19], v115, v195, v[118:119]
	v_mov_b32_e32 v115, 0
	v_dot4c_i32_i8_e32 v116, v188, v4
	v_dot4c_i32_i8_e32 v120, v174, v5
	v_dot4c_i32_i8_e32 v115, v187, v4
	v_dot4c_i32_i8_e32 v116, v188, v5
	v_dot4c_i32_i8_e32 v120, v174, v6
	v_dot4c_i32_i8_e32 v115, v179, v5
	v_dot4c_i32_i8_e32 v116, v188, v6
	v_mov_b32_e32 v5, 0
	v_dot4c_i32_i8_e32 v120, v174, v7
	v_dot4c_i32_i8_e32 v116, v188, v7
	;; [unrolled: 1-line block ×12, first 2 shown]
	v_mul_lo_u32 v4, v115, v200
	v_dot4c_i32_i8_e32 v116, v205, v2
	v_dot4c_i32_i8_e32 v5, v173, v3
	;; [unrolled: 1-line block ×4, first 2 shown]
	v_mad_u64_u32 v[0:1], s[18:19], v220, v200, v[114:115]
	v_mad_u64_u32 v[2:3], s[18:19], v5, v206, v[4:5]
	v_cvt_f32_i32_e32 v213, v214
	v_cvt_f32_i32_e32 v215, v120
	;; [unrolled: 1-line block ×8, first 2 shown]
	v_pk_mul_f32 v[214:215], v[10:11], v[214:215] op_sel_hi:[0,1]
	v_pk_mul_f32 v[2:3], v[106:107], v[2:3] op_sel_hi:[0,1]
	v_pk_fma_f32 v[212:213], v[8:9], v[212:213], v[214:215] op_sel_hi:[0,1,1] neg_lo:[0,0,1] neg_hi:[0,0,1]
	v_pk_fma_f32 v[0:1], v[104:105], v[0:1], v[2:3] op_sel_hi:[0,1,1] neg_lo:[0,0,1] neg_hi:[0,0,1]
	v_pk_fma_f32 v[34:35], v[112:113], v[212:213], v[34:35]
	v_pk_fma_f32 v[32:33], v[112:113], v[0:1], v[32:33]
	ds_read2_b32 v[112:113], v13 offset0:128 offset1:160
	ds_read_b128 v[0:3], v11 offset:4096
	ds_read_b128 v[4:7], v11 offset:4112
	v_mov_b32_e32 v114, 0
	v_mov_b32_e32 v211, 0
	v_mov_b32_e32 v217, 0
	v_mov_b32_e32 v219, 0
	s_waitcnt lgkmcnt(0)
	v_dot4c_i32_i8_e32 v114, v175, v4
	v_dot4c_i32_i8_e32 v114, v176, v5
	;; [unrolled: 1-line block ×4, first 2 shown]
	v_mov_b32_e32 v221, 0
	v_dot4c_i32_i8_e32 v211, v203, v0
	v_dot4c_i32_i8_e32 v217, v201, v0
	v_mul_lo_u32 v120, v114, v204
	v_mov_b32_e32 v114, 0
	v_dot4c_i32_i8_e32 v114, v189, v4
	v_dot4c_i32_i8_e32 v114, v190, v5
	v_dot4c_i32_i8_e32 v114, v191, v6
	v_dot4c_i32_i8_e32 v219, v174, v0
	v_dot4c_i32_i8_e32 v221, v188, v0
	v_mov_b32_e32 v115, 0
	v_dot4c_i32_i8_e32 v211, v203, v1
	v_mov_b32_e32 v216, 0
	v_dot4c_i32_i8_e32 v217, v201, v1
	v_dot4c_i32_i8_e32 v114, v192, v7
	v_mov_b32_e32 v218, 0
	v_dot4c_i32_i8_e32 v219, v174, v1
	v_mov_b32_e32 v220, 0
	v_dot4c_i32_i8_e32 v221, v188, v1
	v_dot4c_i32_i8_e32 v115, v185, v0
	;; [unrolled: 1-line block ×5, first 2 shown]
	v_mul_lo_u32 v118, v114, v210
	v_dot4c_i32_i8_e32 v218, v208, v0
	v_dot4c_i32_i8_e32 v219, v174, v2
	v_mov_b32_e32 v114, 0
	v_dot4c_i32_i8_e32 v220, v187, v0
	v_dot4c_i32_i8_e32 v221, v188, v2
	v_mov_b32_e32 v0, 0
	v_dot4c_i32_i8_e32 v211, v203, v3
	v_dot4c_i32_i8_e32 v217, v201, v3
	;; [unrolled: 1-line block ×38, first 2 shown]
	v_mul_lo_u32 v116, v114, v195
	v_dot4c_i32_i8_e32 v220, v181, v3
	v_dot4c_i32_i8_e32 v221, v205, v7
	v_mul_lo_u32 v114, v0, v206
	ds_read_b128 v[4:7], v11 offset:5120
	ds_read_b128 v[0:3], v11 offset:5136
	v_mov_b32_e32 v222, 0
	v_mov_b32_e32 v212, 0
	;; [unrolled: 1-line block ×3, first 2 shown]
	s_waitcnt lgkmcnt(1)
	v_dot4c_i32_i8_e32 v222, v203, v4
	v_dot4c_i32_i8_e32 v212, v185, v4
	;; [unrolled: 1-line block ×5, first 2 shown]
	s_waitcnt lgkmcnt(0)
	v_dot4c_i32_i8_e32 v213, v175, v0
	v_dot4c_i32_i8_e32 v212, v183, v6
	;; [unrolled: 1-line block ×4, first 2 shown]
	v_mad_u64_u32 v[214:215], s[18:19], v115, v194, v[120:121]
	v_mov_b32_e32 v115, 0
	v_dot4c_i32_i8_e32 v212, v184, v7
	v_dot4c_i32_i8_e32 v222, v202, v0
	;; [unrolled: 1-line block ×4, first 2 shown]
	v_mul_lo_u32 v212, v212, v194
	v_dot4c_i32_i8_e32 v222, v202, v1
	v_dot4c_i32_i8_e32 v213, v178, v3
	;; [unrolled: 1-line block ×5, first 2 shown]
	v_mad_u64_u32 v[212:213], s[18:19], v213, v204, v[212:213]
	v_dot4c_i32_i8_e32 v222, v202, v3
	v_cvt_f32_i32_e32 v213, v212
	v_cvt_f32_i32_e32 v212, v214
	;; [unrolled: 1-line block ×3, first 2 shown]
	v_mov_b32_e32 v211, 0
	v_dot4c_i32_i8_e32 v115, v198, v7
	v_cvt_f32_i32_e32 v215, v222
	v_dot4c_i32_i8_e32 v211, v201, v4
	v_dot4c_i32_i8_e32 v211, v201, v5
	v_mul_lo_u32 v120, v115, v207
	v_mov_b32_e32 v115, 0
	v_dot4c_i32_i8_e32 v115, v189, v0
	v_dot4c_i32_i8_e32 v211, v201, v6
	;; [unrolled: 1-line block ×5, first 2 shown]
	v_pk_mul_f32 v[214:215], v[14:15], v[214:215] op_sel_hi:[0,1]
	v_dot4c_i32_i8_e32 v211, v209, v0
	v_dot4c_i32_i8_e32 v115, v192, v3
	v_pk_fma_f32 v[212:213], v[12:13], v[212:213], v[214:215] op_sel_hi:[0,1,1] neg_lo:[0,0,1] neg_hi:[0,0,1]
	v_dot4c_i32_i8_e32 v211, v209, v1
	v_dot4c_i32_i8_e32 v211, v209, v2
	v_mad_u64_u32 v[214:215], s[18:19], v115, v210, v[120:121]
	v_mov_b32_e32 v115, 0
	v_dot4c_i32_i8_e32 v115, v208, v4
	v_pk_fma_f32 v[30:31], v[112:113], v[212:213], v[30:31]
	v_dot4c_i32_i8_e32 v211, v209, v3
	v_mad_u64_u32 v[212:213], s[18:19], v216, v207, v[118:119]
	v_dot4c_i32_i8_e32 v115, v122, v5
	v_cvt_f32_i32_e32 v213, v214
	v_cvt_f32_i32_e32 v215, v211
	;; [unrolled: 1-line block ×3, first 2 shown]
	v_dot4c_i32_i8_e32 v115, v123, v6
	v_cvt_f32_i32_e32 v212, v212
	v_dot4c_i32_i8_e32 v115, v169, v7
	v_pk_mul_f32 v[214:215], v[110:111], v[214:215] op_sel_hi:[0,1]
	v_mov_b32_e32 v120, 0
	v_pk_fma_f32 v[212:213], v[108:109], v[212:213], v[214:215] op_sel_hi:[0,1,1] neg_lo:[0,0,1] neg_hi:[0,0,1]
	v_mul_lo_u32 v118, v115, v186
	v_mov_b32_e32 v115, 0
	v_dot4c_i32_i8_e32 v115, v15, v0
	v_dot4c_i32_i8_e32 v115, v117, v1
	;; [unrolled: 1-line block ×3, first 2 shown]
	v_pk_fma_f32 v[28:29], v[112:113], v[212:213], v[28:29]
	v_dot4c_i32_i8_e32 v115, v121, v3
	v_mad_u64_u32 v[212:213], s[18:19], v218, v186, v[116:117]
	v_mov_b32_e32 v116, 0
	v_dot4c_i32_i8_e32 v120, v174, v4
	v_mad_u64_u32 v[214:215], s[18:19], v115, v195, v[118:119]
	v_mov_b32_e32 v115, 0
	v_dot4c_i32_i8_e32 v116, v188, v4
	v_dot4c_i32_i8_e32 v120, v174, v5
	;; [unrolled: 1-line block ×7, first 2 shown]
	v_mov_b32_e32 v5, 0
	v_dot4c_i32_i8_e32 v120, v174, v7
	v_dot4c_i32_i8_e32 v116, v188, v7
	;; [unrolled: 1-line block ×12, first 2 shown]
	v_mul_lo_u32 v4, v115, v200
	v_dot4c_i32_i8_e32 v116, v205, v2
	v_dot4c_i32_i8_e32 v5, v173, v3
	;; [unrolled: 1-line block ×4, first 2 shown]
	v_mad_u64_u32 v[0:1], s[18:19], v220, v200, v[114:115]
	v_mad_u64_u32 v[2:3], s[18:19], v5, v206, v[4:5]
	v_cvt_f32_i32_e32 v213, v214
	v_cvt_f32_i32_e32 v215, v120
	;; [unrolled: 1-line block ×8, first 2 shown]
	v_pk_mul_f32 v[214:215], v[10:11], v[214:215] op_sel_hi:[0,1]
	v_pk_mul_f32 v[2:3], v[106:107], v[2:3] op_sel_hi:[0,1]
	v_pk_fma_f32 v[212:213], v[8:9], v[212:213], v[214:215] op_sel_hi:[0,1,1] neg_lo:[0,0,1] neg_hi:[0,0,1]
	v_pk_fma_f32 v[0:1], v[104:105], v[0:1], v[2:3] op_sel_hi:[0,1,1] neg_lo:[0,0,1] neg_hi:[0,0,1]
	v_pk_fma_f32 v[26:27], v[112:113], v[212:213], v[26:27]
	v_pk_fma_f32 v[24:25], v[112:113], v[0:1], v[24:25]
	ds_read2_b32 v[112:113], v13 offset0:192 offset1:224
	ds_read_b128 v[0:3], v11 offset:6144
	ds_read_b128 v[4:7], v11 offset:6160
	v_mov_b32_e32 v114, 0
	v_mov_b32_e32 v215, 0
	;; [unrolled: 1-line block ×4, first 2 shown]
	s_waitcnt lgkmcnt(0)
	v_dot4c_i32_i8_e32 v114, v175, v4
	v_dot4c_i32_i8_e32 v114, v176, v5
	;; [unrolled: 1-line block ×4, first 2 shown]
	v_mov_b32_e32 v115, 0
	v_dot4c_i32_i8_e32 v215, v203, v0
	v_dot4c_i32_i8_e32 v217, v201, v0
	v_mul_lo_u32 v120, v114, v204
	v_mov_b32_e32 v114, 0
	v_dot4c_i32_i8_e32 v114, v189, v4
	v_dot4c_i32_i8_e32 v114, v190, v5
	;; [unrolled: 1-line block ×5, first 2 shown]
	v_mov_b32_e32 v214, 0
	v_dot4c_i32_i8_e32 v215, v203, v1
	v_mov_b32_e32 v216, 0
	v_dot4c_i32_i8_e32 v217, v201, v1
	v_dot4c_i32_i8_e32 v114, v192, v7
	v_mov_b32_e32 v213, 0
	v_dot4c_i32_i8_e32 v212, v174, v1
	v_mov_b32_e32 v211, 0
	v_dot4c_i32_i8_e32 v115, v188, v1
	v_dot4c_i32_i8_e32 v214, v185, v0
	;; [unrolled: 1-line block ×5, first 2 shown]
	v_mul_lo_u32 v118, v114, v210
	v_dot4c_i32_i8_e32 v213, v208, v0
	v_dot4c_i32_i8_e32 v212, v174, v2
	v_mov_b32_e32 v114, 0
	v_dot4c_i32_i8_e32 v211, v187, v0
	v_dot4c_i32_i8_e32 v115, v188, v2
	v_mov_b32_e32 v0, 0
	v_dot4c_i32_i8_e32 v215, v203, v3
	v_dot4c_i32_i8_e32 v217, v201, v3
	;; [unrolled: 1-line block ×38, first 2 shown]
	v_mul_lo_u32 v116, v114, v195
	v_dot4c_i32_i8_e32 v211, v181, v3
	v_dot4c_i32_i8_e32 v115, v205, v7
	v_mul_lo_u32 v114, v0, v206
	ds_read_b128 v[4:7], v11 offset:7168
	ds_read_b128 v[0:3], v11 offset:7184
	v_mov_b32_e32 v218, 0
	s_add_i32 s15, s15, 2
	s_add_i32 s16, s16, 2
	s_waitcnt lgkmcnt(1)
	v_dot4c_i32_i8_e32 v218, v185, v4
	v_mov_b32_e32 v185, 0
	v_dot4c_i32_i8_e32 v185, v203, v4
	v_dot4c_i32_i8_e32 v218, v182, v5
	;; [unrolled: 1-line block ×5, first 2 shown]
	v_mov_b32_e32 v183, 0
	v_dot4c_i32_i8_e32 v185, v203, v7
	s_waitcnt lgkmcnt(0)
	v_dot4c_i32_i8_e32 v183, v175, v0
	v_dot4c_i32_i8_e32 v185, v202, v0
	;; [unrolled: 1-line block ×7, first 2 shown]
	v_mul_lo_u32 v182, v218, v194
	v_dot4c_i32_i8_e32 v183, v178, v3
	v_dot4c_i32_i8_e32 v185, v202, v3
	v_mad_u64_u32 v[176:177], s[18:19], v214, v194, v[120:121]
	s_nop 0
	v_mad_u64_u32 v[182:183], s[18:19], v183, v204, v[182:183]
	v_cvt_f32_i32_e32 v177, v182
	v_cvt_f32_i32_e32 v183, v185
	v_cvt_f32_i32_e32 v182, v215
	v_cvt_f32_i32_e32 v176, v176
	v_mov_b32_e32 v120, 0
	v_dot4c_i32_i8_e32 v120, v189, v0
	v_pk_mul_f32 v[182:183], v[14:15], v[182:183] op_sel_hi:[0,1]
	v_mov_b32_e32 v14, 0
	v_dot4c_i32_i8_e32 v14, v201, v4
	v_pk_fma_f32 v[176:177], v[12:13], v[176:177], v[182:183] op_sel_hi:[0,1,1] neg_lo:[0,0,1] neg_hi:[0,0,1]
	v_mov_b32_e32 v12, 0
	v_dot4c_i32_i8_e32 v14, v201, v5
	v_dot4c_i32_i8_e32 v12, v199, v4
	;; [unrolled: 1-line block ×12, first 2 shown]
	v_mul_lo_u32 v12, v12, v207
	v_dot4c_i32_i8_e32 v120, v192, v3
	v_pk_fma_f32 v[22:23], v[112:113], v[176:177], v[22:23]
	v_dot4c_i32_i8_e32 v14, v209, v3
	v_mad_u64_u32 v[176:177], s[18:19], v216, v207, v[118:119]
	v_mad_u64_u32 v[182:183], s[18:19], v120, v210, v[12:13]
	v_cvt_f32_i32_e32 v177, v182
	v_cvt_f32_i32_e32 v183, v14
	;; [unrolled: 1-line block ×4, first 2 shown]
	v_mov_b32_e32 v12, 0
	v_dot4c_i32_i8_e32 v12, v208, v4
	v_pk_mul_f32 v[182:183], v[110:111], v[182:183] op_sel_hi:[0,1]
	v_pk_fma_f32 v[176:177], v[108:109], v[176:177], v[182:183] op_sel_hi:[0,1,1] neg_lo:[0,0,1] neg_hi:[0,0,1]
	v_mov_b32_e32 v108, 0
	v_dot4c_i32_i8_e32 v108, v174, v4
	v_dot4c_i32_i8_e32 v108, v174, v5
	;; [unrolled: 1-line block ×3, first 2 shown]
	v_mov_b32_e32 v110, 0
	v_dot4c_i32_i8_e32 v12, v122, v5
	v_dot4c_i32_i8_e32 v108, v174, v7
	;; [unrolled: 1-line block ×10, first 2 shown]
	v_mul_lo_u32 v12, v12, v186
	v_dot4c_i32_i8_e32 v110, v121, v3
	v_dot4c_i32_i8_e32 v108, v193, v3
	v_mad_u64_u32 v[14:15], s[18:19], v213, v186, v[116:117]
	s_nop 0
	v_mad_u64_u32 v[116:117], s[18:19], v110, v195, v[12:13]
	v_cvt_f32_i32_e32 v15, v116
	v_cvt_f32_i32_e32 v117, v108
	;; [unrolled: 1-line block ×4, first 2 shown]
	v_pk_fma_f32 v[20:21], v[112:113], v[176:177], v[20:21]
	v_add_u32_e32 v13, 4, v13
	v_pk_mul_f32 v[116:117], v[10:11], v[116:117] op_sel_hi:[0,1]
	v_mov_b32_e32 v10, 0
	v_pk_fma_f32 v[14:15], v[8:9], v[14:15], v[116:117] op_sel_hi:[0,1,1] neg_lo:[0,0,1] neg_hi:[0,0,1]
	v_mov_b32_e32 v8, 0
	v_dot4c_i32_i8_e32 v10, v188, v4
	v_dot4c_i32_i8_e32 v8, v187, v4
	;; [unrolled: 1-line block ×5, first 2 shown]
	v_mov_b32_e32 v5, 0
	v_dot4c_i32_i8_e32 v10, v188, v7
	v_dot4c_i32_i8_e32 v5, v170, v0
	;; [unrolled: 1-line block ×9, first 2 shown]
	v_mul_lo_u32 v4, v8, v200
	v_dot4c_i32_i8_e32 v5, v173, v3
	v_dot4c_i32_i8_e32 v10, v205, v3
	v_mad_u64_u32 v[0:1], s[18:19], v211, v200, v[114:115]
	s_nop 0
	v_mad_u64_u32 v[2:3], s[18:19], v5, v206, v[4:5]
	v_cvt_f32_i32_e32 v1, v2
	v_cvt_f32_i32_e32 v3, v10
	;; [unrolled: 1-line block ×4, first 2 shown]
	v_pk_fma_f32 v[18:19], v[112:113], v[14:15], v[18:19]
	v_add_u32_e32 v11, 32, v11
	v_pk_mul_f32 v[2:3], v[106:107], v[2:3] op_sel_hi:[0,1]
	v_pk_fma_f32 v[0:1], v[104:105], v[0:1], v[2:3] op_sel_hi:[0,1,1] neg_lo:[0,0,1] neg_hi:[0,0,1]
	v_pk_fma_f32 v[16:17], v[112:113], v[0:1], v[16:17]
	s_cmp_lt_u32 s17, 14
	s_cbranch_scc1 .LBB167_9
; %bb.10:                               ;   in Loop: Header=BB167_6 Depth=1
	s_or_b32 s15, s0, 1
	s_cmp_ge_i32 s15, s4
	s_barrier
	s_cbranch_scc1 .LBB167_5
; %bb.11:                               ;   in Loop: Header=BB167_6 Depth=1
	v_add_u32_e32 v8, s14, v142
	v_add_u32_e32 v0, v8, v95
	;; [unrolled: 1-line block ×9, first 2 shown]
	v_mad_i64_i32 v[112:113], s[16:17], v8, 36, v[100:101]
	v_add_u32_e32 v8, 8, v9
	v_mad_i64_i32 v[0:1], s[16:17], v0, 36, v[100:101]
	v_mad_i64_i32 v[2:3], s[16:17], v2, 36, v[100:101]
	;; [unrolled: 1-line block ×4, first 2 shown]
	v_mad_u64_u32 v[114:115], s[16:17], v8, 36, s[2:3]
	v_mad_i64_i32 v[10:11], s[16:17], v10, 36, v[100:101]
	v_mad_i64_i32 v[12:13], s[16:17], v12, 36, v[100:101]
	;; [unrolled: 1-line block ×3, first 2 shown]
	global_load_dword v8, v[114:115], off
	s_nop 0
	global_load_dword v0, v[0:1], off offset:4
	s_nop 0
	global_load_dword v1, v[2:3], off offset:4
	;; [unrolled: 2-line block ×3, first 2 shown]
	global_load_dword v3, v[6:7], off offset:4
	s_nop 0
	global_load_dword v4, v[10:11], off offset:4
	global_load_dword v5, v[12:13], off offset:4
	;; [unrolled: 1-line block ×4, first 2 shown]
	s_mov_b32 s15, 16
	s_mov_b32 s17, 14
	v_mov_b32_e32 v11, v158
	v_mov_b32_e32 v13, v157
	s_waitcnt vmcnt(8)
	v_cvt_f32_f16_e32 v8, v8
	s_waitcnt vmcnt(7)
	ds_write_b32 v99, v0
	s_waitcnt vmcnt(6)
	ds_write_b32 v105, v1
	;; [unrolled: 2-line block ×8, first 2 shown]
	ds_write_b32 v93, v8
	s_waitcnt lgkmcnt(0)
	s_barrier
.LBB167_12:                             ;   Parent Loop BB167_6 Depth=1
                                        ; =>  This Inner Loop Header: Depth=2
	s_add_i32 s16, s17, 2
	s_and_b32 s19, s16, 0x3ffffff8
	s_lshl_b32 s19, s19, 2
	v_add_u32_e32 v8, s19, v133
	ds_read2_b32 v[112:113], v13 offset1:32
	ds_read_b128 v[4:7], v11
	ds_read_b128 v[0:3], v11 offset:16
	ds_read2_b32 v[14:15], v8 offset1:1
	s_and_b32 s18, s15, -16
	v_add_u32_e32 v12, s18, v146
	s_add_i32 s18, s17, -14
	s_lshr_b32 s20, s16, 2
	s_waitcnt lgkmcnt(0)
	v_ashrrev_i32_e32 v10, s18, v14
	v_and_b32_e32 v184, 0x3030303, v10
	v_ashrrev_i32_e32 v10, s18, v15
	ds_read2_b32 v[14:15], v8 offset0:2 offset1:3
	v_and_b32_e32 v181, 0x3030303, v10
	s_and_b32 s20, s20, 0x3ffffffc
	v_mov_b32_e32 v201, 0
	v_mov_b32_e32 v203, 0
	s_waitcnt lgkmcnt(0)
	v_ashrrev_i32_e32 v10, s18, v14
	v_and_b32_e32 v182, 0x3030303, v10
	v_ashrrev_i32_e32 v10, s18, v15
	ds_read2_b32 v[14:15], v8 offset0:4 offset1:5
	v_and_b32_e32 v183, 0x3030303, v10
	v_mov_b32_e32 v211, 0
	v_mov_b32_e32 v215, 0
	;; [unrolled: 1-line block ×3, first 2 shown]
	s_waitcnt lgkmcnt(0)
	v_ashrrev_i32_e32 v10, s18, v14
	v_and_b32_e32 v177, 0x3030303, v10
	v_ashrrev_i32_e32 v10, s18, v15
	ds_read2_b32 v[14:15], v8 offset0:6 offset1:7
	v_and_b32_e32 v178, 0x3030303, v10
	v_add_u32_e32 v10, s20, v134
	v_mov_b32_e32 v202, 0
	v_mov_b32_e32 v209, 0
	s_waitcnt lgkmcnt(0)
	v_ashrrev_i32_e32 v8, s18, v14
	v_and_b32_e32 v179, 0x3030303, v8
	v_ashrrev_i32_e32 v8, s18, v15
	v_and_b32_e32 v180, 0x3030303, v8
	v_add3_u32 v8, v151, s17, v12
	ds_read_b32 v10, v10
	ds_read_u16 v114, v8 offset:25074
	v_mov_b32_e32 v214, 0
	v_dot4c_i32_i8_e32 v115, v184, v4
	v_mov_b32_e32 v206, 0
	s_waitcnt lgkmcnt(1)
	v_cvt_f32_f16_e32 v104, v10
	s_waitcnt lgkmcnt(0)
	v_bfe_u32 v8, v114, 4, 4
	v_mul_lo_u32 v190, v8, s1
	v_lshrrev_b32_sdwa v8, v167, v114 dst_sel:DWORD dst_unused:UNUSED_PAD src0_sel:DWORD src1_sel:BYTE_1
	v_mul_lo_u32 v197, v8, s1
	v_add_u32_e32 v8, s19, v135
	ds_read2_b32 v[14:15], v8 offset1:1
	v_cvt_f32_f16_sdwa v106, v10 dst_sel:DWORD dst_unused:UNUSED_PAD src0_sel:WORD_1
	v_dot4c_i32_i8_e32 v201, v190, v4
	v_dot4c_i32_i8_e32 v201, v190, v5
	;; [unrolled: 1-line block ×3, first 2 shown]
	s_waitcnt lgkmcnt(0)
	v_ashrrev_i32_e32 v10, s18, v14
	v_and_b32_e32 v194, 0x3030303, v10
	v_ashrrev_i32_e32 v10, s18, v15
	ds_read2_b32 v[14:15], v8 offset0:2 offset1:3
	v_and_b32_e32 v191, 0x3030303, v10
	v_dot4c_i32_i8_e32 v202, v194, v4
	v_dot4c_i32_i8_e32 v201, v190, v7
	v_mov_b32_e32 v212, 0
	s_waitcnt lgkmcnt(0)
	v_ashrrev_i32_e32 v10, s18, v14
	v_and_b32_e32 v192, 0x3030303, v10
	v_ashrrev_i32_e32 v10, s18, v15
	ds_read2_b32 v[14:15], v8 offset0:4 offset1:5
	v_and_b32_e32 v193, 0x3030303, v10
	v_mov_b32_e32 v213, 0
	v_mov_b32_e32 v216, 0
	v_dot4c_i32_i8_e32 v206, v177, v0
	s_waitcnt lgkmcnt(0)
	v_ashrrev_i32_e32 v10, s18, v14
	v_and_b32_e32 v186, 0x3030303, v10
	v_ashrrev_i32_e32 v10, s18, v15
	ds_read2_b32 v[14:15], v8 offset0:6 offset1:7
	v_and_b32_e32 v187, 0x3030303, v10
	v_add_u32_e32 v10, s20, v136
	v_dot4c_i32_i8_e32 v201, v197, v0
	v_dot4c_i32_i8_e32 v212, v186, v0
	s_waitcnt lgkmcnt(0)
	v_ashrrev_i32_e32 v8, s18, v14
	v_and_b32_e32 v188, 0x3030303, v8
	v_ashrrev_i32_e32 v8, s18, v15
	v_and_b32_e32 v189, 0x3030303, v8
	v_add3_u32 v8, v149, s17, v12
	ds_read_b32 v10, v10
	ds_read_u16 v200, v8 offset:26098
	v_dot4c_i32_i8_e32 v115, v181, v5
	v_dot4c_i32_i8_e32 v206, v178, v1
	v_dot4c_i32_i8_e32 v201, v197, v1
	s_waitcnt lgkmcnt(1)
	v_cvt_f32_f16_e32 v108, v10
	s_waitcnt lgkmcnt(0)
	v_bfe_u32 v8, v200, 4, 4
	v_mul_lo_u32 v196, v8, s1
	v_lshrrev_b32_sdwa v8, v167, v200 dst_sel:DWORD dst_unused:UNUSED_PAD src0_sel:DWORD src1_sel:BYTE_1
	v_mul_lo_u32 v199, v8, s1
	v_add_u32_e32 v8, s19, v137
	ds_read2_b32 v[14:15], v8 offset1:1
	ds_read2_b32 v[116:117], v8 offset0:4 offset1:5
	v_cvt_f32_f16_sdwa v110, v10 dst_sel:DWORD dst_unused:UNUSED_PAD src0_sel:WORD_1
	ds_read2_b32 v[122:123], v8 offset0:6 offset1:7
	v_dot4c_i32_i8_e32 v203, v196, v4
	s_waitcnt lgkmcnt(2)
	v_ashrrev_i32_e32 v10, s18, v14
	v_and_b32_e32 v198, 0x3030303, v10
	v_ashrrev_i32_e32 v10, s18, v15
	ds_read2_b32 v[14:15], v8 offset0:2 offset1:3
	v_and_b32_e32 v119, 0x3030303, v10
	s_waitcnt lgkmcnt(1)
	v_ashrrev_i32_e32 v8, s18, v122
	v_dot4c_i32_i8_e32 v203, v196, v5
	v_dot4c_i32_i8_e32 v203, v196, v6
	s_waitcnt lgkmcnt(0)
	v_ashrrev_i32_e32 v10, s18, v14
	v_and_b32_e32 v120, 0x3030303, v10
	v_ashrrev_i32_e32 v10, s18, v15
	v_and_b32_e32 v121, 0x3030303, v10
	;; [unrolled: 2-line block ×4, first 2 shown]
	v_and_b32_e32 v117, 0x3030303, v8
	v_ashrrev_i32_e32 v8, s18, v123
	v_add_u32_e32 v10, s20, v138
	v_add_u32_e32 v14, s19, v139
	v_and_b32_e32 v118, 0x3030303, v8
	v_add3_u32 v8, v147, s17, v12
	ds_read_b32 v10, v10
	ds_read_u16 v208, v8 offset:27122
	ds_read2_b32 v[122:123], v14 offset1:1
	ds_read2_b32 v[204:205], v14 offset0:6 offset1:7
	v_add3_u32 v12, v144, s17, v12
	v_dot4c_i32_i8_e32 v209, v198, v4
	s_waitcnt lgkmcnt(2)
	v_bfe_u32 v8, v208, 4, 4
	s_waitcnt lgkmcnt(1)
	v_ashrrev_i32_e32 v122, s18, v122
	v_and_b32_e32 v175, 0x3030303, v122
	v_ashrrev_i32_e32 v122, s18, v123
	v_and_b32_e32 v172, 0x3030303, v122
	ds_read2_b32 v[122:123], v14 offset0:2 offset1:3
	v_mul_lo_u32 v171, v8, s1
	v_dot4c_i32_i8_e32 v211, v171, v4
	v_dot4c_i32_i8_e32 v211, v171, v5
	;; [unrolled: 1-line block ×3, first 2 shown]
	s_waitcnt lgkmcnt(0)
	v_ashrrev_i32_e32 v122, s18, v122
	v_and_b32_e32 v173, 0x3030303, v122
	v_ashrrev_i32_e32 v122, s18, v123
	v_and_b32_e32 v174, 0x3030303, v122
	ds_read2_b32 v[122:123], v14 offset0:4 offset1:5
	v_ashrrev_i32_e32 v14, s18, v204
	v_and_b32_e32 v169, 0x3030303, v14
	v_ashrrev_i32_e32 v14, s18, v205
	v_and_b32_e32 v170, 0x3030303, v14
	v_add_u32_e32 v14, s20, v140
	ds_read_b32 v14, v14
	ds_read_u16 v210, v12 offset:28146
	v_lshrrev_b32_sdwa v8, v167, v208 dst_sel:DWORD dst_unused:UNUSED_PAD src0_sel:DWORD src1_sel:BYTE_1
	s_waitcnt lgkmcnt(2)
	v_ashrrev_i32_e32 v122, s18, v122
	v_dot4c_i32_i8_e32 v214, v175, v4
	v_dot4c_i32_i8_e32 v203, v196, v7
	s_waitcnt lgkmcnt(0)
	v_bfe_u32 v12, v210, 4, 4
	v_mul_lo_u32 v176, v12, s1
	v_dot4c_i32_i8_e32 v215, v176, v4
	v_dot4c_i32_i8_e32 v215, v176, v5
	;; [unrolled: 1-line block ×3, first 2 shown]
	v_lshrrev_b32_sdwa v4, v167, v210 dst_sel:DWORD dst_unused:UNUSED_PAD src0_sel:DWORD src1_sel:BYTE_1
	v_dot4c_i32_i8_e32 v211, v171, v7
	v_mul_lo_u32 v185, v8, s1
	v_and_b32_e32 v122, 0x3030303, v122
	v_ashrrev_i32_e32 v123, s18, v123
	v_dot4c_i32_i8_e32 v215, v176, v7
	v_mul_lo_u32 v195, v4, s1
	v_dot4c_i32_i8_e32 v203, v199, v0
	v_dot4c_i32_i8_e32 v213, v15, v0
	;; [unrolled: 1-line block ×3, first 2 shown]
	v_and_b32_e32 v123, 0x3030303, v123
	v_dot4c_i32_i8_e32 v216, v122, v0
	v_dot4c_i32_i8_e32 v215, v195, v0
	;; [unrolled: 1-line block ×35, first 2 shown]
	ds_read_b128 v[4:7], v11 offset:1024
	ds_read_b128 v[0:3], v11 offset:1040
	v_mov_b32_e32 v217, 0
	v_mov_b32_e32 v207, 0
	;; [unrolled: 1-line block ×3, first 2 shown]
	s_waitcnt lgkmcnt(1)
	v_dot4c_i32_i8_e32 v217, v190, v4
	v_dot4c_i32_i8_e32 v217, v190, v5
	;; [unrolled: 1-line block ×6, first 2 shown]
	s_waitcnt lgkmcnt(0)
	v_dot4c_i32_i8_e32 v218, v177, v0
	v_dot4c_i32_i8_e32 v207, v182, v6
	;; [unrolled: 1-line block ×7, first 2 shown]
	v_and_b32_e32 v205, 15, v114
	v_and_b32_sdwa v204, v114, v168 dst_sel:DWORD dst_unused:UNUSED_PAD src0_sel:BYTE_1 src1_sel:DWORD
	v_dot4c_i32_i8_e32 v217, v197, v2
	v_dot4c_i32_i8_e32 v218, v180, v3
	v_mul_lo_u32 v114, v204, v206
	v_mul_lo_u32 v206, v205, v207
                                        ; kill: def $vgpr207 killed $sgpr0 killed $exec
	v_dot4c_i32_i8_e32 v217, v197, v3
	v_mad_u64_u32 v[206:207], s[18:19], v204, v218, v[206:207]
	v_mad_u64_u32 v[114:115], s[18:19], v205, v115, v[114:115]
	v_cvt_f32_i32_e32 v115, v114
	v_cvt_f32_i32_e32 v114, v206
	;; [unrolled: 1-line block ×4, first 2 shown]
	v_mov_b32_e32 v217, 0
	v_dot4c_i32_i8_e32 v217, v196, v4
	v_dot4c_i32_i8_e32 v217, v196, v5
	v_pk_mul_f32 v[206:207], v[106:107], v[206:207] op_sel_hi:[0,1]
	v_pk_fma_f32 v[206:207], v[104:105], v[114:115], v[206:207] op_sel_hi:[0,1,1] neg_lo:[0,0,1] neg_hi:[0,0,1]
	v_mov_b32_e32 v114, v113
	v_mov_b32_e32 v113, 0
	v_dot4c_i32_i8_e32 v113, v194, v4
	v_dot4c_i32_i8_e32 v217, v196, v6
	v_mov_b32_e32 v201, 0
	v_dot4c_i32_i8_e32 v113, v191, v5
	v_dot4c_i32_i8_e32 v217, v196, v7
	;; [unrolled: 1-line block ×3, first 2 shown]
	v_mov_b32_e32 v115, v112
	v_dot4c_i32_i8_e32 v113, v192, v6
	v_dot4c_i32_i8_e32 v217, v199, v0
	v_dot4c_i32_i8_e32 v201, v187, v1
	v_pk_fma_f32 v[62:63], v[114:115], v[206:207], v[62:63]
	v_dot4c_i32_i8_e32 v113, v193, v7
	v_dot4c_i32_i8_e32 v217, v199, v1
	;; [unrolled: 1-line block ×3, first 2 shown]
	v_and_b32_e32 v207, 15, v200
	v_and_b32_sdwa v206, v200, v168 dst_sel:DWORD dst_unused:UNUSED_PAD src0_sel:BYTE_1 src1_sel:DWORD
	v_dot4c_i32_i8_e32 v217, v199, v2
	v_dot4c_i32_i8_e32 v201, v189, v3
	v_mul_lo_u32 v112, v206, v212
	v_mul_lo_u32 v200, v207, v113
                                        ; kill: def $vgpr113 killed $sgpr0 killed $exec
	v_dot4c_i32_i8_e32 v217, v199, v3
	v_mad_u64_u32 v[200:201], s[18:19], v206, v201, v[200:201]
	v_mad_u64_u32 v[112:113], s[18:19], v207, v202, v[112:113]
	v_cvt_f32_i32_e32 v113, v112
	v_cvt_f32_i32_e32 v112, v200
	;; [unrolled: 1-line block ×4, first 2 shown]
	v_mov_b32_e32 v212, 0
	v_dot4c_i32_i8_e32 v212, v171, v4
	v_dot4c_i32_i8_e32 v212, v171, v5
	v_pk_mul_f32 v[200:201], v[110:111], v[200:201] op_sel_hi:[0,1]
	v_pk_fma_f32 v[112:113], v[108:109], v[112:113], v[200:201] op_sel_hi:[0,1,1] neg_lo:[0,0,1] neg_hi:[0,0,1]
	v_pk_fma_f32 v[72:73], v[114:115], v[112:113], v[72:73]
	v_mov_b32_e32 v113, 0
	v_dot4c_i32_i8_e32 v113, v198, v4
	v_dot4c_i32_i8_e32 v212, v171, v6
	v_mov_b32_e32 v201, 0
	v_dot4c_i32_i8_e32 v113, v119, v5
	v_dot4c_i32_i8_e32 v212, v171, v7
	v_dot4c_i32_i8_e32 v201, v15, v0
	v_dot4c_i32_i8_e32 v113, v120, v6
	v_dot4c_i32_i8_e32 v212, v185, v0
	v_dot4c_i32_i8_e32 v201, v116, v1
	v_dot4c_i32_i8_e32 v113, v121, v7
	v_dot4c_i32_i8_e32 v212, v185, v1
	v_dot4c_i32_i8_e32 v201, v117, v2
	v_and_b32_e32 v203, 15, v208
	v_and_b32_sdwa v202, v208, v168 dst_sel:DWORD dst_unused:UNUSED_PAD src0_sel:BYTE_1 src1_sel:DWORD
	v_dot4c_i32_i8_e32 v212, v185, v2
	v_dot4c_i32_i8_e32 v201, v118, v3
	v_mul_lo_u32 v112, v202, v213
	v_mul_lo_u32 v200, v203, v113
                                        ; kill: def $vgpr113 killed $sgpr0 killed $exec
	v_dot4c_i32_i8_e32 v212, v185, v3
	v_mad_u64_u32 v[200:201], s[18:19], v202, v201, v[200:201]
	v_mad_u64_u32 v[112:113], s[18:19], v203, v209, v[112:113]
	v_cvt_f32_f16_e32 v8, v10
	v_cvt_f32_f16_sdwa v10, v10 dst_sel:DWORD dst_unused:UNUSED_PAD src0_sel:WORD_1
	v_cvt_f32_i32_e32 v113, v112
	v_cvt_f32_i32_e32 v112, v200
	;; [unrolled: 1-line block ×4, first 2 shown]
	v_cvt_f32_f16_e32 v12, v14
	v_cvt_f32_f16_sdwa v14, v14 dst_sel:DWORD dst_unused:UNUSED_PAD src0_sel:WORD_1
	v_mov_b32_e32 v212, 0
	v_pk_mul_f32 v[200:201], v[10:11], v[200:201] op_sel_hi:[0,1]
	v_pk_fma_f32 v[112:113], v[8:9], v[112:113], v[200:201] op_sel_hi:[0,1,1] neg_lo:[0,0,1] neg_hi:[0,0,1]
	v_pk_fma_f32 v[50:51], v[114:115], v[112:113], v[50:51]
	v_mov_b32_e32 v113, 0
	v_dot4c_i32_i8_e32 v113, v176, v4
	v_mov_b32_e32 v112, 0
	v_dot4c_i32_i8_e32 v113, v176, v5
	v_dot4c_i32_i8_e32 v112, v175, v4
	;; [unrolled: 1-line block ×3, first 2 shown]
	v_mov_b32_e32 v4, 0
	v_dot4c_i32_i8_e32 v112, v172, v5
	v_dot4c_i32_i8_e32 v113, v176, v7
	;; [unrolled: 1-line block ×9, first 2 shown]
	v_and_b32_e32 v201, 15, v210
	v_and_b32_sdwa v200, v210, v168 dst_sel:DWORD dst_unused:UNUSED_PAD src0_sel:BYTE_1 src1_sel:DWORD
	v_dot4c_i32_i8_e32 v113, v195, v2
	v_dot4c_i32_i8_e32 v4, v170, v3
	v_mul_lo_u32 v0, v200, v216
	v_mul_lo_u32 v2, v201, v112
                                        ; kill: def $vgpr1 killed $sgpr0 killed $exec
	v_dot4c_i32_i8_e32 v113, v195, v3
	v_mad_u64_u32 v[2:3], s[18:19], v200, v4, v[2:3]
	v_mad_u64_u32 v[0:1], s[18:19], v201, v214, v[0:1]
	v_cvt_f32_i32_e32 v1, v0
	v_cvt_f32_i32_e32 v0, v2
	;; [unrolled: 1-line block ×4, first 2 shown]
	v_mov_b32_e32 v210, 0
	v_mov_b32_e32 v215, 0
	;; [unrolled: 1-line block ×3, first 2 shown]
	v_pk_mul_f32 v[2:3], v[14:15], v[2:3] op_sel_hi:[0,1]
	v_pk_fma_f32 v[0:1], v[12:13], v[0:1], v[2:3] op_sel_hi:[0,1,1] neg_lo:[0,0,1] neg_hi:[0,0,1]
	v_pk_fma_f32 v[40:41], v[114:115], v[0:1], v[40:41]
	ds_read2_b32 v[112:113], v13 offset0:64 offset1:96
	ds_read_b128 v[0:3], v11 offset:2048
	ds_read_b128 v[4:7], v11 offset:2064
	v_mov_b32_e32 v115, 0
	v_mov_b32_e32 v208, 0
	;; [unrolled: 1-line block ×3, first 2 shown]
	s_waitcnt lgkmcnt(1)
	v_dot4c_i32_i8_e32 v210, v190, v0
	v_dot4c_i32_i8_e32 v212, v196, v0
	;; [unrolled: 1-line block ×14, first 2 shown]
	v_mov_b32_e32 v213, 0
	v_mov_b32_e32 v214, 0
	v_dot4c_i32_i8_e32 v215, v171, v3
	v_mov_b32_e32 v216, 0
	v_mov_b32_e32 v217, 0
	v_dot4c_i32_i8_e32 v218, v176, v3
	v_mov_b32_e32 v219, 0
	v_dot4c_i32_i8_e32 v115, v184, v0
	s_waitcnt lgkmcnt(0)
	v_dot4c_i32_i8_e32 v208, v177, v4
	v_dot4c_i32_i8_e32 v210, v197, v4
	;; [unrolled: 1-line block ×47, first 2 shown]
	ds_read_b128 v[4:7], v11 offset:3072
	ds_read_b128 v[0:3], v11 offset:3088
	v_mov_b32_e32 v220, 0
	v_mov_b32_e32 v114, 0
	v_mov_b32_e32 v221, 0
	s_waitcnt lgkmcnt(1)
	v_dot4c_i32_i8_e32 v220, v190, v4
	v_dot4c_i32_i8_e32 v220, v190, v5
	;; [unrolled: 1-line block ×6, first 2 shown]
	s_waitcnt lgkmcnt(0)
	v_dot4c_i32_i8_e32 v221, v177, v0
	v_dot4c_i32_i8_e32 v114, v182, v6
	;; [unrolled: 1-line block ×7, first 2 shown]
	v_mul_lo_u32 v208, v208, v204
                                        ; kill: def $vgpr209 killed $sgpr0 killed $exec
	v_dot4c_i32_i8_e32 v220, v197, v2
	v_dot4c_i32_i8_e32 v221, v180, v3
	v_mul_lo_u32 v114, v114, v205
	v_mad_u64_u32 v[208:209], s[18:19], v115, v205, v[208:209]
                                        ; kill: def $vgpr115 killed $sgpr0 killed $exec
	v_dot4c_i32_i8_e32 v220, v197, v3
	v_mad_u64_u32 v[114:115], s[18:19], v221, v204, v[114:115]
	v_cvt_f32_i32_e32 v115, v114
	v_cvt_f32_i32_e32 v114, v208
	;; [unrolled: 1-line block ×4, first 2 shown]
	v_mov_b32_e32 v210, 0
	v_dot4c_i32_i8_e32 v210, v196, v4
	v_dot4c_i32_i8_e32 v210, v196, v5
	v_pk_mul_f32 v[208:209], v[106:107], v[208:209] op_sel_hi:[0,1]
	v_pk_fma_f32 v[114:115], v[104:105], v[114:115], v[208:209] op_sel_hi:[0,1,1] neg_lo:[0,0,1] neg_hi:[0,0,1]
	v_pk_fma_f32 v[38:39], v[112:113], v[114:115], v[38:39]
	v_mov_b32_e32 v114, 0
	v_dot4c_i32_i8_e32 v114, v194, v4
	v_dot4c_i32_i8_e32 v210, v196, v6
	v_mov_b32_e32 v115, 0
	v_dot4c_i32_i8_e32 v114, v191, v5
	v_dot4c_i32_i8_e32 v210, v196, v7
	;; [unrolled: 1-line block ×11, first 2 shown]
	v_mul_lo_u32 v114, v114, v207
	v_mul_lo_u32 v208, v213, v206
                                        ; kill: def $vgpr209 killed $sgpr0 killed $exec
	v_dot4c_i32_i8_e32 v210, v199, v3
	v_mad_u64_u32 v[208:209], s[18:19], v211, v207, v[208:209]
	v_mad_u64_u32 v[114:115], s[18:19], v115, v206, v[114:115]
	v_cvt_f32_i32_e32 v115, v114
	v_cvt_f32_i32_e32 v114, v208
	v_cvt_f32_i32_e32 v209, v210
	v_cvt_f32_i32_e32 v208, v212
	v_mov_b32_e32 v210, 0
	v_dot4c_i32_i8_e32 v210, v171, v4
	v_dot4c_i32_i8_e32 v210, v171, v5
	v_pk_mul_f32 v[208:209], v[110:111], v[208:209] op_sel_hi:[0,1]
	v_pk_fma_f32 v[114:115], v[108:109], v[114:115], v[208:209] op_sel_hi:[0,1,1] neg_lo:[0,0,1] neg_hi:[0,0,1]
	v_pk_fma_f32 v[36:37], v[112:113], v[114:115], v[36:37]
	v_mov_b32_e32 v114, 0
	v_dot4c_i32_i8_e32 v114, v198, v4
	v_dot4c_i32_i8_e32 v210, v171, v6
	v_mov_b32_e32 v115, 0
	v_dot4c_i32_i8_e32 v114, v119, v5
	v_dot4c_i32_i8_e32 v210, v171, v7
	;; [unrolled: 1-line block ×11, first 2 shown]
	v_mul_lo_u32 v114, v114, v203
	v_mul_lo_u32 v208, v216, v202
                                        ; kill: def $vgpr209 killed $sgpr0 killed $exec
	v_dot4c_i32_i8_e32 v210, v185, v3
	v_mad_u64_u32 v[208:209], s[18:19], v214, v203, v[208:209]
	v_mad_u64_u32 v[114:115], s[18:19], v115, v202, v[114:115]
	v_cvt_f32_i32_e32 v115, v114
	v_cvt_f32_i32_e32 v114, v208
	;; [unrolled: 1-line block ×4, first 2 shown]
	v_mov_b32_e32 v210, 0
	v_mov_b32_e32 v212, 0
	;; [unrolled: 1-line block ×3, first 2 shown]
	v_pk_mul_f32 v[208:209], v[10:11], v[208:209] op_sel_hi:[0,1]
	v_pk_fma_f32 v[114:115], v[8:9], v[114:115], v[208:209] op_sel_hi:[0,1,1] neg_lo:[0,0,1] neg_hi:[0,0,1]
	v_pk_fma_f32 v[34:35], v[112:113], v[114:115], v[34:35]
	v_mov_b32_e32 v115, 0
	v_dot4c_i32_i8_e32 v115, v176, v4
	v_mov_b32_e32 v114, 0
	v_dot4c_i32_i8_e32 v115, v176, v5
	v_dot4c_i32_i8_e32 v114, v175, v4
	;; [unrolled: 1-line block ×3, first 2 shown]
	v_mov_b32_e32 v4, 0
	v_dot4c_i32_i8_e32 v114, v172, v5
	v_dot4c_i32_i8_e32 v115, v176, v7
	;; [unrolled: 1-line block ×11, first 2 shown]
	v_mul_lo_u32 v0, v114, v201
	v_mul_lo_u32 v2, v219, v200
                                        ; kill: def $vgpr1 killed $sgpr0 killed $exec
	v_dot4c_i32_i8_e32 v115, v195, v3
	v_mad_u64_u32 v[2:3], s[18:19], v217, v201, v[2:3]
	v_mad_u64_u32 v[0:1], s[18:19], v4, v200, v[0:1]
	v_cvt_f32_i32_e32 v1, v0
	v_cvt_f32_i32_e32 v0, v2
	;; [unrolled: 1-line block ×4, first 2 shown]
	v_mov_b32_e32 v218, 0
	v_mov_b32_e32 v115, 0
	;; [unrolled: 1-line block ×3, first 2 shown]
	v_pk_mul_f32 v[2:3], v[14:15], v[2:3] op_sel_hi:[0,1]
	v_pk_fma_f32 v[0:1], v[12:13], v[0:1], v[2:3] op_sel_hi:[0,1,1] neg_lo:[0,0,1] neg_hi:[0,0,1]
	v_pk_fma_f32 v[32:33], v[112:113], v[0:1], v[32:33]
	ds_read2_b32 v[112:113], v13 offset0:128 offset1:160
	ds_read_b128 v[0:3], v11 offset:4096
	ds_read_b128 v[4:7], v11 offset:4112
	v_mov_b32_e32 v211, 0
	v_mov_b32_e32 v213, 0
	v_mov_b32_e32 v214, 0
	s_waitcnt lgkmcnt(1)
	v_dot4c_i32_i8_e32 v210, v190, v0
	v_dot4c_i32_i8_e32 v212, v196, v0
	;; [unrolled: 1-line block ×15, first 2 shown]
	v_mov_b32_e32 v216, 0
	v_mov_b32_e32 v217, 0
	v_dot4c_i32_i8_e32 v218, v176, v3
	v_mov_b32_e32 v219, 0
	v_dot4c_i32_i8_e32 v115, v184, v0
	s_waitcnt lgkmcnt(0)
	v_dot4c_i32_i8_e32 v208, v177, v4
	v_dot4c_i32_i8_e32 v210, v197, v4
	;; [unrolled: 1-line block ×47, first 2 shown]
	ds_read_b128 v[4:7], v11 offset:5120
	ds_read_b128 v[0:3], v11 offset:5136
	v_mov_b32_e32 v220, 0
	v_mov_b32_e32 v114, 0
	;; [unrolled: 1-line block ×3, first 2 shown]
	s_waitcnt lgkmcnt(1)
	v_dot4c_i32_i8_e32 v220, v190, v4
	v_dot4c_i32_i8_e32 v220, v190, v5
	;; [unrolled: 1-line block ×6, first 2 shown]
	s_waitcnt lgkmcnt(0)
	v_dot4c_i32_i8_e32 v221, v177, v0
	v_dot4c_i32_i8_e32 v114, v182, v6
	v_dot4c_i32_i8_e32 v220, v197, v0
	v_dot4c_i32_i8_e32 v221, v178, v1
	v_dot4c_i32_i8_e32 v114, v183, v7
	v_dot4c_i32_i8_e32 v220, v197, v1
	v_dot4c_i32_i8_e32 v221, v179, v2
	v_mul_lo_u32 v208, v208, v204
                                        ; kill: def $vgpr209 killed $sgpr0 killed $exec
	v_dot4c_i32_i8_e32 v220, v197, v2
	v_dot4c_i32_i8_e32 v221, v180, v3
	v_mul_lo_u32 v114, v114, v205
	v_mad_u64_u32 v[208:209], s[18:19], v115, v205, v[208:209]
                                        ; kill: def $vgpr115 killed $sgpr0 killed $exec
	v_dot4c_i32_i8_e32 v220, v197, v3
	v_mad_u64_u32 v[114:115], s[18:19], v221, v204, v[114:115]
	v_cvt_f32_i32_e32 v115, v114
	v_cvt_f32_i32_e32 v114, v208
	;; [unrolled: 1-line block ×4, first 2 shown]
	v_mov_b32_e32 v210, 0
	v_dot4c_i32_i8_e32 v210, v196, v4
	v_dot4c_i32_i8_e32 v210, v196, v5
	v_pk_mul_f32 v[208:209], v[106:107], v[208:209] op_sel_hi:[0,1]
	v_pk_fma_f32 v[114:115], v[104:105], v[114:115], v[208:209] op_sel_hi:[0,1,1] neg_lo:[0,0,1] neg_hi:[0,0,1]
	v_pk_fma_f32 v[30:31], v[112:113], v[114:115], v[30:31]
	v_mov_b32_e32 v114, 0
	v_dot4c_i32_i8_e32 v114, v194, v4
	v_dot4c_i32_i8_e32 v210, v196, v6
	v_mov_b32_e32 v115, 0
	v_dot4c_i32_i8_e32 v114, v191, v5
	v_dot4c_i32_i8_e32 v210, v196, v7
	;; [unrolled: 1-line block ×11, first 2 shown]
	v_mul_lo_u32 v114, v114, v207
	v_mul_lo_u32 v208, v213, v206
                                        ; kill: def $vgpr209 killed $sgpr0 killed $exec
	v_dot4c_i32_i8_e32 v210, v199, v3
	v_mad_u64_u32 v[208:209], s[18:19], v211, v207, v[208:209]
	v_mad_u64_u32 v[114:115], s[18:19], v115, v206, v[114:115]
	v_cvt_f32_i32_e32 v115, v114
	v_cvt_f32_i32_e32 v114, v208
	;; [unrolled: 1-line block ×4, first 2 shown]
	v_mov_b32_e32 v210, 0
	v_dot4c_i32_i8_e32 v210, v171, v4
	v_dot4c_i32_i8_e32 v210, v171, v5
	v_pk_mul_f32 v[208:209], v[110:111], v[208:209] op_sel_hi:[0,1]
	v_pk_fma_f32 v[114:115], v[108:109], v[114:115], v[208:209] op_sel_hi:[0,1,1] neg_lo:[0,0,1] neg_hi:[0,0,1]
	v_pk_fma_f32 v[28:29], v[112:113], v[114:115], v[28:29]
	v_mov_b32_e32 v114, 0
	v_dot4c_i32_i8_e32 v114, v198, v4
	v_dot4c_i32_i8_e32 v210, v171, v6
	v_mov_b32_e32 v115, 0
	v_dot4c_i32_i8_e32 v114, v119, v5
	v_dot4c_i32_i8_e32 v210, v171, v7
	;; [unrolled: 1-line block ×11, first 2 shown]
	v_mul_lo_u32 v114, v114, v203
	v_mul_lo_u32 v208, v216, v202
                                        ; kill: def $vgpr209 killed $sgpr0 killed $exec
	v_dot4c_i32_i8_e32 v210, v185, v3
	v_mad_u64_u32 v[208:209], s[18:19], v214, v203, v[208:209]
	v_mad_u64_u32 v[114:115], s[18:19], v115, v202, v[114:115]
	v_cvt_f32_i32_e32 v115, v114
	v_cvt_f32_i32_e32 v114, v208
	;; [unrolled: 1-line block ×4, first 2 shown]
	v_mov_b32_e32 v212, 0
	v_mov_b32_e32 v215, 0
	;; [unrolled: 1-line block ×3, first 2 shown]
	v_pk_mul_f32 v[208:209], v[10:11], v[208:209] op_sel_hi:[0,1]
	v_pk_fma_f32 v[114:115], v[8:9], v[114:115], v[208:209] op_sel_hi:[0,1,1] neg_lo:[0,0,1] neg_hi:[0,0,1]
	v_pk_fma_f32 v[26:27], v[112:113], v[114:115], v[26:27]
	v_mov_b32_e32 v115, 0
	v_dot4c_i32_i8_e32 v115, v176, v4
	v_mov_b32_e32 v114, 0
	v_dot4c_i32_i8_e32 v115, v176, v5
	v_dot4c_i32_i8_e32 v114, v175, v4
	v_dot4c_i32_i8_e32 v115, v176, v6
	v_mov_b32_e32 v4, 0
	v_dot4c_i32_i8_e32 v114, v172, v5
	v_dot4c_i32_i8_e32 v115, v176, v7
	;; [unrolled: 1-line block ×11, first 2 shown]
	v_mul_lo_u32 v0, v114, v201
	v_mul_lo_u32 v2, v219, v200
                                        ; kill: def $vgpr1 killed $sgpr0 killed $exec
	v_dot4c_i32_i8_e32 v115, v195, v3
	v_mad_u64_u32 v[2:3], s[18:19], v217, v201, v[2:3]
	v_mad_u64_u32 v[0:1], s[18:19], v4, v200, v[0:1]
	v_cvt_f32_i32_e32 v1, v0
	v_cvt_f32_i32_e32 v0, v2
	;; [unrolled: 1-line block ×4, first 2 shown]
	v_mov_b32_e32 v208, 0
	v_mov_b32_e32 v114, 0
	;; [unrolled: 1-line block ×3, first 2 shown]
	v_pk_mul_f32 v[2:3], v[14:15], v[2:3] op_sel_hi:[0,1]
	v_pk_fma_f32 v[0:1], v[12:13], v[0:1], v[2:3] op_sel_hi:[0,1,1] neg_lo:[0,0,1] neg_hi:[0,0,1]
	v_pk_fma_f32 v[24:25], v[112:113], v[0:1], v[24:25]
	ds_read2_b32 v[112:113], v13 offset0:192 offset1:224
	ds_read_b128 v[0:3], v11 offset:6144
	ds_read_b128 v[4:7], v11 offset:6160
	v_mov_b32_e32 v214, 0
	v_mov_b32_e32 v216, 0
	;; [unrolled: 1-line block ×3, first 2 shown]
	s_waitcnt lgkmcnt(1)
	v_dot4c_i32_i8_e32 v212, v190, v0
	v_dot4c_i32_i8_e32 v215, v196, v0
	;; [unrolled: 1-line block ×15, first 2 shown]
	v_mov_b32_e32 v217, 0
	v_mov_b32_e32 v115, 0
	v_dot4c_i32_i8_e32 v114, v176, v3
	v_mov_b32_e32 v209, 0
	v_dot4c_i32_i8_e32 v211, v184, v0
	s_waitcnt lgkmcnt(0)
	v_dot4c_i32_i8_e32 v213, v177, v4
	v_dot4c_i32_i8_e32 v212, v197, v4
	;; [unrolled: 1-line block ×47, first 2 shown]
	ds_read_b128 v[4:7], v11 offset:7168
	ds_read_b128 v[0:3], v11 offset:7184
	v_mov_b32_e32 v218, 0
	s_add_i32 s15, s15, 2
	s_cmp_lt_u32 s16, 22
	s_waitcnt lgkmcnt(1)
	v_dot4c_i32_i8_e32 v218, v184, v4
	v_mov_b32_e32 v184, 0
	v_dot4c_i32_i8_e32 v184, v190, v4
	v_dot4c_i32_i8_e32 v218, v181, v5
	;; [unrolled: 1-line block ×5, first 2 shown]
	v_mov_b32_e32 v182, 0
	v_dot4c_i32_i8_e32 v184, v190, v7
	s_waitcnt lgkmcnt(0)
	v_dot4c_i32_i8_e32 v182, v177, v0
	v_dot4c_i32_i8_e32 v184, v197, v0
	v_dot4c_i32_i8_e32 v182, v178, v1
	v_dot4c_i32_i8_e32 v218, v183, v7
	v_dot4c_i32_i8_e32 v184, v197, v1
	v_dot4c_i32_i8_e32 v182, v179, v2
	v_dot4c_i32_i8_e32 v184, v197, v2
	v_dot4c_i32_i8_e32 v182, v180, v3
	v_mul_lo_u32 v178, v218, v205
	v_mul_lo_u32 v180, v213, v204
	v_dot4c_i32_i8_e32 v184, v197, v3
	v_mad_u64_u32 v[180:181], s[18:19], v211, v205, v[180:181]
	v_mad_u64_u32 v[178:179], s[18:19], v182, v204, v[178:179]
	v_cvt_f32_i32_e32 v179, v178
	v_cvt_f32_i32_e32 v178, v180
	;; [unrolled: 1-line block ×4, first 2 shown]
	v_mov_b32_e32 v177, 0
	v_dot4c_i32_i8_e32 v177, v196, v4
	v_dot4c_i32_i8_e32 v177, v196, v5
	v_pk_mul_f32 v[180:181], v[106:107], v[180:181] op_sel_hi:[0,1]
	v_pk_fma_f32 v[178:179], v[104:105], v[178:179], v[180:181] op_sel_hi:[0,1,1] neg_lo:[0,0,1] neg_hi:[0,0,1]
	v_mov_b32_e32 v104, 0
	v_dot4c_i32_i8_e32 v104, v194, v4
	v_dot4c_i32_i8_e32 v177, v196, v6
	v_mov_b32_e32 v180, 0
	v_dot4c_i32_i8_e32 v104, v191, v5
	v_dot4c_i32_i8_e32 v177, v196, v7
	;; [unrolled: 1-line block ×11, first 2 shown]
	v_mul_lo_u32 v104, v104, v207
	v_mul_lo_u32 v106, v216, v206
	v_pk_fma_f32 v[22:23], v[112:113], v[178:179], v[22:23]
	v_dot4c_i32_i8_e32 v177, v199, v3
	v_mad_u64_u32 v[178:179], s[18:19], v214, v207, v[106:107]
	v_mad_u64_u32 v[180:181], s[18:19], v180, v206, v[104:105]
	v_cvt_f32_i32_e32 v179, v180
	v_cvt_f32_i32_e32 v181, v177
	;; [unrolled: 1-line block ×4, first 2 shown]
	v_mov_b32_e32 v104, 0
	v_dot4c_i32_i8_e32 v104, v198, v4
	v_pk_mul_f32 v[180:181], v[110:111], v[180:181] op_sel_hi:[0,1]
	v_pk_fma_f32 v[178:179], v[108:109], v[178:179], v[180:181] op_sel_hi:[0,1,1] neg_lo:[0,0,1] neg_hi:[0,0,1]
	v_mov_b32_e32 v108, 0
	v_dot4c_i32_i8_e32 v108, v171, v4
	v_dot4c_i32_i8_e32 v108, v171, v5
	;; [unrolled: 1-line block ×3, first 2 shown]
	v_mov_b32_e32 v110, 0
	v_dot4c_i32_i8_e32 v104, v119, v5
	v_dot4c_i32_i8_e32 v108, v171, v7
	;; [unrolled: 1-line block ×11, first 2 shown]
	v_mul_lo_u32 v104, v104, v203
	v_mul_lo_u32 v106, v217, v202
	v_dot4c_i32_i8_e32 v108, v185, v3
	v_mad_u64_u32 v[116:117], s[18:19], v210, v203, v[106:107]
	v_mad_u64_u32 v[118:119], s[18:19], v110, v202, v[104:105]
	v_cvt_f32_i32_e32 v117, v118
	v_cvt_f32_i32_e32 v119, v108
	;; [unrolled: 1-line block ×4, first 2 shown]
                                        ; kill: def $vgpr15 killed $sgpr0 killed $exec
	v_pk_fma_f32 v[20:21], v[112:113], v[178:179], v[20:21]
	s_mov_b32 s17, s16
	v_pk_mul_f32 v[118:119], v[10:11], v[118:119] op_sel_hi:[0,1]
	v_mov_b32_e32 v10, 0
	v_dot4c_i32_i8_e32 v10, v176, v4
	v_pk_fma_f32 v[116:117], v[8:9], v[116:117], v[118:119] op_sel_hi:[0,1,1] neg_lo:[0,0,1] neg_hi:[0,0,1]
	v_mov_b32_e32 v8, 0
	v_dot4c_i32_i8_e32 v10, v176, v5
	v_dot4c_i32_i8_e32 v8, v175, v4
	;; [unrolled: 1-line block ×3, first 2 shown]
	v_mov_b32_e32 v4, 0
	v_dot4c_i32_i8_e32 v8, v172, v5
	v_dot4c_i32_i8_e32 v10, v176, v7
	;; [unrolled: 1-line block ×11, first 2 shown]
	v_mul_lo_u32 v0, v8, v201
	v_mul_lo_u32 v2, v209, v200
                                        ; kill: def $vgpr1 killed $sgpr0 killed $exec
	v_dot4c_i32_i8_e32 v10, v195, v3
	v_mad_u64_u32 v[2:3], s[18:19], v115, v201, v[2:3]
	v_mad_u64_u32 v[0:1], s[18:19], v4, v200, v[0:1]
	v_cvt_f32_i32_e32 v1, v0
	v_cvt_f32_i32_e32 v0, v2
	;; [unrolled: 1-line block ×4, first 2 shown]
	v_pk_fma_f32 v[18:19], v[112:113], v[116:117], v[18:19]
	v_add_u32_e32 v11, 32, v11
	v_pk_mul_f32 v[2:3], v[14:15], v[2:3] op_sel_hi:[0,1]
	v_pk_fma_f32 v[0:1], v[12:13], v[0:1], v[2:3] op_sel_hi:[0,1,1] neg_lo:[0,0,1] neg_hi:[0,0,1]
	v_pk_fma_f32 v[16:17], v[112:113], v[0:1], v[16:17]
	v_add_u32_e32 v13, 4, v13
	s_cbranch_scc1 .LBB167_12
; %bb.13:                               ;   in Loop: Header=BB167_6 Depth=1
	v_add_u32_e32 v8, s14, v143
	v_add_u32_e32 v0, v8, v95
	v_add_u32_e32 v2, v8, v103
	v_add_u32_e32 v4, v8, v107
	v_add_u32_e32 v6, v8, v111
	v_add_u32_e32 v10, v8, v125
	v_add_u32_e32 v12, v8, v127
	v_add_u32_e32 v14, v8, v129
	v_add_u32_e32 v8, v8, v131
	v_mad_i64_i32 v[112:113], s[14:15], v8, 36, v[100:101]
	v_add_u32_e32 v8, 12, v9
	v_mad_i64_i32 v[0:1], s[14:15], v0, 36, v[100:101]
	v_mad_i64_i32 v[2:3], s[14:15], v2, 36, v[100:101]
	;; [unrolled: 1-line block ×4, first 2 shown]
	v_mad_u64_u32 v[8:9], s[14:15], v8, 36, s[2:3]
	s_barrier
	v_mad_i64_i32 v[10:11], s[14:15], v10, 36, v[100:101]
	v_mad_i64_i32 v[12:13], s[14:15], v12, 36, v[100:101]
	;; [unrolled: 1-line block ×3, first 2 shown]
	global_load_dword v8, v[8:9], off
	s_nop 0
	global_load_dword v0, v[0:1], off offset:4
	s_nop 0
	global_load_dword v1, v[2:3], off offset:4
	;; [unrolled: 2-line block ×3, first 2 shown]
	global_load_dword v3, v[6:7], off offset:4
	s_nop 0
	global_load_dword v4, v[10:11], off offset:4
	global_load_dword v5, v[12:13], off offset:4
	;; [unrolled: 1-line block ×4, first 2 shown]
	s_mov_b32 s14, 24
	s_mov_b32 s16, 22
	v_mov_b32_e32 v113, v158
	v_mov_b32_e32 v115, v157
	s_waitcnt vmcnt(8)
	v_cvt_f32_f16_e32 v8, v8
	s_waitcnt vmcnt(7)
	ds_write_b32 v99, v0
	s_waitcnt vmcnt(6)
	ds_write_b32 v105, v1
	;; [unrolled: 2-line block ×8, first 2 shown]
	ds_write_b32 v93, v8
	s_waitcnt lgkmcnt(0)
	s_barrier
.LBB167_14:                             ;   Parent Loop BB167_6 Depth=1
                                        ; =>  This Inner Loop Header: Depth=2
	s_add_i32 s15, s16, 2
	s_and_b32 s18, s15, 0x3ffffff8
	s_lshl_b32 s18, s18, 2
	v_add_u32_e32 v10, s18, v133
	ds_read2_b32 v[120:121], v115 offset1:32
	ds_read_b128 v[4:7], v113
	ds_read_b128 v[0:3], v113 offset:16
	ds_read2_b32 v[8:9], v10 offset1:1
	s_sub_i32 s17, s16, 22
	s_and_b32 s19, s14, -16
	s_add_i32 s16, s16, s19
	s_lshr_b32 s19, s15, 2
	s_waitcnt lgkmcnt(0)
	v_ashrrev_i32_e32 v8, s17, v8
	v_and_b32_e32 v194, 0x3030303, v8
	v_ashrrev_i32_e32 v8, s17, v9
	v_and_b32_e32 v188, 0x3030303, v8
	ds_read2_b32 v[8:9], v10 offset0:2 offset1:3
	s_and_b32 s19, s19, 0x3ffffffc
	v_add_u32_e32 v122, s16, v162
	v_add_u32_e32 v202, s16, v161
	v_mov_b32_e32 v208, 0
	s_waitcnt lgkmcnt(0)
	v_ashrrev_i32_e32 v8, s17, v8
	v_and_b32_e32 v191, 0x3030303, v8
	v_ashrrev_i32_e32 v8, s17, v9
	v_and_b32_e32 v192, 0x3030303, v8
	ds_read2_b32 v[8:9], v10 offset0:4 offset1:5
	v_mov_b32_e32 v209, 0
	v_mov_b32_e32 v211, 0
	;; [unrolled: 1-line block ×4, first 2 shown]
	s_waitcnt lgkmcnt(0)
	v_ashrrev_i32_e32 v8, s17, v8
	v_and_b32_e32 v181, 0x3030303, v8
	v_ashrrev_i32_e32 v8, s17, v9
	v_and_b32_e32 v182, 0x3030303, v8
	ds_read2_b32 v[8:9], v10 offset0:6 offset1:7
	v_add_u32_e32 v10, s18, v135
	v_dot4c_i32_i8_e32 v208, v181, v0
	v_dot4c_i32_i8_e32 v123, v194, v4
	;; [unrolled: 1-line block ×3, first 2 shown]
	s_waitcnt lgkmcnt(0)
	v_ashrrev_i32_e32 v8, s17, v8
	v_and_b32_e32 v185, 0x3030303, v8
	v_ashrrev_i32_e32 v8, s17, v9
	v_and_b32_e32 v186, 0x3030303, v8
	v_add_u32_e32 v8, s19, v134
	ds_read_b32 v8, v8
	v_mov_b32_e32 v210, 0
	v_dot4c_i32_i8_e32 v123, v188, v5
	v_dot4c_i32_i8_e32 v208, v185, v2
	;; [unrolled: 1-line block ×3, first 2 shown]
	s_waitcnt lgkmcnt(0)
	v_cvt_f32_f16_e32 v112, v8
	v_cvt_f32_f16_sdwa v114, v8 dst_sel:DWORD dst_unused:UNUSED_PAD src0_sel:WORD_1
	ds_read2_b32 v[8:9], v10 offset1:1
	v_dot4c_i32_i8_e32 v208, v186, v3
	v_dot4c_i32_i8_e32 v123, v192, v7
	v_add_u32_e32 v200, s16, v160
	v_add_u32_e32 v199, s16, v159
	s_waitcnt lgkmcnt(0)
	v_ashrrev_i32_e32 v8, s17, v8
	v_and_b32_e32 v193, 0x3030303, v8
	v_ashrrev_i32_e32 v8, s17, v9
	v_and_b32_e32 v187, 0x3030303, v8
	ds_read2_b32 v[8:9], v10 offset0:2 offset1:3
	v_mov_b32_e32 v218, 0
	v_mov_b32_e32 v219, 0
	;; [unrolled: 1-line block ×4, first 2 shown]
	s_waitcnt lgkmcnt(0)
	v_ashrrev_i32_e32 v8, s17, v8
	v_and_b32_e32 v189, 0x3030303, v8
	v_ashrrev_i32_e32 v8, s17, v9
	v_and_b32_e32 v190, 0x3030303, v8
	ds_read2_b32 v[8:9], v10 offset0:4 offset1:5
	v_dot4c_i32_i8_e32 v201, v193, v4
	v_dot4c_i32_i8_e32 v201, v187, v5
	;; [unrolled: 1-line block ×4, first 2 shown]
	s_waitcnt lgkmcnt(0)
	v_ashrrev_i32_e32 v8, s17, v8
	v_and_b32_e32 v179, 0x3030303, v8
	v_ashrrev_i32_e32 v8, s17, v9
	v_and_b32_e32 v180, 0x3030303, v8
	ds_read2_b32 v[8:9], v10 offset0:6 offset1:7
	v_add_u32_e32 v10, s18, v137
	v_dot4c_i32_i8_e32 v212, v179, v0
	v_dot4c_i32_i8_e32 v212, v180, v1
	v_mov_b32_e32 v215, 0
	s_waitcnt lgkmcnt(0)
	v_ashrrev_i32_e32 v8, s17, v8
	v_and_b32_e32 v183, 0x3030303, v8
	v_ashrrev_i32_e32 v8, s17, v9
	v_and_b32_e32 v184, 0x3030303, v8
	v_add_u32_e32 v8, s19, v136
	ds_read_b32 v8, v8
	v_dot4c_i32_i8_e32 v212, v183, v2
	v_dot4c_i32_i8_e32 v212, v184, v3
	v_mov_b32_e32 v207, 0
	v_mov_b32_e32 v213, 0
	s_waitcnt lgkmcnt(0)
	v_cvt_f32_f16_e32 v116, v8
	v_cvt_f32_f16_sdwa v118, v8 dst_sel:DWORD dst_unused:UNUSED_PAD src0_sel:WORD_1
	ds_read2_b32 v[8:9], v10 offset1:1
	v_mov_b32_e32 v214, 0
	v_mov_b32_e32 v220, 0
	s_add_i32 s14, s14, 2
	s_cmp_lt_u32 s15, 30
	s_waitcnt lgkmcnt(0)
	v_ashrrev_i32_e32 v8, s17, v8
	v_and_b32_e32 v198, 0x3030303, v8
	v_ashrrev_i32_e32 v8, s17, v9
	v_and_b32_e32 v195, 0x3030303, v8
	ds_read2_b32 v[8:9], v10 offset0:2 offset1:3
	v_dot4c_i32_i8_e32 v207, v198, v4
	v_dot4c_i32_i8_e32 v207, v195, v5
	s_waitcnt lgkmcnt(0)
	v_ashrrev_i32_e32 v8, s17, v8
	v_and_b32_e32 v196, 0x3030303, v8
	v_ashrrev_i32_e32 v8, s17, v9
	v_and_b32_e32 v197, 0x3030303, v8
	ds_read2_b32 v[8:9], v10 offset0:4 offset1:5
	v_dot4c_i32_i8_e32 v207, v196, v6
	v_dot4c_i32_i8_e32 v207, v197, v7
	s_waitcnt lgkmcnt(0)
	v_ashrrev_i32_e32 v8, s17, v8
	v_and_b32_e32 v171, 0x3030303, v8
	v_ashrrev_i32_e32 v8, s17, v9
	v_and_b32_e32 v172, 0x3030303, v8
	ds_read2_b32 v[8:9], v10 offset0:6 offset1:7
	v_add_u32_e32 v10, s18, v139
	v_dot4c_i32_i8_e32 v215, v171, v0
	v_dot4c_i32_i8_e32 v215, v172, v1
	s_waitcnt lgkmcnt(0)
	v_ashrrev_i32_e32 v8, s17, v8
	v_and_b32_e32 v173, 0x3030303, v8
	v_ashrrev_i32_e32 v8, s17, v9
	v_and_b32_e32 v174, 0x3030303, v8
	v_add_u32_e32 v8, s19, v138
	ds_read_b32 v8, v8
	v_dot4c_i32_i8_e32 v215, v173, v2
	v_dot4c_i32_i8_e32 v215, v174, v3
	s_waitcnt lgkmcnt(0)
	v_cvt_f32_f16_e32 v108, v8
	v_cvt_f32_f16_sdwa v110, v8 dst_sel:DWORD dst_unused:UNUSED_PAD src0_sel:WORD_1
	ds_read2_b32 v[8:9], v10 offset1:1
	s_waitcnt lgkmcnt(0)
	v_ashrrev_i32_e32 v8, s17, v8
	v_and_b32_e32 v178, 0x3030303, v8
	v_ashrrev_i32_e32 v8, s17, v9
	v_and_b32_e32 v175, 0x3030303, v8
	ds_read2_b32 v[8:9], v10 offset0:2 offset1:3
	v_dot4c_i32_i8_e32 v213, v178, v4
	v_dot4c_i32_i8_e32 v213, v175, v5
	s_waitcnt lgkmcnt(0)
	v_ashrrev_i32_e32 v8, s17, v8
	v_and_b32_e32 v176, 0x3030303, v8
	v_ashrrev_i32_e32 v8, s17, v9
	v_and_b32_e32 v177, 0x3030303, v8
	ds_read2_b32 v[8:9], v10 offset0:4 offset1:5
	v_dot4c_i32_i8_e32 v213, v176, v6
	v_dot4c_i32_i8_e32 v213, v177, v7
	;; [unrolled: 8-line block ×3, first 2 shown]
	s_waitcnt lgkmcnt(0)
	v_ashrrev_i32_e32 v8, s17, v8
	v_and_b32_e32 v169, 0x3030303, v8
	v_ashrrev_i32_e32 v8, s17, v9
	v_and_b32_e32 v170, 0x3030303, v8
	v_add_u32_e32 v8, s19, v140
	ds_read_b32 v8, v8
	v_dot4c_i32_i8_e32 v214, v169, v2
	v_dot4c_i32_i8_e32 v214, v170, v3
	s_waitcnt lgkmcnt(0)
	v_cvt_f32_f16_e32 v104, v8
	v_cvt_f32_f16_sdwa v106, v8 dst_sel:DWORD dst_unused:UNUSED_PAD src0_sel:WORD_1
	ds_read_b128 v[12:15], v113 offset:1024
	ds_read_b128 v[8:11], v113 offset:1040
	ds_read_u16 v122, v122 offset:25074
	ds_read_u16 v202, v202 offset:26098
	s_waitcnt lgkmcnt(3)
	v_dot4c_i32_i8_e32 v209, v194, v12
	v_dot4c_i32_i8_e32 v209, v188, v13
	s_waitcnt lgkmcnt(1)
	v_bfe_u32 v203, v122, 4, 4
	v_mul_lo_u32 v206, v203, s1
	v_dot4c_i32_i8_e32 v211, v206, v4
	v_dot4c_i32_i8_e32 v216, v206, v12
	;; [unrolled: 1-line block ×7, first 2 shown]
	v_lshrrev_b32_sdwa v203, v167, v122 dst_sel:DWORD dst_unused:UNUSED_PAD src0_sel:DWORD src1_sel:BYTE_1
	v_dot4c_i32_i8_e32 v216, v206, v14
	v_dot4c_i32_i8_e32 v209, v192, v15
	v_dot4c_i32_i8_e32 v210, v182, v9
	v_dot4c_i32_i8_e32 v211, v206, v7
	v_mul_lo_u32 v205, v203, s1
	v_and_b32_sdwa v203, v122, v168 dst_sel:DWORD dst_unused:UNUSED_PAD src0_sel:BYTE_1 src1_sel:DWORD
	v_and_b32_e32 v204, 15, v122
	v_dot4c_i32_i8_e32 v216, v206, v15
	v_dot4c_i32_i8_e32 v210, v185, v10
	;; [unrolled: 1-line block ×3, first 2 shown]
	v_mul_lo_u32 v122, v204, v209
	v_mul_lo_u32 v208, v203, v208
	v_dot4c_i32_i8_e32 v216, v205, v8
                                        ; kill: def $vgpr209 killed $sgpr0 killed $exec
	v_dot4c_i32_i8_e32 v210, v186, v11
	v_dot4c_i32_i8_e32 v211, v205, v1
	v_dot4c_i32_i8_e32 v216, v205, v9
	v_mad_u64_u32 v[208:209], s[16:17], v204, v123, v[208:209]
                                        ; kill: def $vgpr123 killed $sgpr0 killed $exec
	v_dot4c_i32_i8_e32 v211, v205, v2
	v_dot4c_i32_i8_e32 v216, v205, v10
	v_mad_u64_u32 v[122:123], s[16:17], v203, v210, v[122:123]
	v_dot4c_i32_i8_e32 v211, v205, v3
	v_dot4c_i32_i8_e32 v216, v205, v11
	v_cvt_f32_i32_e32 v123, v122
	v_cvt_f32_i32_e32 v122, v208
	v_cvt_f32_i32_e32 v209, v211
	v_cvt_f32_i32_e32 v208, v216
	v_pk_mul_f32 v[122:123], v[112:113], v[122:123] op_sel_hi:[0,1]
	v_pk_fma_f32 v[208:209], v[114:115], v[208:209], v[122:123] op_sel:[0,0,1] op_sel_hi:[0,1,0] neg_lo:[1,0,0] neg_hi:[1,0,0]
	v_mov_b32_e32 v122, v121
	v_mov_b32_e32 v123, v120
	v_pk_fma_f32 v[62:63], v[122:123], v[208:209], v[62:63]
	s_waitcnt lgkmcnt(0)
	v_bfe_u32 v208, v202, 4, 4
	v_mul_lo_u32 v211, v208, s1
	v_mov_b32_e32 v120, 0
	v_dot4c_i32_i8_e32 v218, v211, v4
	v_dot4c_i32_i8_e32 v219, v211, v12
	;; [unrolled: 1-line block ×3, first 2 shown]
	v_mov_b32_e32 v121, 0
	v_dot4c_i32_i8_e32 v218, v211, v5
	v_dot4c_i32_i8_e32 v219, v211, v13
	;; [unrolled: 1-line block ×5, first 2 shown]
	v_lshrrev_b32_sdwa v208, v167, v202 dst_sel:DWORD dst_unused:UNUSED_PAD src0_sel:DWORD src1_sel:BYTE_1
	v_dot4c_i32_i8_e32 v219, v211, v14
	v_dot4c_i32_i8_e32 v120, v189, v14
	;; [unrolled: 1-line block ×4, first 2 shown]
	v_mul_lo_u32 v210, v208, s1
	v_dot4c_i32_i8_e32 v219, v211, v15
	v_dot4c_i32_i8_e32 v120, v190, v15
	;; [unrolled: 1-line block ×4, first 2 shown]
	v_and_b32_sdwa v208, v202, v168 dst_sel:DWORD dst_unused:UNUSED_PAD src0_sel:BYTE_1 src1_sel:DWORD
	v_and_b32_e32 v209, 15, v202
	v_dot4c_i32_i8_e32 v219, v210, v8
	v_dot4c_i32_i8_e32 v121, v184, v11
	;; [unrolled: 1-line block ×3, first 2 shown]
	v_mul_lo_u32 v120, v209, v120
	v_mul_lo_u32 v202, v208, v212
	v_dot4c_i32_i8_e32 v219, v210, v9
	v_dot4c_i32_i8_e32 v218, v210, v2
	;; [unrolled: 1-line block ×3, first 2 shown]
	v_mad_u64_u32 v[216:217], s[16:17], v209, v201, v[202:203]
	v_mad_u64_u32 v[120:121], s[16:17], v208, v121, v[120:121]
	ds_read_u16 v201, v200 offset:27122
	v_dot4c_i32_i8_e32 v218, v210, v3
	v_dot4c_i32_i8_e32 v219, v210, v11
	v_cvt_f32_i32_e32 v121, v120
	v_cvt_f32_i32_e32 v120, v216
	;; [unrolled: 1-line block ×4, first 2 shown]
	s_waitcnt lgkmcnt(0)
	v_bfe_u32 v200, v201, 4, 4
	v_pk_mul_f32 v[120:121], v[116:117], v[120:121] op_sel_hi:[0,1]
	v_mul_lo_u32 v212, v200, s1
	v_pk_fma_f32 v[120:121], v[118:119], v[216:217], v[120:121] op_sel:[0,0,1] op_sel_hi:[0,1,0] neg_lo:[1,0,0] neg_hi:[1,0,0]
	v_mov_b32_e32 v218, 0
	v_mov_b32_e32 v219, 0
	v_pk_fma_f32 v[72:73], v[122:123], v[120:121], v[72:73]
	v_mov_b32_e32 v120, 0
	v_dot4c_i32_i8_e32 v218, v212, v4
	v_dot4c_i32_i8_e32 v219, v212, v12
	;; [unrolled: 1-line block ×3, first 2 shown]
	v_mov_b32_e32 v121, 0
	v_dot4c_i32_i8_e32 v218, v212, v5
	v_dot4c_i32_i8_e32 v219, v212, v13
	;; [unrolled: 1-line block ×5, first 2 shown]
	v_lshrrev_b32_sdwa v200, v167, v201 dst_sel:DWORD dst_unused:UNUSED_PAD src0_sel:DWORD src1_sel:BYTE_1
	v_dot4c_i32_i8_e32 v219, v212, v14
	v_dot4c_i32_i8_e32 v120, v196, v14
	;; [unrolled: 1-line block ×4, first 2 shown]
	v_mul_lo_u32 v202, v200, s1
	v_dot4c_i32_i8_e32 v219, v212, v15
	v_dot4c_i32_i8_e32 v120, v197, v15
	;; [unrolled: 1-line block ×4, first 2 shown]
	v_and_b32_sdwa v200, v201, v168 dst_sel:DWORD dst_unused:UNUSED_PAD src0_sel:BYTE_1 src1_sel:DWORD
	v_and_b32_e32 v201, 15, v201
	v_dot4c_i32_i8_e32 v219, v202, v8
	v_dot4c_i32_i8_e32 v121, v174, v11
	;; [unrolled: 1-line block ×3, first 2 shown]
	v_mul_lo_u32 v120, v201, v120
	v_mul_lo_u32 v216, v200, v215
	v_dot4c_i32_i8_e32 v219, v202, v9
	v_dot4c_i32_i8_e32 v218, v202, v2
	;; [unrolled: 1-line block ×3, first 2 shown]
	v_mad_u64_u32 v[216:217], s[16:17], v201, v207, v[216:217]
	v_mad_u64_u32 v[120:121], s[16:17], v200, v121, v[120:121]
	v_dot4c_i32_i8_e32 v218, v202, v3
	v_dot4c_i32_i8_e32 v219, v202, v11
	v_cvt_f32_i32_e32 v121, v120
	v_cvt_f32_i32_e32 v120, v216
	;; [unrolled: 1-line block ×4, first 2 shown]
	v_mov_b32_e32 v215, 0
	v_pk_mul_f32 v[120:121], v[108:109], v[120:121] op_sel_hi:[0,1]
	v_dot4c_i32_i8_e32 v215, v178, v12
	v_pk_fma_f32 v[120:121], v[110:111], v[216:217], v[120:121] op_sel:[0,0,1] op_sel_hi:[0,1,0] neg_lo:[1,0,0] neg_hi:[1,0,0]
	v_pk_fma_f32 v[50:51], v[122:123], v[120:121], v[50:51]
	ds_read_u16 v121, v199 offset:28146
	v_mov_b32_e32 v217, 0
	v_mov_b32_e32 v216, 0
	v_dot4c_i32_i8_e32 v215, v175, v13
	v_dot4c_i32_i8_e32 v216, v117, v8
	s_waitcnt lgkmcnt(0)
	v_bfe_u32 v120, v121, 4, 4
	v_mul_lo_u32 v207, v120, s1
	v_dot4c_i32_i8_e32 v217, v207, v4
	v_lshrrev_b32_sdwa v4, v167, v121 dst_sel:DWORD dst_unused:UNUSED_PAD src0_sel:DWORD src1_sel:BYTE_1
	v_mul_lo_u32 v199, v4, s1
	v_mov_b32_e32 v4, 0
	v_dot4c_i32_i8_e32 v217, v207, v5
	v_dot4c_i32_i8_e32 v4, v207, v12
	;; [unrolled: 1-line block ×13, first 2 shown]
	v_and_b32_sdwa v120, v121, v168 dst_sel:DWORD dst_unused:UNUSED_PAD src0_sel:BYTE_1 src1_sel:DWORD
	v_and_b32_e32 v121, 15, v121
	v_dot4c_i32_i8_e32 v4, v199, v8
	v_dot4c_i32_i8_e32 v216, v170, v11
	;; [unrolled: 1-line block ×3, first 2 shown]
	v_mul_lo_u32 v0, v121, v215
	v_mul_lo_u32 v2, v120, v214
	v_dot4c_i32_i8_e32 v4, v199, v9
                                        ; kill: def $vgpr1 killed $sgpr0 killed $exec
	v_dot4c_i32_i8_e32 v217, v199, v3
	v_dot4c_i32_i8_e32 v4, v199, v10
	v_mad_u64_u32 v[2:3], s[16:17], v121, v213, v[2:3]
	v_mad_u64_u32 v[0:1], s[16:17], v120, v216, v[0:1]
	v_dot4c_i32_i8_e32 v4, v199, v11
	v_cvt_f32_i32_e32 v1, v0
	v_cvt_f32_i32_e32 v0, v2
	;; [unrolled: 1-line block ×4, first 2 shown]
	v_mov_b32_e32 v14, 0
	v_pk_mul_f32 v[0:1], v[104:105], v[0:1] op_sel_hi:[0,1]
	v_mov_b32_e32 v214, 0
	v_pk_fma_f32 v[0:1], v[106:107], v[2:3], v[0:1] op_sel:[0,0,1] op_sel_hi:[0,1,0] neg_lo:[1,0,0] neg_hi:[1,0,0]
	v_pk_fma_f32 v[40:41], v[122:123], v[0:1], v[40:41]
	ds_read2_b32 v[8:9], v115 offset0:64 offset1:96
	ds_read_b128 v[0:3], v113 offset:2048
	ds_read_b128 v[4:7], v113 offset:2064
	v_mov_b32_e32 v122, 0
	v_mov_b32_e32 v217, 0
	;; [unrolled: 1-line block ×3, first 2 shown]
	s_waitcnt lgkmcnt(1)
	v_dot4c_i32_i8_e32 v14, v206, v0
	v_dot4c_i32_i8_e32 v122, v211, v0
	;; [unrolled: 1-line block ×13, first 2 shown]
	v_mov_b32_e32 v12, 0
	v_mov_b32_e32 v15, 0
	v_dot4c_i32_i8_e32 v122, v211, v3
	v_mov_b32_e32 v123, 0
	v_mov_b32_e32 v213, 0
	v_dot4c_i32_i8_e32 v214, v212, v3
	;; [unrolled: 3-line block ×3, first 2 shown]
	v_mov_b32_e32 v218, 0
	v_dot4c_i32_i8_e32 v11, v194, v0
	s_waitcnt lgkmcnt(0)
	v_dot4c_i32_i8_e32 v12, v181, v4
	v_dot4c_i32_i8_e32 v14, v205, v4
	;; [unrolled: 1-line block ×47, first 2 shown]
	ds_read_b128 v[4:7], v113 offset:3072
	ds_read_b128 v[0:3], v113 offset:3088
	v_mov_b32_e32 v219, 0
	v_mov_b32_e32 v10, 0
	v_mul_lo_u32 v12, v12, v203
	s_waitcnt lgkmcnt(1)
	v_dot4c_i32_i8_e32 v219, v206, v4
	v_dot4c_i32_i8_e32 v219, v206, v5
	;; [unrolled: 1-line block ×6, first 2 shown]
	s_waitcnt lgkmcnt(0)
	v_dot4c_i32_i8_e32 v220, v181, v0
	v_dot4c_i32_i8_e32 v10, v191, v6
	;; [unrolled: 1-line block ×7, first 2 shown]
                                        ; kill: def $vgpr13 killed $sgpr0 killed $exec
	v_dot4c_i32_i8_e32 v219, v205, v2
	v_dot4c_i32_i8_e32 v220, v186, v3
	v_mul_lo_u32 v10, v10, v204
	v_mad_u64_u32 v[12:13], s[16:17], v11, v204, v[12:13]
                                        ; kill: def $vgpr11 killed $sgpr0 killed $exec
	v_dot4c_i32_i8_e32 v219, v205, v3
	v_mad_u64_u32 v[10:11], s[16:17], v220, v203, v[10:11]
	v_cvt_f32_i32_e32 v11, v10
	v_cvt_f32_i32_e32 v10, v12
	;; [unrolled: 1-line block ×4, first 2 shown]
	v_mov_b32_e32 v14, 0
	v_dot4c_i32_i8_e32 v14, v211, v4
	v_dot4c_i32_i8_e32 v14, v211, v5
	v_pk_mul_f32 v[12:13], v[114:115], v[12:13] op_sel_hi:[0,1]
	v_pk_fma_f32 v[10:11], v[112:113], v[10:11], v[12:13] op_sel_hi:[0,1,1] neg_lo:[0,0,1] neg_hi:[0,0,1]
	v_pk_fma_f32 v[38:39], v[8:9], v[10:11], v[38:39]
	v_mov_b32_e32 v10, 0
	v_dot4c_i32_i8_e32 v10, v193, v4
	v_dot4c_i32_i8_e32 v14, v211, v6
	v_mov_b32_e32 v11, 0
	v_dot4c_i32_i8_e32 v10, v187, v5
	v_dot4c_i32_i8_e32 v14, v211, v7
	;; [unrolled: 1-line block ×11, first 2 shown]
	v_mul_lo_u32 v10, v10, v209
	v_mul_lo_u32 v12, v123, v208
                                        ; kill: def $vgpr13 killed $sgpr0 killed $exec
	v_dot4c_i32_i8_e32 v14, v210, v3
	v_mad_u64_u32 v[12:13], s[16:17], v15, v209, v[12:13]
	v_mad_u64_u32 v[10:11], s[16:17], v11, v208, v[10:11]
	v_cvt_f32_i32_e32 v11, v10
	v_cvt_f32_i32_e32 v10, v12
	;; [unrolled: 1-line block ×4, first 2 shown]
	v_mov_b32_e32 v14, 0
	v_dot4c_i32_i8_e32 v14, v212, v4
	v_dot4c_i32_i8_e32 v14, v212, v5
	v_pk_mul_f32 v[12:13], v[118:119], v[12:13] op_sel_hi:[0,1]
	v_pk_fma_f32 v[10:11], v[116:117], v[10:11], v[12:13] op_sel_hi:[0,1,1] neg_lo:[0,0,1] neg_hi:[0,0,1]
	v_pk_fma_f32 v[36:37], v[8:9], v[10:11], v[36:37]
	v_mov_b32_e32 v10, 0
	v_dot4c_i32_i8_e32 v10, v198, v4
	v_dot4c_i32_i8_e32 v14, v212, v6
	v_mov_b32_e32 v11, 0
	v_dot4c_i32_i8_e32 v10, v195, v5
	v_dot4c_i32_i8_e32 v14, v212, v7
	;; [unrolled: 1-line block ×11, first 2 shown]
	v_mul_lo_u32 v10, v10, v201
	v_mul_lo_u32 v12, v215, v200
                                        ; kill: def $vgpr13 killed $sgpr0 killed $exec
	v_dot4c_i32_i8_e32 v14, v202, v3
	v_mad_u64_u32 v[12:13], s[16:17], v213, v201, v[12:13]
	v_mad_u64_u32 v[10:11], s[16:17], v11, v200, v[10:11]
	v_cvt_f32_i32_e32 v11, v10
	v_cvt_f32_i32_e32 v10, v12
	v_cvt_f32_i32_e32 v13, v14
	v_cvt_f32_i32_e32 v12, v214
	v_mov_b32_e32 v14, 0
	v_mov_b32_e32 v122, 0
	;; [unrolled: 1-line block ×3, first 2 shown]
	v_pk_mul_f32 v[12:13], v[110:111], v[12:13] op_sel_hi:[0,1]
	v_pk_fma_f32 v[10:11], v[108:109], v[10:11], v[12:13] op_sel_hi:[0,1,1] neg_lo:[0,0,1] neg_hi:[0,0,1]
	v_pk_fma_f32 v[34:35], v[8:9], v[10:11], v[34:35]
	v_mov_b32_e32 v11, 0
	v_dot4c_i32_i8_e32 v11, v207, v4
	v_mov_b32_e32 v10, 0
	v_dot4c_i32_i8_e32 v11, v207, v5
	v_dot4c_i32_i8_e32 v10, v178, v4
	;; [unrolled: 1-line block ×3, first 2 shown]
	v_mov_b32_e32 v4, 0
	v_dot4c_i32_i8_e32 v10, v175, v5
	v_dot4c_i32_i8_e32 v11, v207, v7
	;; [unrolled: 1-line block ×11, first 2 shown]
	v_mul_lo_u32 v0, v10, v121
	v_mul_lo_u32 v2, v218, v120
                                        ; kill: def $vgpr1 killed $sgpr0 killed $exec
	v_dot4c_i32_i8_e32 v11, v199, v3
	v_mad_u64_u32 v[2:3], s[16:17], v216, v121, v[2:3]
	v_mad_u64_u32 v[0:1], s[16:17], v4, v120, v[0:1]
	v_cvt_f32_i32_e32 v1, v0
	v_cvt_f32_i32_e32 v0, v2
	;; [unrolled: 1-line block ×4, first 2 shown]
	v_mov_b32_e32 v217, 0
	v_mov_b32_e32 v11, 0
	;; [unrolled: 1-line block ×3, first 2 shown]
	v_pk_mul_f32 v[2:3], v[106:107], v[2:3] op_sel_hi:[0,1]
	v_pk_fma_f32 v[0:1], v[104:105], v[0:1], v[2:3] op_sel_hi:[0,1,1] neg_lo:[0,0,1] neg_hi:[0,0,1]
	v_pk_fma_f32 v[32:33], v[8:9], v[0:1], v[32:33]
	ds_read2_b32 v[8:9], v115 offset0:128 offset1:160
	ds_read_b128 v[0:3], v113 offset:4096
	ds_read_b128 v[4:7], v113 offset:4112
	v_mov_b32_e32 v15, 0
	v_mov_b32_e32 v123, 0
	;; [unrolled: 1-line block ×3, first 2 shown]
	s_waitcnt lgkmcnt(1)
	v_dot4c_i32_i8_e32 v14, v206, v0
	v_dot4c_i32_i8_e32 v122, v211, v0
	;; [unrolled: 1-line block ×15, first 2 shown]
	v_mov_b32_e32 v215, 0
	v_mov_b32_e32 v216, 0
	v_dot4c_i32_i8_e32 v217, v207, v3
	v_mov_b32_e32 v218, 0
	v_dot4c_i32_i8_e32 v11, v194, v0
	s_waitcnt lgkmcnt(0)
	v_dot4c_i32_i8_e32 v12, v181, v4
	v_dot4c_i32_i8_e32 v14, v205, v4
	;; [unrolled: 1-line block ×47, first 2 shown]
	ds_read_b128 v[4:7], v113 offset:5120
	ds_read_b128 v[0:3], v113 offset:5136
	v_mov_b32_e32 v219, 0
	v_mov_b32_e32 v10, 0
	;; [unrolled: 1-line block ×3, first 2 shown]
	s_waitcnt lgkmcnt(1)
	v_dot4c_i32_i8_e32 v219, v206, v4
	v_dot4c_i32_i8_e32 v219, v206, v5
	;; [unrolled: 1-line block ×6, first 2 shown]
	s_waitcnt lgkmcnt(0)
	v_dot4c_i32_i8_e32 v220, v181, v0
	v_dot4c_i32_i8_e32 v10, v191, v6
	;; [unrolled: 1-line block ×7, first 2 shown]
	v_mul_lo_u32 v12, v12, v203
                                        ; kill: def $vgpr13 killed $sgpr0 killed $exec
	v_dot4c_i32_i8_e32 v219, v205, v2
	v_dot4c_i32_i8_e32 v220, v186, v3
	v_mul_lo_u32 v10, v10, v204
	v_mad_u64_u32 v[12:13], s[16:17], v11, v204, v[12:13]
                                        ; kill: def $vgpr11 killed $sgpr0 killed $exec
	v_dot4c_i32_i8_e32 v219, v205, v3
	v_mad_u64_u32 v[10:11], s[16:17], v220, v203, v[10:11]
	v_cvt_f32_i32_e32 v11, v10
	v_cvt_f32_i32_e32 v10, v12
	;; [unrolled: 1-line block ×4, first 2 shown]
	v_mov_b32_e32 v14, 0
	v_dot4c_i32_i8_e32 v14, v211, v4
	v_dot4c_i32_i8_e32 v14, v211, v5
	v_pk_mul_f32 v[12:13], v[114:115], v[12:13] op_sel_hi:[0,1]
	v_pk_fma_f32 v[10:11], v[112:113], v[10:11], v[12:13] op_sel_hi:[0,1,1] neg_lo:[0,0,1] neg_hi:[0,0,1]
	v_pk_fma_f32 v[30:31], v[8:9], v[10:11], v[30:31]
	v_mov_b32_e32 v10, 0
	v_dot4c_i32_i8_e32 v10, v193, v4
	v_dot4c_i32_i8_e32 v14, v211, v6
	v_mov_b32_e32 v11, 0
	v_dot4c_i32_i8_e32 v10, v187, v5
	v_dot4c_i32_i8_e32 v14, v211, v7
	;; [unrolled: 1-line block ×11, first 2 shown]
	v_mul_lo_u32 v10, v10, v209
	v_mul_lo_u32 v12, v123, v208
                                        ; kill: def $vgpr13 killed $sgpr0 killed $exec
	v_dot4c_i32_i8_e32 v14, v210, v3
	v_mad_u64_u32 v[12:13], s[16:17], v15, v209, v[12:13]
	v_mad_u64_u32 v[10:11], s[16:17], v11, v208, v[10:11]
	v_cvt_f32_i32_e32 v11, v10
	v_cvt_f32_i32_e32 v10, v12
	;; [unrolled: 1-line block ×4, first 2 shown]
	v_mov_b32_e32 v14, 0
	v_dot4c_i32_i8_e32 v14, v212, v4
	v_dot4c_i32_i8_e32 v14, v212, v5
	v_pk_mul_f32 v[12:13], v[118:119], v[12:13] op_sel_hi:[0,1]
	v_pk_fma_f32 v[10:11], v[116:117], v[10:11], v[12:13] op_sel_hi:[0,1,1] neg_lo:[0,0,1] neg_hi:[0,0,1]
	v_pk_fma_f32 v[28:29], v[8:9], v[10:11], v[28:29]
	v_mov_b32_e32 v10, 0
	v_dot4c_i32_i8_e32 v10, v198, v4
	v_dot4c_i32_i8_e32 v14, v212, v6
	v_mov_b32_e32 v11, 0
	v_dot4c_i32_i8_e32 v10, v195, v5
	v_dot4c_i32_i8_e32 v14, v212, v7
	;; [unrolled: 1-line block ×11, first 2 shown]
	v_mul_lo_u32 v10, v10, v201
	v_mul_lo_u32 v12, v215, v200
                                        ; kill: def $vgpr13 killed $sgpr0 killed $exec
	v_dot4c_i32_i8_e32 v14, v202, v3
	v_mad_u64_u32 v[12:13], s[16:17], v213, v201, v[12:13]
	v_mad_u64_u32 v[10:11], s[16:17], v11, v200, v[10:11]
	v_cvt_f32_i32_e32 v11, v10
	v_cvt_f32_i32_e32 v10, v12
	;; [unrolled: 1-line block ×4, first 2 shown]
	v_mov_b32_e32 v213, 0
	v_mov_b32_e32 v215, 0
	;; [unrolled: 1-line block ×3, first 2 shown]
	v_pk_mul_f32 v[12:13], v[110:111], v[12:13] op_sel_hi:[0,1]
	v_pk_fma_f32 v[10:11], v[108:109], v[10:11], v[12:13] op_sel_hi:[0,1,1] neg_lo:[0,0,1] neg_hi:[0,0,1]
	v_pk_fma_f32 v[26:27], v[8:9], v[10:11], v[26:27]
	v_mov_b32_e32 v11, 0
	v_dot4c_i32_i8_e32 v11, v207, v4
	v_mov_b32_e32 v10, 0
	v_dot4c_i32_i8_e32 v11, v207, v5
	v_dot4c_i32_i8_e32 v10, v178, v4
	;; [unrolled: 1-line block ×3, first 2 shown]
	v_mov_b32_e32 v4, 0
	v_dot4c_i32_i8_e32 v10, v175, v5
	v_dot4c_i32_i8_e32 v11, v207, v7
	;; [unrolled: 1-line block ×11, first 2 shown]
	v_mul_lo_u32 v0, v10, v121
	v_mul_lo_u32 v2, v218, v120
                                        ; kill: def $vgpr1 killed $sgpr0 killed $exec
	v_dot4c_i32_i8_e32 v11, v199, v3
	v_mad_u64_u32 v[2:3], s[16:17], v216, v121, v[2:3]
	v_mad_u64_u32 v[0:1], s[16:17], v4, v120, v[0:1]
	v_cvt_f32_i32_e32 v1, v0
	v_cvt_f32_i32_e32 v0, v2
	v_cvt_f32_i32_e32 v3, v11
	v_cvt_f32_i32_e32 v2, v217
	v_mov_b32_e32 v13, 0
	v_mov_b32_e32 v10, 0
	;; [unrolled: 1-line block ×3, first 2 shown]
	v_pk_mul_f32 v[2:3], v[106:107], v[2:3] op_sel_hi:[0,1]
	v_pk_fma_f32 v[0:1], v[104:105], v[0:1], v[2:3] op_sel_hi:[0,1,1] neg_lo:[0,0,1] neg_hi:[0,0,1]
	v_pk_fma_f32 v[24:25], v[8:9], v[0:1], v[24:25]
	ds_read2_b32 v[8:9], v115 offset0:192 offset1:224
	ds_read_b128 v[0:3], v113 offset:6144
	ds_read_b128 v[4:7], v113 offset:6160
	v_mov_b32_e32 v214, 0
	v_mov_b32_e32 v216, 0
	;; [unrolled: 1-line block ×3, first 2 shown]
	s_waitcnt lgkmcnt(1)
	v_dot4c_i32_i8_e32 v213, v206, v0
	v_dot4c_i32_i8_e32 v215, v211, v0
	;; [unrolled: 1-line block ×15, first 2 shown]
	v_mov_b32_e32 v217, 0
	v_mov_b32_e32 v11, 0
	v_dot4c_i32_i8_e32 v10, v207, v3
	v_mov_b32_e32 v12, 0
	v_dot4c_i32_i8_e32 v15, v194, v0
	s_waitcnt lgkmcnt(0)
	v_dot4c_i32_i8_e32 v123, v181, v4
	v_dot4c_i32_i8_e32 v213, v205, v4
	v_dot4c_i32_i8_e32 v214, v193, v0
	v_dot4c_i32_i8_e32 v216, v179, v4
	v_dot4c_i32_i8_e32 v215, v210, v4
	v_dot4c_i32_i8_e32 v14, v198, v0
	v_dot4c_i32_i8_e32 v217, v171, v4
	v_dot4c_i32_i8_e32 v13, v202, v4
	v_dot4c_i32_i8_e32 v11, v178, v0
	v_dot4c_i32_i8_e32 v12, v117, v4
	v_dot4c_i32_i8_e32 v10, v199, v4
	v_dot4c_i32_i8_e32 v15, v188, v1
	v_dot4c_i32_i8_e32 v123, v182, v5
	v_dot4c_i32_i8_e32 v213, v205, v5
	v_dot4c_i32_i8_e32 v214, v187, v1
	v_dot4c_i32_i8_e32 v216, v180, v5
	v_dot4c_i32_i8_e32 v215, v210, v5
	v_dot4c_i32_i8_e32 v14, v195, v1
	v_dot4c_i32_i8_e32 v217, v172, v5
	v_dot4c_i32_i8_e32 v13, v202, v5
	v_dot4c_i32_i8_e32 v11, v175, v1
	v_dot4c_i32_i8_e32 v12, v119, v5
	v_dot4c_i32_i8_e32 v10, v199, v5
	v_dot4c_i32_i8_e32 v15, v191, v2
	v_dot4c_i32_i8_e32 v123, v185, v6
	v_dot4c_i32_i8_e32 v213, v205, v6
	v_dot4c_i32_i8_e32 v214, v189, v2
	v_dot4c_i32_i8_e32 v216, v183, v6
	v_dot4c_i32_i8_e32 v215, v210, v6
	v_dot4c_i32_i8_e32 v14, v196, v2
	v_dot4c_i32_i8_e32 v217, v173, v6
	v_dot4c_i32_i8_e32 v13, v202, v6
	v_dot4c_i32_i8_e32 v11, v176, v2
	v_dot4c_i32_i8_e32 v12, v169, v6
	v_dot4c_i32_i8_e32 v10, v199, v6
	v_dot4c_i32_i8_e32 v15, v192, v3
	v_dot4c_i32_i8_e32 v123, v186, v7
	v_dot4c_i32_i8_e32 v213, v205, v7
	v_dot4c_i32_i8_e32 v214, v190, v3
	v_dot4c_i32_i8_e32 v216, v184, v7
	v_dot4c_i32_i8_e32 v215, v210, v7
	v_dot4c_i32_i8_e32 v14, v197, v3
	v_dot4c_i32_i8_e32 v217, v174, v7
	v_dot4c_i32_i8_e32 v13, v202, v7
	v_dot4c_i32_i8_e32 v11, v177, v3
	v_dot4c_i32_i8_e32 v12, v170, v7
	v_dot4c_i32_i8_e32 v10, v199, v7
	ds_read_b128 v[4:7], v113 offset:7168
	ds_read_b128 v[0:3], v113 offset:7184
	v_mov_b32_e32 v122, 0
	s_waitcnt lgkmcnt(1)
	v_dot4c_i32_i8_e32 v122, v194, v4
	v_mov_b32_e32 v194, 0
	v_dot4c_i32_i8_e32 v194, v206, v4
	v_dot4c_i32_i8_e32 v194, v206, v5
	v_dot4c_i32_i8_e32 v194, v206, v6
	v_dot4c_i32_i8_e32 v122, v188, v5
	v_dot4c_i32_i8_e32 v194, v206, v7
	v_mov_b32_e32 v188, 0
	s_waitcnt lgkmcnt(0)
	v_dot4c_i32_i8_e32 v188, v181, v0
	v_dot4c_i32_i8_e32 v194, v205, v0
	;; [unrolled: 1-line block ×8, first 2 shown]
	v_mul_lo_u32 v182, v123, v203
	v_dot4c_i32_i8_e32 v188, v186, v3
	v_dot4c_i32_i8_e32 v194, v205, v3
	v_mul_lo_u32 v122, v122, v204
                                        ; kill: def $vgpr123 killed $sgpr0 killed $exec
	v_mad_u64_u32 v[204:205], s[16:17], v15, v204, v[182:183]
	v_mov_b32_e32 v182, 0
	v_mad_u64_u32 v[122:123], s[16:17], v188, v203, v[122:123]
	v_dot4c_i32_i8_e32 v182, v211, v4
	v_cvt_f32_i32_e32 v123, v122
	v_cvt_f32_i32_e32 v122, v204
	;; [unrolled: 1-line block ×4, first 2 shown]
	v_mov_b32_e32 v15, 0
	v_dot4c_i32_i8_e32 v182, v211, v5
	v_dot4c_i32_i8_e32 v15, v193, v4
	;; [unrolled: 1-line block ×3, first 2 shown]
	v_mov_b32_e32 v181, 0
	v_dot4c_i32_i8_e32 v15, v187, v5
	v_dot4c_i32_i8_e32 v182, v211, v7
	;; [unrolled: 1-line block ×6, first 2 shown]
	v_pk_mul_f32 v[204:205], v[114:115], v[204:205] op_sel_hi:[0,1]
	v_dot4c_i32_i8_e32 v15, v190, v7
	v_dot4c_i32_i8_e32 v182, v210, v1
	v_dot4c_i32_i8_e32 v181, v183, v2
	v_pk_fma_f32 v[122:123], v[112:113], v[122:123], v[204:205] op_sel_hi:[0,1,1] neg_lo:[0,0,1] neg_hi:[0,0,1]
	v_dot4c_i32_i8_e32 v182, v210, v2
	v_dot4c_i32_i8_e32 v181, v184, v3
	v_mul_lo_u32 v112, v15, v209
	v_mul_lo_u32 v114, v216, v208
	v_pk_fma_f32 v[22:23], v[8:9], v[122:123], v[22:23]
	v_dot4c_i32_i8_e32 v182, v210, v3
	v_mad_u64_u32 v[122:123], s[16:17], v214, v209, v[114:115]
	v_mad_u64_u32 v[180:181], s[16:17], v181, v208, v[112:113]
	v_cvt_f32_i32_e32 v123, v180
	v_cvt_f32_i32_e32 v181, v182
	;; [unrolled: 1-line block ×4, first 2 shown]
	v_mov_b32_e32 v15, 0
	v_dot4c_i32_i8_e32 v15, v198, v4
	v_pk_mul_f32 v[180:181], v[118:119], v[180:181] op_sel_hi:[0,1]
	v_pk_fma_f32 v[122:123], v[116:117], v[122:123], v[180:181] op_sel_hi:[0,1,1] neg_lo:[0,0,1] neg_hi:[0,0,1]
	v_mov_b32_e32 v116, 0
	v_dot4c_i32_i8_e32 v116, v212, v4
	v_dot4c_i32_i8_e32 v116, v212, v5
	;; [unrolled: 1-line block ×3, first 2 shown]
	v_mov_b32_e32 v118, 0
	v_dot4c_i32_i8_e32 v15, v195, v5
	v_dot4c_i32_i8_e32 v116, v212, v7
	;; [unrolled: 1-line block ×11, first 2 shown]
	v_mul_lo_u32 v112, v15, v201
	v_mul_lo_u32 v114, v217, v200
	v_pk_fma_f32 v[20:21], v[8:9], v[122:123], v[20:21]
	v_dot4c_i32_i8_e32 v116, v202, v3
	v_mad_u64_u32 v[14:15], s[16:17], v14, v201, v[114:115]
	v_mad_u64_u32 v[122:123], s[16:17], v118, v200, v[112:113]
	v_cvt_f32_i32_e32 v15, v122
	v_cvt_f32_i32_e32 v123, v116
	;; [unrolled: 1-line block ×4, first 2 shown]
	v_mov_b32_e32 v13, 0
	v_dot4c_i32_i8_e32 v13, v178, v4
	v_pk_mul_f32 v[122:123], v[110:111], v[122:123] op_sel_hi:[0,1]
	v_pk_fma_f32 v[14:15], v[108:109], v[14:15], v[122:123] op_sel_hi:[0,1,1] neg_lo:[0,0,1] neg_hi:[0,0,1]
	v_pk_fma_f32 v[18:19], v[8:9], v[14:15], v[18:19]
	v_mov_b32_e32 v14, 0
	v_dot4c_i32_i8_e32 v14, v207, v4
	v_dot4c_i32_i8_e32 v14, v207, v5
	;; [unrolled: 1-line block ×3, first 2 shown]
	v_mov_b32_e32 v4, 0
	v_dot4c_i32_i8_e32 v13, v175, v5
	v_dot4c_i32_i8_e32 v14, v207, v7
	;; [unrolled: 1-line block ×11, first 2 shown]
	v_mul_lo_u32 v0, v13, v121
	v_mul_lo_u32 v2, v12, v120
                                        ; kill: def $vgpr1 killed $sgpr0 killed $exec
	v_dot4c_i32_i8_e32 v14, v199, v3
	v_mad_u64_u32 v[2:3], s[16:17], v11, v121, v[2:3]
	v_mad_u64_u32 v[0:1], s[16:17], v4, v120, v[0:1]
	v_cvt_f32_i32_e32 v1, v0
	v_cvt_f32_i32_e32 v0, v2
	;; [unrolled: 1-line block ×4, first 2 shown]
	v_add_u32_e32 v115, 4, v115
	v_add_u32_e32 v113, 32, v113
	s_mov_b32 s16, s15
	v_pk_mul_f32 v[2:3], v[106:107], v[2:3] op_sel_hi:[0,1]
	v_pk_fma_f32 v[0:1], v[104:105], v[0:1], v[2:3] op_sel_hi:[0,1,1] neg_lo:[0,0,1] neg_hi:[0,0,1]
	v_pk_fma_f32 v[16:17], v[8:9], v[0:1], v[16:17]
	s_cbranch_scc1 .LBB167_14
; %bb.15:                               ;   in Loop: Header=BB167_6 Depth=1
	s_barrier
	s_branch .LBB167_5
.LBB167_16:
	v_mov_b32_e32 v1, v45
.LBB167_17:
	v_cmp_gt_u32_e32 vcc, s8, v47
	s_and_saveexec_b64 s[0:1], vcc
	s_cbranch_execz .LBB167_68
; %bb.18:
	v_add_u32_e32 v0, s6, v43
	v_mul_lo_u32 v5, v47, s10
	v_cmp_gt_u32_e32 vcc, s10, v0
	s_and_saveexec_b64 s[2:3], vcc
	s_cbranch_execz .LBB167_20
; %bb.19:
	v_bfe_u32 v2, v63, 16, 1
	s_movk_i32 s0, 0x7fff
	v_add3_u32 v2, v63, v2, s0
	v_lshrrev_b32_e32 v2, 16, v2
	v_mov_b32_e32 v3, 0x7fc0
	v_cmp_o_f32_e64 s[0:1], v63, v63
	v_cndmask_b32_e64 v4, v3, v2, s[0:1]
	v_add_u32_e32 v2, v0, v5
	v_mov_b32_e32 v3, 0
	v_lshlrev_b64 v[2:3], 1, v[2:3]
	s_waitcnt lgkmcnt(0)
	v_mov_b32_e32 v6, s13
	v_add_co_u32_e64 v2, s[0:1], s12, v2
	v_addc_co_u32_e64 v3, s[0:1], v6, v3, s[0:1]
	global_store_short v[2:3], v4, off
.LBB167_20:
	s_or_b64 exec, exec, s[2:3]
	v_add_u32_e32 v2, 32, v0
	v_cmp_gt_u32_e64 s[0:1], s10, v2
	s_and_saveexec_b64 s[4:5], s[0:1]
	s_cbranch_execz .LBB167_22
; %bb.21:
	v_bfe_u32 v3, v73, 16, 1
	s_movk_i32 s2, 0x7fff
	v_add3_u32 v3, v73, v3, s2
	v_add_u32_e32 v6, v2, v5
	v_mov_b32_e32 v7, 0
	v_lshrrev_b32_e32 v3, 16, v3
	v_mov_b32_e32 v4, 0x7fc0
	v_cmp_o_f32_e64 s[2:3], v73, v73
	v_lshlrev_b64 v[6:7], 1, v[6:7]
	v_cndmask_b32_e64 v3, v4, v3, s[2:3]
	s_waitcnt lgkmcnt(0)
	v_mov_b32_e32 v4, s13
	v_add_co_u32_e64 v6, s[2:3], s12, v6
	v_addc_co_u32_e64 v7, s[2:3], v4, v7, s[2:3]
	global_store_short v[6:7], v3, off
.LBB167_22:
	s_or_b64 exec, exec, s[4:5]
	v_add_u32_e32 v3, 64, v0
	v_cmp_gt_u32_e64 s[2:3], s10, v3
	s_and_saveexec_b64 s[6:7], s[2:3]
	s_cbranch_execz .LBB167_24
; %bb.23:
	v_bfe_u32 v4, v51, 16, 1
	s_movk_i32 s4, 0x7fff
	v_add3_u32 v4, v51, v4, s4
	v_lshrrev_b32_e32 v4, 16, v4
	v_mov_b32_e32 v6, 0x7fc0
	v_cmp_o_f32_e64 s[4:5], v51, v51
	v_cndmask_b32_e64 v4, v6, v4, s[4:5]
	v_add_u32_e32 v6, v3, v5
	v_mov_b32_e32 v7, 0
	v_lshlrev_b64 v[6:7], 1, v[6:7]
	s_waitcnt lgkmcnt(0)
	v_mov_b32_e32 v8, s13
	v_add_co_u32_e64 v6, s[4:5], s12, v6
	v_addc_co_u32_e64 v7, s[4:5], v8, v7, s[4:5]
	global_store_short v[6:7], v4, off
.LBB167_24:
	s_or_b64 exec, exec, s[6:7]
	v_add_u32_e32 v4, 0x60, v0
	v_cmp_gt_u32_e64 s[4:5], s10, v4
	s_and_saveexec_b64 s[14:15], s[4:5]
	s_cbranch_execz .LBB167_26
; %bb.25:
	v_bfe_u32 v6, v41, 16, 1
	s_movk_i32 s6, 0x7fff
	v_add3_u32 v6, v41, v6, s6
	v_lshrrev_b32_e32 v6, 16, v6
	v_mov_b32_e32 v7, 0x7fc0
	v_cmp_o_f32_e64 s[6:7], v41, v41
	v_cndmask_b32_e64 v8, v7, v6, s[6:7]
	v_add_u32_e32 v6, v4, v5
	v_mov_b32_e32 v7, 0
	v_lshlrev_b64 v[6:7], 1, v[6:7]
	s_waitcnt lgkmcnt(0)
	v_mov_b32_e32 v5, s13
	v_add_co_u32_e64 v6, s[6:7], s12, v6
	v_addc_co_u32_e64 v7, s[6:7], v5, v7, s[6:7]
	global_store_short v[6:7], v8, off
.LBB167_26:
	s_or_b64 exec, exec, s[14:15]
	v_add3_u32 v5, v1, s11, 8
	v_cmp_gt_u32_e64 s[6:7], s8, v5
	s_and_b64 exec, exec, s[6:7]
	s_cbranch_execz .LBB167_68
; %bb.27:
	v_mul_lo_u32 v5, v5, s10
	s_and_saveexec_b64 s[14:15], vcc
	s_cbranch_execnz .LBB167_69
; %bb.28:
	s_or_b64 exec, exec, s[14:15]
	s_and_saveexec_b64 s[14:15], s[0:1]
	s_cbranch_execnz .LBB167_70
.LBB167_29:
	s_or_b64 exec, exec, s[14:15]
	s_and_saveexec_b64 s[14:15], s[2:3]
	s_cbranch_execnz .LBB167_71
.LBB167_30:
	s_or_b64 exec, exec, s[14:15]
	s_and_saveexec_b64 s[14:15], s[4:5]
	s_cbranch_execz .LBB167_32
.LBB167_31:
	v_bfe_u32 v6, v40, 16, 1
	s_movk_i32 s6, 0x7fff
	v_add3_u32 v6, v40, v6, s6
	v_lshrrev_b32_e32 v6, 16, v6
	v_mov_b32_e32 v7, 0x7fc0
	v_cmp_o_f32_e64 s[6:7], v40, v40
	v_cndmask_b32_e64 v8, v7, v6, s[6:7]
	v_add_u32_e32 v6, v5, v4
	v_mov_b32_e32 v7, 0
	v_lshlrev_b64 v[6:7], 1, v[6:7]
	s_waitcnt lgkmcnt(0)
	v_mov_b32_e32 v5, s13
	v_add_co_u32_e64 v6, s[6:7], s12, v6
	v_addc_co_u32_e64 v7, s[6:7], v5, v7, s[6:7]
	global_store_short v[6:7], v8, off
.LBB167_32:
	s_or_b64 exec, exec, s[14:15]
	v_add3_u32 v5, v1, s11, 16
	v_cmp_gt_u32_e64 s[6:7], s8, v5
	s_and_b64 exec, exec, s[6:7]
	s_cbranch_execz .LBB167_68
; %bb.33:
	v_mul_lo_u32 v5, v5, s10
	s_and_saveexec_b64 s[14:15], vcc
	s_cbranch_execnz .LBB167_72
; %bb.34:
	s_or_b64 exec, exec, s[14:15]
	s_and_saveexec_b64 s[14:15], s[0:1]
	s_cbranch_execnz .LBB167_73
.LBB167_35:
	s_or_b64 exec, exec, s[14:15]
	s_and_saveexec_b64 s[14:15], s[2:3]
	s_cbranch_execnz .LBB167_74
.LBB167_36:
	s_or_b64 exec, exec, s[14:15]
	s_and_saveexec_b64 s[14:15], s[4:5]
	s_cbranch_execz .LBB167_38
.LBB167_37:
	v_bfe_u32 v6, v32, 16, 1
	s_movk_i32 s6, 0x7fff
	v_add3_u32 v6, v32, v6, s6
	v_lshrrev_b32_e32 v6, 16, v6
	v_mov_b32_e32 v7, 0x7fc0
	v_cmp_o_f32_e64 s[6:7], v32, v32
	v_cndmask_b32_e64 v8, v7, v6, s[6:7]
	v_add_u32_e32 v6, v5, v4
	v_mov_b32_e32 v7, 0
	v_lshlrev_b64 v[6:7], 1, v[6:7]
	s_waitcnt lgkmcnt(0)
	v_mov_b32_e32 v5, s13
	v_add_co_u32_e64 v6, s[6:7], s12, v6
	v_addc_co_u32_e64 v7, s[6:7], v5, v7, s[6:7]
	global_store_short v[6:7], v8, off
.LBB167_38:
	s_or_b64 exec, exec, s[14:15]
	v_add3_u32 v5, v1, s11, 24
	v_cmp_gt_u32_e64 s[6:7], s8, v5
	s_and_b64 exec, exec, s[6:7]
	s_cbranch_execz .LBB167_68
; %bb.39:
	v_mul_lo_u32 v5, v5, s10
	s_and_saveexec_b64 s[14:15], vcc
	s_cbranch_execnz .LBB167_75
; %bb.40:
	s_or_b64 exec, exec, s[14:15]
	s_and_saveexec_b64 s[14:15], s[0:1]
	s_cbranch_execnz .LBB167_76
.LBB167_41:
	s_or_b64 exec, exec, s[14:15]
	s_and_saveexec_b64 s[14:15], s[2:3]
	s_cbranch_execnz .LBB167_77
.LBB167_42:
	s_or_b64 exec, exec, s[14:15]
	s_and_saveexec_b64 s[14:15], s[4:5]
	s_cbranch_execz .LBB167_44
.LBB167_43:
	v_bfe_u32 v6, v33, 16, 1
	s_movk_i32 s6, 0x7fff
	v_add3_u32 v6, v33, v6, s6
	v_lshrrev_b32_e32 v6, 16, v6
	v_mov_b32_e32 v7, 0x7fc0
	v_cmp_o_f32_e64 s[6:7], v33, v33
	v_cndmask_b32_e64 v8, v7, v6, s[6:7]
	v_add_u32_e32 v6, v5, v4
	v_mov_b32_e32 v7, 0
	v_lshlrev_b64 v[6:7], 1, v[6:7]
	s_waitcnt lgkmcnt(0)
	v_mov_b32_e32 v5, s13
	v_add_co_u32_e64 v6, s[6:7], s12, v6
	v_addc_co_u32_e64 v7, s[6:7], v5, v7, s[6:7]
	global_store_short v[6:7], v8, off
.LBB167_44:
	s_or_b64 exec, exec, s[14:15]
	v_add3_u32 v5, v1, s11, 32
	v_cmp_gt_u32_e64 s[6:7], s8, v5
	s_and_b64 exec, exec, s[6:7]
	s_cbranch_execz .LBB167_68
; %bb.45:
	v_mul_lo_u32 v5, v5, s10
	s_and_saveexec_b64 s[14:15], vcc
	s_cbranch_execnz .LBB167_78
; %bb.46:
	s_or_b64 exec, exec, s[14:15]
	s_and_saveexec_b64 s[14:15], s[0:1]
	s_cbranch_execnz .LBB167_79
.LBB167_47:
	s_or_b64 exec, exec, s[14:15]
	s_and_saveexec_b64 s[14:15], s[2:3]
	s_cbranch_execnz .LBB167_80
.LBB167_48:
	s_or_b64 exec, exec, s[14:15]
	s_and_saveexec_b64 s[14:15], s[4:5]
	s_cbranch_execz .LBB167_50
.LBB167_49:
	v_bfe_u32 v6, v24, 16, 1
	s_movk_i32 s6, 0x7fff
	v_add3_u32 v6, v24, v6, s6
	v_lshrrev_b32_e32 v6, 16, v6
	v_mov_b32_e32 v7, 0x7fc0
	v_cmp_o_f32_e64 s[6:7], v24, v24
	v_cndmask_b32_e64 v8, v7, v6, s[6:7]
	v_add_u32_e32 v6, v5, v4
	v_mov_b32_e32 v7, 0
	v_lshlrev_b64 v[6:7], 1, v[6:7]
	s_waitcnt lgkmcnt(0)
	v_mov_b32_e32 v5, s13
	v_add_co_u32_e64 v6, s[6:7], s12, v6
	v_addc_co_u32_e64 v7, s[6:7], v5, v7, s[6:7]
	global_store_short v[6:7], v8, off
.LBB167_50:
	s_or_b64 exec, exec, s[14:15]
	v_add3_u32 v5, v1, s11, 40
	v_cmp_gt_u32_e64 s[6:7], s8, v5
	s_and_b64 exec, exec, s[6:7]
	s_cbranch_execz .LBB167_68
; %bb.51:
	v_mul_lo_u32 v5, v5, s10
	s_and_saveexec_b64 s[14:15], vcc
	s_cbranch_execnz .LBB167_81
; %bb.52:
	s_or_b64 exec, exec, s[14:15]
	s_and_saveexec_b64 s[14:15], s[0:1]
	s_cbranch_execnz .LBB167_82
.LBB167_53:
	s_or_b64 exec, exec, s[14:15]
	s_and_saveexec_b64 s[14:15], s[2:3]
	s_cbranch_execnz .LBB167_83
.LBB167_54:
	s_or_b64 exec, exec, s[14:15]
	s_and_saveexec_b64 s[14:15], s[4:5]
	s_cbranch_execz .LBB167_56
.LBB167_55:
	v_bfe_u32 v6, v25, 16, 1
	s_movk_i32 s6, 0x7fff
	v_add3_u32 v6, v25, v6, s6
	v_lshrrev_b32_e32 v6, 16, v6
	v_mov_b32_e32 v7, 0x7fc0
	v_cmp_o_f32_e64 s[6:7], v25, v25
	v_cndmask_b32_e64 v8, v7, v6, s[6:7]
	v_add_u32_e32 v6, v5, v4
	v_mov_b32_e32 v7, 0
	v_lshlrev_b64 v[6:7], 1, v[6:7]
	s_waitcnt lgkmcnt(0)
	v_mov_b32_e32 v5, s13
	v_add_co_u32_e64 v6, s[6:7], s12, v6
	v_addc_co_u32_e64 v7, s[6:7], v5, v7, s[6:7]
	global_store_short v[6:7], v8, off
.LBB167_56:
	s_or_b64 exec, exec, s[14:15]
	v_add3_u32 v5, v1, s11, 48
	v_cmp_gt_u32_e64 s[6:7], s8, v5
	s_and_b64 exec, exec, s[6:7]
	s_cbranch_execz .LBB167_68
; %bb.57:
	v_mul_lo_u32 v5, v5, s10
	s_and_saveexec_b64 s[14:15], vcc
	s_cbranch_execnz .LBB167_84
; %bb.58:
	s_or_b64 exec, exec, s[14:15]
	s_and_saveexec_b64 s[14:15], s[0:1]
	s_cbranch_execnz .LBB167_85
.LBB167_59:
	s_or_b64 exec, exec, s[14:15]
	s_and_saveexec_b64 s[14:15], s[2:3]
	s_cbranch_execnz .LBB167_86
.LBB167_60:
	s_or_b64 exec, exec, s[14:15]
	s_and_saveexec_b64 s[14:15], s[4:5]
	s_cbranch_execz .LBB167_62
.LBB167_61:
	v_bfe_u32 v6, v16, 16, 1
	s_movk_i32 s6, 0x7fff
	v_add3_u32 v6, v16, v6, s6
	v_lshrrev_b32_e32 v6, 16, v6
	v_mov_b32_e32 v7, 0x7fc0
	v_cmp_o_f32_e64 s[6:7], v16, v16
	v_cndmask_b32_e64 v8, v7, v6, s[6:7]
	v_add_u32_e32 v6, v5, v4
	v_mov_b32_e32 v7, 0
	v_lshlrev_b64 v[6:7], 1, v[6:7]
	s_waitcnt lgkmcnt(0)
	v_mov_b32_e32 v5, s13
	v_add_co_u32_e64 v6, s[6:7], s12, v6
	v_addc_co_u32_e64 v7, s[6:7], v5, v7, s[6:7]
	global_store_short v[6:7], v8, off
.LBB167_62:
	s_or_b64 exec, exec, s[14:15]
	v_add3_u32 v1, v1, s11, 56
	v_cmp_gt_u32_e64 s[6:7], s8, v1
	s_and_b64 exec, exec, s[6:7]
	s_cbranch_execz .LBB167_68
; %bb.63:
	v_mul_lo_u32 v1, v1, s10
	s_and_saveexec_b64 s[6:7], vcc
	s_cbranch_execnz .LBB167_87
; %bb.64:
	s_or_b64 exec, exec, s[6:7]
	s_and_saveexec_b64 s[6:7], s[0:1]
	s_cbranch_execnz .LBB167_88
.LBB167_65:
	s_or_b64 exec, exec, s[6:7]
	s_and_saveexec_b64 s[0:1], s[2:3]
	s_cbranch_execnz .LBB167_89
.LBB167_66:
	s_or_b64 exec, exec, s[0:1]
	s_and_b64 exec, exec, s[4:5]
	s_cbranch_execz .LBB167_68
.LBB167_67:
	v_bfe_u32 v0, v17, 16, 1
	s_movk_i32 s0, 0x7fff
	v_add3_u32 v0, v17, v0, s0
	v_lshrrev_b32_e32 v0, 16, v0
	v_mov_b32_e32 v2, 0x7fc0
	v_cmp_o_f32_e32 vcc, v17, v17
	v_cndmask_b32_e32 v2, v2, v0, vcc
	v_add_u32_e32 v0, v1, v4
	v_mov_b32_e32 v1, 0
	v_lshlrev_b64 v[0:1], 1, v[0:1]
	s_waitcnt lgkmcnt(0)
	v_mov_b32_e32 v3, s13
	v_add_co_u32_e32 v0, vcc, s12, v0
	v_addc_co_u32_e32 v1, vcc, v3, v1, vcc
	global_store_short v[0:1], v2, off
.LBB167_68:
	s_endpgm
.LBB167_69:
	v_bfe_u32 v6, v62, 16, 1
	s_movk_i32 s6, 0x7fff
	v_add3_u32 v6, v62, v6, s6
	v_lshrrev_b32_e32 v6, 16, v6
	v_mov_b32_e32 v7, 0x7fc0
	v_cmp_o_f32_e64 s[6:7], v62, v62
	v_cndmask_b32_e64 v8, v7, v6, s[6:7]
	v_add_u32_e32 v6, v5, v0
	v_mov_b32_e32 v7, 0
	v_lshlrev_b64 v[6:7], 1, v[6:7]
	s_waitcnt lgkmcnt(0)
	v_mov_b32_e32 v9, s13
	v_add_co_u32_e64 v6, s[6:7], s12, v6
	v_addc_co_u32_e64 v7, s[6:7], v9, v7, s[6:7]
	global_store_short v[6:7], v8, off
	s_or_b64 exec, exec, s[14:15]
	s_and_saveexec_b64 s[14:15], s[0:1]
	s_cbranch_execz .LBB167_29
.LBB167_70:
	v_bfe_u32 v6, v72, 16, 1
	s_movk_i32 s6, 0x7fff
	v_add3_u32 v6, v72, v6, s6
	v_lshrrev_b32_e32 v6, 16, v6
	v_mov_b32_e32 v7, 0x7fc0
	v_cmp_o_f32_e64 s[6:7], v72, v72
	v_cndmask_b32_e64 v8, v7, v6, s[6:7]
	v_add_u32_e32 v6, v5, v2
	v_mov_b32_e32 v7, 0
	v_lshlrev_b64 v[6:7], 1, v[6:7]
	s_waitcnt lgkmcnt(0)
	v_mov_b32_e32 v9, s13
	v_add_co_u32_e64 v6, s[6:7], s12, v6
	v_addc_co_u32_e64 v7, s[6:7], v9, v7, s[6:7]
	global_store_short v[6:7], v8, off
	s_or_b64 exec, exec, s[14:15]
	s_and_saveexec_b64 s[14:15], s[2:3]
	s_cbranch_execz .LBB167_30
.LBB167_71:
	v_bfe_u32 v6, v50, 16, 1
	s_movk_i32 s6, 0x7fff
	v_add3_u32 v6, v50, v6, s6
	v_lshrrev_b32_e32 v6, 16, v6
	v_mov_b32_e32 v7, 0x7fc0
	v_cmp_o_f32_e64 s[6:7], v50, v50
	v_cndmask_b32_e64 v8, v7, v6, s[6:7]
	v_add_u32_e32 v6, v5, v3
	v_mov_b32_e32 v7, 0
	v_lshlrev_b64 v[6:7], 1, v[6:7]
	s_waitcnt lgkmcnt(0)
	v_mov_b32_e32 v9, s13
	v_add_co_u32_e64 v6, s[6:7], s12, v6
	v_addc_co_u32_e64 v7, s[6:7], v9, v7, s[6:7]
	global_store_short v[6:7], v8, off
	s_or_b64 exec, exec, s[14:15]
	s_and_saveexec_b64 s[14:15], s[4:5]
	s_cbranch_execnz .LBB167_31
	s_branch .LBB167_32
.LBB167_72:
	v_bfe_u32 v6, v38, 16, 1
	s_movk_i32 s6, 0x7fff
	v_add3_u32 v6, v38, v6, s6
	v_lshrrev_b32_e32 v6, 16, v6
	v_mov_b32_e32 v7, 0x7fc0
	v_cmp_o_f32_e64 s[6:7], v38, v38
	v_cndmask_b32_e64 v8, v7, v6, s[6:7]
	v_add_u32_e32 v6, v5, v0
	v_mov_b32_e32 v7, 0
	v_lshlrev_b64 v[6:7], 1, v[6:7]
	s_waitcnt lgkmcnt(0)
	v_mov_b32_e32 v9, s13
	v_add_co_u32_e64 v6, s[6:7], s12, v6
	v_addc_co_u32_e64 v7, s[6:7], v9, v7, s[6:7]
	global_store_short v[6:7], v8, off
	s_or_b64 exec, exec, s[14:15]
	s_and_saveexec_b64 s[14:15], s[0:1]
	s_cbranch_execz .LBB167_35
.LBB167_73:
	v_bfe_u32 v6, v36, 16, 1
	s_movk_i32 s6, 0x7fff
	v_add3_u32 v6, v36, v6, s6
	v_lshrrev_b32_e32 v6, 16, v6
	v_mov_b32_e32 v7, 0x7fc0
	v_cmp_o_f32_e64 s[6:7], v36, v36
	v_cndmask_b32_e64 v8, v7, v6, s[6:7]
	v_add_u32_e32 v6, v5, v2
	v_mov_b32_e32 v7, 0
	v_lshlrev_b64 v[6:7], 1, v[6:7]
	s_waitcnt lgkmcnt(0)
	v_mov_b32_e32 v9, s13
	v_add_co_u32_e64 v6, s[6:7], s12, v6
	v_addc_co_u32_e64 v7, s[6:7], v9, v7, s[6:7]
	global_store_short v[6:7], v8, off
	s_or_b64 exec, exec, s[14:15]
	s_and_saveexec_b64 s[14:15], s[2:3]
	s_cbranch_execz .LBB167_36
.LBB167_74:
	v_bfe_u32 v6, v34, 16, 1
	s_movk_i32 s6, 0x7fff
	v_add3_u32 v6, v34, v6, s6
	v_lshrrev_b32_e32 v6, 16, v6
	v_mov_b32_e32 v7, 0x7fc0
	v_cmp_o_f32_e64 s[6:7], v34, v34
	v_cndmask_b32_e64 v8, v7, v6, s[6:7]
	v_add_u32_e32 v6, v5, v3
	v_mov_b32_e32 v7, 0
	v_lshlrev_b64 v[6:7], 1, v[6:7]
	s_waitcnt lgkmcnt(0)
	v_mov_b32_e32 v9, s13
	v_add_co_u32_e64 v6, s[6:7], s12, v6
	v_addc_co_u32_e64 v7, s[6:7], v9, v7, s[6:7]
	global_store_short v[6:7], v8, off
	s_or_b64 exec, exec, s[14:15]
	s_and_saveexec_b64 s[14:15], s[4:5]
	s_cbranch_execnz .LBB167_37
	s_branch .LBB167_38
.LBB167_75:
	v_bfe_u32 v6, v39, 16, 1
	s_movk_i32 s6, 0x7fff
	v_add3_u32 v6, v39, v6, s6
	v_lshrrev_b32_e32 v6, 16, v6
	v_mov_b32_e32 v7, 0x7fc0
	v_cmp_o_f32_e64 s[6:7], v39, v39
	v_cndmask_b32_e64 v8, v7, v6, s[6:7]
	v_add_u32_e32 v6, v5, v0
	v_mov_b32_e32 v7, 0
	v_lshlrev_b64 v[6:7], 1, v[6:7]
	s_waitcnt lgkmcnt(0)
	v_mov_b32_e32 v9, s13
	v_add_co_u32_e64 v6, s[6:7], s12, v6
	v_addc_co_u32_e64 v7, s[6:7], v9, v7, s[6:7]
	global_store_short v[6:7], v8, off
	s_or_b64 exec, exec, s[14:15]
	s_and_saveexec_b64 s[14:15], s[0:1]
	s_cbranch_execz .LBB167_41
.LBB167_76:
	v_bfe_u32 v6, v37, 16, 1
	s_movk_i32 s6, 0x7fff
	v_add3_u32 v6, v37, v6, s6
	v_lshrrev_b32_e32 v6, 16, v6
	v_mov_b32_e32 v7, 0x7fc0
	v_cmp_o_f32_e64 s[6:7], v37, v37
	v_cndmask_b32_e64 v8, v7, v6, s[6:7]
	v_add_u32_e32 v6, v5, v2
	v_mov_b32_e32 v7, 0
	v_lshlrev_b64 v[6:7], 1, v[6:7]
	s_waitcnt lgkmcnt(0)
	v_mov_b32_e32 v9, s13
	v_add_co_u32_e64 v6, s[6:7], s12, v6
	v_addc_co_u32_e64 v7, s[6:7], v9, v7, s[6:7]
	global_store_short v[6:7], v8, off
	s_or_b64 exec, exec, s[14:15]
	s_and_saveexec_b64 s[14:15], s[2:3]
	s_cbranch_execz .LBB167_42
.LBB167_77:
	v_bfe_u32 v6, v35, 16, 1
	s_movk_i32 s6, 0x7fff
	v_add3_u32 v6, v35, v6, s6
	v_lshrrev_b32_e32 v6, 16, v6
	v_mov_b32_e32 v7, 0x7fc0
	v_cmp_o_f32_e64 s[6:7], v35, v35
	v_cndmask_b32_e64 v8, v7, v6, s[6:7]
	v_add_u32_e32 v6, v5, v3
	v_mov_b32_e32 v7, 0
	v_lshlrev_b64 v[6:7], 1, v[6:7]
	s_waitcnt lgkmcnt(0)
	v_mov_b32_e32 v9, s13
	v_add_co_u32_e64 v6, s[6:7], s12, v6
	v_addc_co_u32_e64 v7, s[6:7], v9, v7, s[6:7]
	global_store_short v[6:7], v8, off
	s_or_b64 exec, exec, s[14:15]
	s_and_saveexec_b64 s[14:15], s[4:5]
	s_cbranch_execnz .LBB167_43
	s_branch .LBB167_44
.LBB167_78:
	v_bfe_u32 v6, v30, 16, 1
	s_movk_i32 s6, 0x7fff
	v_add3_u32 v6, v30, v6, s6
	v_lshrrev_b32_e32 v6, 16, v6
	v_mov_b32_e32 v7, 0x7fc0
	v_cmp_o_f32_e64 s[6:7], v30, v30
	v_cndmask_b32_e64 v8, v7, v6, s[6:7]
	v_add_u32_e32 v6, v5, v0
	v_mov_b32_e32 v7, 0
	v_lshlrev_b64 v[6:7], 1, v[6:7]
	s_waitcnt lgkmcnt(0)
	v_mov_b32_e32 v9, s13
	v_add_co_u32_e64 v6, s[6:7], s12, v6
	v_addc_co_u32_e64 v7, s[6:7], v9, v7, s[6:7]
	global_store_short v[6:7], v8, off
	s_or_b64 exec, exec, s[14:15]
	s_and_saveexec_b64 s[14:15], s[0:1]
	s_cbranch_execz .LBB167_47
.LBB167_79:
	v_bfe_u32 v6, v28, 16, 1
	s_movk_i32 s6, 0x7fff
	v_add3_u32 v6, v28, v6, s6
	v_lshrrev_b32_e32 v6, 16, v6
	v_mov_b32_e32 v7, 0x7fc0
	v_cmp_o_f32_e64 s[6:7], v28, v28
	v_cndmask_b32_e64 v8, v7, v6, s[6:7]
	v_add_u32_e32 v6, v5, v2
	v_mov_b32_e32 v7, 0
	v_lshlrev_b64 v[6:7], 1, v[6:7]
	s_waitcnt lgkmcnt(0)
	v_mov_b32_e32 v9, s13
	v_add_co_u32_e64 v6, s[6:7], s12, v6
	v_addc_co_u32_e64 v7, s[6:7], v9, v7, s[6:7]
	global_store_short v[6:7], v8, off
	s_or_b64 exec, exec, s[14:15]
	s_and_saveexec_b64 s[14:15], s[2:3]
	s_cbranch_execz .LBB167_48
.LBB167_80:
	v_bfe_u32 v6, v26, 16, 1
	s_movk_i32 s6, 0x7fff
	v_add3_u32 v6, v26, v6, s6
	v_lshrrev_b32_e32 v6, 16, v6
	v_mov_b32_e32 v7, 0x7fc0
	v_cmp_o_f32_e64 s[6:7], v26, v26
	v_cndmask_b32_e64 v8, v7, v6, s[6:7]
	v_add_u32_e32 v6, v5, v3
	v_mov_b32_e32 v7, 0
	v_lshlrev_b64 v[6:7], 1, v[6:7]
	s_waitcnt lgkmcnt(0)
	v_mov_b32_e32 v9, s13
	v_add_co_u32_e64 v6, s[6:7], s12, v6
	v_addc_co_u32_e64 v7, s[6:7], v9, v7, s[6:7]
	global_store_short v[6:7], v8, off
	s_or_b64 exec, exec, s[14:15]
	s_and_saveexec_b64 s[14:15], s[4:5]
	s_cbranch_execnz .LBB167_49
	s_branch .LBB167_50
.LBB167_81:
	v_bfe_u32 v6, v31, 16, 1
	s_movk_i32 s6, 0x7fff
	v_add3_u32 v6, v31, v6, s6
	v_lshrrev_b32_e32 v6, 16, v6
	v_mov_b32_e32 v7, 0x7fc0
	v_cmp_o_f32_e64 s[6:7], v31, v31
	v_cndmask_b32_e64 v8, v7, v6, s[6:7]
	v_add_u32_e32 v6, v5, v0
	v_mov_b32_e32 v7, 0
	v_lshlrev_b64 v[6:7], 1, v[6:7]
	s_waitcnt lgkmcnt(0)
	v_mov_b32_e32 v9, s13
	v_add_co_u32_e64 v6, s[6:7], s12, v6
	v_addc_co_u32_e64 v7, s[6:7], v9, v7, s[6:7]
	global_store_short v[6:7], v8, off
	s_or_b64 exec, exec, s[14:15]
	s_and_saveexec_b64 s[14:15], s[0:1]
	s_cbranch_execz .LBB167_53
.LBB167_82:
	v_bfe_u32 v6, v29, 16, 1
	s_movk_i32 s6, 0x7fff
	v_add3_u32 v6, v29, v6, s6
	v_lshrrev_b32_e32 v6, 16, v6
	v_mov_b32_e32 v7, 0x7fc0
	v_cmp_o_f32_e64 s[6:7], v29, v29
	v_cndmask_b32_e64 v8, v7, v6, s[6:7]
	v_add_u32_e32 v6, v5, v2
	v_mov_b32_e32 v7, 0
	v_lshlrev_b64 v[6:7], 1, v[6:7]
	s_waitcnt lgkmcnt(0)
	v_mov_b32_e32 v9, s13
	v_add_co_u32_e64 v6, s[6:7], s12, v6
	v_addc_co_u32_e64 v7, s[6:7], v9, v7, s[6:7]
	global_store_short v[6:7], v8, off
	s_or_b64 exec, exec, s[14:15]
	s_and_saveexec_b64 s[14:15], s[2:3]
	s_cbranch_execz .LBB167_54
.LBB167_83:
	v_bfe_u32 v6, v27, 16, 1
	s_movk_i32 s6, 0x7fff
	v_add3_u32 v6, v27, v6, s6
	v_lshrrev_b32_e32 v6, 16, v6
	v_mov_b32_e32 v7, 0x7fc0
	v_cmp_o_f32_e64 s[6:7], v27, v27
	v_cndmask_b32_e64 v8, v7, v6, s[6:7]
	v_add_u32_e32 v6, v5, v3
	v_mov_b32_e32 v7, 0
	v_lshlrev_b64 v[6:7], 1, v[6:7]
	s_waitcnt lgkmcnt(0)
	v_mov_b32_e32 v9, s13
	v_add_co_u32_e64 v6, s[6:7], s12, v6
	v_addc_co_u32_e64 v7, s[6:7], v9, v7, s[6:7]
	global_store_short v[6:7], v8, off
	s_or_b64 exec, exec, s[14:15]
	s_and_saveexec_b64 s[14:15], s[4:5]
	s_cbranch_execnz .LBB167_55
	s_branch .LBB167_56
.LBB167_84:
	v_bfe_u32 v6, v22, 16, 1
	s_movk_i32 s6, 0x7fff
	v_add3_u32 v6, v22, v6, s6
	v_lshrrev_b32_e32 v6, 16, v6
	v_mov_b32_e32 v7, 0x7fc0
	v_cmp_o_f32_e64 s[6:7], v22, v22
	v_cndmask_b32_e64 v8, v7, v6, s[6:7]
	v_add_u32_e32 v6, v5, v0
	v_mov_b32_e32 v7, 0
	v_lshlrev_b64 v[6:7], 1, v[6:7]
	s_waitcnt lgkmcnt(0)
	v_mov_b32_e32 v9, s13
	v_add_co_u32_e64 v6, s[6:7], s12, v6
	v_addc_co_u32_e64 v7, s[6:7], v9, v7, s[6:7]
	global_store_short v[6:7], v8, off
	s_or_b64 exec, exec, s[14:15]
	s_and_saveexec_b64 s[14:15], s[0:1]
	s_cbranch_execz .LBB167_59
.LBB167_85:
	v_bfe_u32 v6, v20, 16, 1
	s_movk_i32 s6, 0x7fff
	v_add3_u32 v6, v20, v6, s6
	v_lshrrev_b32_e32 v6, 16, v6
	v_mov_b32_e32 v7, 0x7fc0
	v_cmp_o_f32_e64 s[6:7], v20, v20
	v_cndmask_b32_e64 v8, v7, v6, s[6:7]
	v_add_u32_e32 v6, v5, v2
	v_mov_b32_e32 v7, 0
	v_lshlrev_b64 v[6:7], 1, v[6:7]
	s_waitcnt lgkmcnt(0)
	v_mov_b32_e32 v9, s13
	v_add_co_u32_e64 v6, s[6:7], s12, v6
	v_addc_co_u32_e64 v7, s[6:7], v9, v7, s[6:7]
	global_store_short v[6:7], v8, off
	s_or_b64 exec, exec, s[14:15]
	s_and_saveexec_b64 s[14:15], s[2:3]
	s_cbranch_execz .LBB167_60
.LBB167_86:
	v_bfe_u32 v6, v18, 16, 1
	s_movk_i32 s6, 0x7fff
	v_add3_u32 v6, v18, v6, s6
	v_lshrrev_b32_e32 v6, 16, v6
	v_mov_b32_e32 v7, 0x7fc0
	v_cmp_o_f32_e64 s[6:7], v18, v18
	v_cndmask_b32_e64 v8, v7, v6, s[6:7]
	v_add_u32_e32 v6, v5, v3
	v_mov_b32_e32 v7, 0
	v_lshlrev_b64 v[6:7], 1, v[6:7]
	s_waitcnt lgkmcnt(0)
	v_mov_b32_e32 v9, s13
	v_add_co_u32_e64 v6, s[6:7], s12, v6
	v_addc_co_u32_e64 v7, s[6:7], v9, v7, s[6:7]
	global_store_short v[6:7], v8, off
	s_or_b64 exec, exec, s[14:15]
	s_and_saveexec_b64 s[14:15], s[4:5]
	s_cbranch_execnz .LBB167_61
	s_branch .LBB167_62
.LBB167_87:
	v_bfe_u32 v5, v23, 16, 1
	s_movk_i32 s8, 0x7fff
	v_add3_u32 v5, v23, v5, s8
	v_lshrrev_b32_e32 v5, 16, v5
	v_mov_b32_e32 v6, 0x7fc0
	v_cmp_o_f32_e32 vcc, v23, v23
	v_cndmask_b32_e32 v5, v6, v5, vcc
	v_add_u32_e32 v6, v1, v0
	v_mov_b32_e32 v7, 0
	v_lshlrev_b64 v[6:7], 1, v[6:7]
	s_waitcnt lgkmcnt(0)
	v_mov_b32_e32 v0, s13
	v_add_co_u32_e32 v6, vcc, s12, v6
	v_addc_co_u32_e32 v7, vcc, v0, v7, vcc
	global_store_short v[6:7], v5, off
	s_or_b64 exec, exec, s[6:7]
	s_and_saveexec_b64 s[6:7], s[0:1]
	s_cbranch_execz .LBB167_65
.LBB167_88:
	v_bfe_u32 v0, v21, 16, 1
	s_movk_i32 s0, 0x7fff
	v_add3_u32 v0, v21, v0, s0
	v_add_u32_e32 v6, v1, v2
	v_mov_b32_e32 v7, 0
	v_lshrrev_b32_e32 v0, 16, v0
	v_mov_b32_e32 v5, 0x7fc0
	v_cmp_o_f32_e32 vcc, v21, v21
	v_lshlrev_b64 v[6:7], 1, v[6:7]
	v_cndmask_b32_e32 v0, v5, v0, vcc
	s_waitcnt lgkmcnt(0)
	v_mov_b32_e32 v2, s13
	v_add_co_u32_e32 v6, vcc, s12, v6
	v_addc_co_u32_e32 v7, vcc, v2, v7, vcc
	global_store_short v[6:7], v0, off
	s_or_b64 exec, exec, s[6:7]
	s_and_saveexec_b64 s[0:1], s[2:3]
	s_cbranch_execz .LBB167_66
.LBB167_89:
	v_bfe_u32 v0, v19, 16, 1
	s_movk_i32 s2, 0x7fff
	v_add3_u32 v0, v19, v0, s2
	v_lshrrev_b32_e32 v0, 16, v0
	v_mov_b32_e32 v2, 0x7fc0
	v_cmp_o_f32_e32 vcc, v19, v19
	v_cndmask_b32_e32 v0, v2, v0, vcc
	v_add_u32_e32 v2, v1, v3
	v_mov_b32_e32 v3, 0
	v_lshlrev_b64 v[2:3], 1, v[2:3]
	s_waitcnt lgkmcnt(0)
	v_mov_b32_e32 v5, s13
	v_add_co_u32_e32 v2, vcc, s12, v2
	v_addc_co_u32_e32 v3, vcc, v5, v3, vcc
	global_store_short v[2:3], v0, off
	s_or_b64 exec, exec, s[0:1]
	s_and_b64 exec, exec, s[4:5]
	s_cbranch_execnz .LBB167_67
	s_branch .LBB167_68
	.section	.rodata,"a",@progbits
	.p2align	6, 0x0
	.amdhsa_kernel _ZL12mul_mat_q2_KIN3c108BFloat16ELb0EEvPKvS3_PT_iiiii
		.amdhsa_group_segment_fixed_size 31392
		.amdhsa_private_segment_fixed_size 0
		.amdhsa_kernarg_size 44
		.amdhsa_user_sgpr_count 6
		.amdhsa_user_sgpr_private_segment_buffer 1
		.amdhsa_user_sgpr_dispatch_ptr 0
		.amdhsa_user_sgpr_queue_ptr 0
		.amdhsa_user_sgpr_kernarg_segment_ptr 1
		.amdhsa_user_sgpr_dispatch_id 0
		.amdhsa_user_sgpr_flat_scratch_init 0
		.amdhsa_user_sgpr_kernarg_preload_length 0
		.amdhsa_user_sgpr_kernarg_preload_offset 0
		.amdhsa_user_sgpr_private_segment_size 0
		.amdhsa_uses_dynamic_stack 0
		.amdhsa_system_sgpr_private_segment_wavefront_offset 0
		.amdhsa_system_sgpr_workgroup_id_x 1
		.amdhsa_system_sgpr_workgroup_id_y 1
		.amdhsa_system_sgpr_workgroup_id_z 0
		.amdhsa_system_sgpr_workgroup_info 0
		.amdhsa_system_vgpr_workitem_id 1
		.amdhsa_next_free_vgpr 223
		.amdhsa_next_free_sgpr 22
		.amdhsa_accum_offset 224
		.amdhsa_reserve_vcc 1
		.amdhsa_reserve_flat_scratch 0
		.amdhsa_float_round_mode_32 0
		.amdhsa_float_round_mode_16_64 0
		.amdhsa_float_denorm_mode_32 3
		.amdhsa_float_denorm_mode_16_64 3
		.amdhsa_dx10_clamp 1
		.amdhsa_ieee_mode 1
		.amdhsa_fp16_overflow 0
		.amdhsa_tg_split 0
		.amdhsa_exception_fp_ieee_invalid_op 0
		.amdhsa_exception_fp_denorm_src 0
		.amdhsa_exception_fp_ieee_div_zero 0
		.amdhsa_exception_fp_ieee_overflow 0
		.amdhsa_exception_fp_ieee_underflow 0
		.amdhsa_exception_fp_ieee_inexact 0
		.amdhsa_exception_int_div_zero 0
	.end_amdhsa_kernel
	.section	.text._ZL12mul_mat_q2_KIN3c108BFloat16ELb0EEvPKvS3_PT_iiiii,"axG",@progbits,_ZL12mul_mat_q2_KIN3c108BFloat16ELb0EEvPKvS3_PT_iiiii,comdat
.Lfunc_end167:
	.size	_ZL12mul_mat_q2_KIN3c108BFloat16ELb0EEvPKvS3_PT_iiiii, .Lfunc_end167-_ZL12mul_mat_q2_KIN3c108BFloat16ELb0EEvPKvS3_PT_iiiii
                                        ; -- End function
	.section	.AMDGPU.csdata,"",@progbits
; Kernel info:
; codeLenInByte = 26976
; NumSgprs: 26
; NumVgprs: 223
; NumAgprs: 0
; TotalNumVgprs: 223
; ScratchSize: 0
; MemoryBound: 0
; FloatMode: 240
; IeeeMode: 1
; LDSByteSize: 31392 bytes/workgroup (compile time only)
; SGPRBlocks: 3
; VGPRBlocks: 27
; NumSGPRsForWavesPerEU: 26
; NumVGPRsForWavesPerEU: 223
; AccumOffset: 224
; Occupancy: 2
; WaveLimiterHint : 0
; COMPUTE_PGM_RSRC2:SCRATCH_EN: 0
; COMPUTE_PGM_RSRC2:USER_SGPR: 6
; COMPUTE_PGM_RSRC2:TRAP_HANDLER: 0
; COMPUTE_PGM_RSRC2:TGID_X_EN: 1
; COMPUTE_PGM_RSRC2:TGID_Y_EN: 1
; COMPUTE_PGM_RSRC2:TGID_Z_EN: 0
; COMPUTE_PGM_RSRC2:TIDIG_COMP_CNT: 1
; COMPUTE_PGM_RSRC3_GFX90A:ACCUM_OFFSET: 55
; COMPUTE_PGM_RSRC3_GFX90A:TG_SPLIT: 0
	.section	.text._ZL12mul_mat_q2_KIN3c108BFloat16ELb1EEvPKvS3_PT_iiiii,"axG",@progbits,_ZL12mul_mat_q2_KIN3c108BFloat16ELb1EEvPKvS3_PT_iiiii,comdat
	.globl	_ZL12mul_mat_q2_KIN3c108BFloat16ELb1EEvPKvS3_PT_iiiii ; -- Begin function _ZL12mul_mat_q2_KIN3c108BFloat16ELb1EEvPKvS3_PT_iiiii
	.p2align	8
	.type	_ZL12mul_mat_q2_KIN3c108BFloat16ELb1EEvPKvS3_PT_iiiii,@function
_ZL12mul_mat_q2_KIN3c108BFloat16ELb1EEvPKvS3_PT_iiiii: ; @_ZL12mul_mat_q2_KIN3c108BFloat16ELb1EEvPKvS3_PT_iiiii
; %bb.0:
	s_load_dwordx4 s[8:11], s[4:5], 0x18
	s_load_dword s14, s[4:5], 0x28
	s_lshl_b32 s15, s7, 6
	v_bfe_u32 v43, v0, 10, 10
	s_waitcnt lgkmcnt(0)
	s_cmpk_gt_i32 s8, 0xff
	s_cbranch_scc1 .LBB168_2
; %bb.1:
	v_bfe_u32 v1, v0, 10, 10
	s_mov_b32 s0, 0
	v_and_b32_e32 v41, 0x3ff, v0
	v_add_u32_e32 v45, s15, v1
	s_mov_b32 s1, s0
	s_mov_b64 s[2:3], 0
	s_branch .LBB168_3
.LBB168_2:
	s_mov_b64 s[2:3], -1
                                        ; implicit-def: $sgpr0_sgpr1
                                        ; implicit-def: $vgpr1
                                        ; implicit-def: $vgpr41
                                        ; implicit-def: $vgpr45
.LBB168_3:
	s_load_dwordx2 s[12:13], s[4:5], 0x10
	s_lshl_b32 s6, s6, 7
	s_andn2_b64 vcc, exec, s[2:3]
	v_pk_mov_b32 v[16:17], s[0:1], s[0:1] op_sel:[0,1]
	v_pk_mov_b32 v[24:25], s[0:1], s[0:1] op_sel:[0,1]
	;; [unrolled: 1-line block ×16, first 2 shown]
	s_cbranch_vccnz .LBB168_17
; %bb.4:
	s_load_dwordx4 s[0:3], s[4:5], 0x0
	s_ashr_i32 s4, s8, 31
	s_lshr_b32 s4, s4, 24
	s_add_i32 s4, s8, s4
	s_ashr_i32 s5, s11, 31
	s_ashr_i32 s4, s4, 8
	s_lshr_b32 s5, s5, 27
	s_add_i32 s5, s11, s5
	s_mul_i32 s7, s4, s6
	s_ashr_i32 s11, s5, 5
	s_mul_hi_i32 s8, s7, 0x54
	s_mulk_i32 s7, 0x54
	s_waitcnt lgkmcnt(0)
	s_add_u32 s7, s0, s7
	s_addc_u32 s8, s1, s8
	s_not_b32 s0, s6
	s_add_i32 s9, s0, s9
	v_and_b32_e32 v41, 0x3ff, v0
	v_lshlrev_b32_e32 v0, 2, v41
	v_min_i32_e32 v1, s9, v43
	s_movk_i32 s1, 0x84
	v_add_u32_e32 v4, 8, v43
	v_mul_lo_u32 v44, v1, s4
	v_mad_u64_u32 v[46:47], s[16:17], v1, s1, v[0:1]
	v_min_i32_e32 v1, s9, v4
	v_add_u32_e32 v5, 16, v43
	v_mul_lo_u32 v48, v1, s4
	v_mad_u64_u32 v[50:51], s[16:17], v1, s1, v[0:1]
	v_min_i32_e32 v1, s9, v5
	;; [unrolled: 4-line block ×7, first 2 shown]
	v_mul_lo_u32 v74, v1, s4
	v_mad_u64_u32 v[78:79], s[16:17], v1, s1, v[0:1]
	v_add_u32_e32 v1, 64, v43
	v_min_i32_e32 v1, s9, v1
	v_mul_lo_u32 v80, v1, s4
	v_mad_u64_u32 v[82:83], s[16:17], v1, s1, v[0:1]
	v_add_u32_e32 v1, 0x48, v43
	v_min_i32_e32 v1, s9, v1
	;; [unrolled: 4-line block ×8, first 2 shown]
	v_mul_lo_u32 v110, v1, s4
	v_mad_u64_u32 v[114:115], s[16:17], v1, s1, v[0:1]
	v_lshlrev_b32_e32 v47, 4, v43
	v_lshrrev_b32_e32 v1, 1, v41
	v_add_u32_e32 v1, v1, v47
	v_and_b32_e32 v1, 0x7f, v1
	v_min_i32_e32 v1, s9, v1
	v_ashrrev_i32_e32 v2, 31, v1
	v_lshrrev_b32_e32 v2, 28, v2
	v_add_u32_e32 v2, v1, v2
	v_and_b32_e32 v116, 1, v41
	v_ashrrev_i32_e32 v2, 4, v2
	v_lshrrev_b32_e32 v49, 3, v41
	v_mul_lo_u32 v118, v1, s4
	v_lshlrev_b32_e32 v2, 2, v2
	v_lshlrev_b32_e32 v3, 2, v116
	s_movk_i32 s18, 0x7280
	v_lshlrev_b32_e32 v12, 3, v1
	v_lshl_add_u32 v1, v43, 2, v49
	v_add3_u32 v11, v2, v3, s18
	v_min_i32_e32 v3, s9, v1
	v_ashrrev_i32_e32 v13, 31, v3
	v_lshrrev_b32_e32 v13, 30, v13
	v_mul_lo_u32 v124, v3, s4
	v_add_u32_e32 v13, v3, v13
	v_lshlrev_b32_e32 v14, 5, v3
	v_add_u32_e32 v3, 32, v1
	v_min_i32_e32 v3, s9, v3
	v_ashrrev_i32_e32 v15, 31, v3
	v_lshrrev_b32_e32 v15, 30, v15
	v_mul_lo_u32 v126, v3, s4
	v_add_u32_e32 v15, v3, v15
	v_lshlrev_b32_e32 v16, 5, v3
	v_add_u32_e32 v3, 64, v1
	v_min_i32_e32 v3, s9, v3
	v_ashrrev_i32_e32 v17, 31, v3
	v_add_u32_e32 v1, 0x60, v1
	v_and_b32_e32 v2, 7, v41
	v_lshrrev_b32_e32 v17, 30, v17
	v_min_i32_e32 v1, s9, v1
	v_and_b32_e32 v42, 60, v0
	v_cmp_lt_u32_e32 vcc, 3, v2
	v_and_b32_e32 v122, 12, v0
	v_mul_lo_u32 v128, v3, s4
	v_add_u32_e32 v17, v3, v17
	v_lshlrev_b32_e32 v18, 5, v3
	v_ashrrev_i32_e32 v3, 31, v1
	v_and_b32_e32 v0, 28, v0
	v_cndmask_b32_e64 v120, 0, 1, vcc
	v_lshrrev_b32_e32 v3, 30, v3
	v_add_co_u32_e32 v132, vcc, s2, v0
	v_lshrrev_b32_e32 v0, 2, v41
	v_mul_lo_u32 v130, v1, s4
	v_add_u32_e32 v3, v1, v3
	v_lshlrev_b32_e32 v20, 5, v1
	v_mov_b32_e32 v1, s3
	v_lshl_add_u32 v0, v43, 3, v0
	v_addc_co_u32_e32 v133, vcc, 0, v1, vcc
	v_and_b32_e32 v1, 63, v0
	s_add_i32 s9, s10, -1
	v_or_b32_e32 v22, s15, v1
	v_and_b32_e32 v13, -4, v13
	v_lshlrev_b32_e32 v2, 2, v2
	s_movk_i32 s16, 0x6200
	v_and_b32_e32 v15, -4, v15
	v_and_b32_e32 v17, -4, v17
	;; [unrolled: 1-line block ×3, first 2 shown]
	v_and_b32_e32 v0, 3, v41
	v_min_i32_e32 v22, s9, v22
	v_add3_u32 v13, v13, v2, s16
	v_add3_u32 v15, v15, v2, s16
	v_add3_u32 v17, v17, v2, s16
	v_add3_u32 v19, v3, v2, s16
	v_mad_u64_u32 v[134:135], s[16:17], v22, s11, v[0:1]
	v_lshlrev_b32_e32 v0, 2, v0
	v_add_u32_e32 v45, s15, v43
	v_lshl_or_b32 v0, v1, 4, v0
	v_cvt_f64_i32_e32 v[2:3], s9
	v_add_u32_e32 v51, 0x76a0, v0
	v_cvt_f64_u32_e32 v[0:1], v45
	v_and_b32_e32 v21, 31, v41
	v_min_f64 v[0:1], v[0:1], v[2:3]
	v_cvt_i32_f64_e32 v0, v[0:1]
	v_lshlrev_b32_e32 v21, 2, v21
	v_lshlrev_b32_e32 v57, 7, v43
	v_mul_lo_u32 v55, s11, v0
	v_or_b32_e32 v0, v57, v21
	v_add_u32_e32 v59, 0x4200, v0
	v_add_u32_e32 v0, 8, v45
	v_cvt_f64_u32_e32 v[0:1], v0
	v_min_f64 v[0:1], v[0:1], v[2:3]
	v_cvt_i32_f64_e32 v0, v[0:1]
	v_mul_lo_u32 v61, s11, v0
	v_lshl_or_b32 v0, v4, 7, v21
	v_add_u32_e32 v63, 0x4200, v0
	v_add_u32_e32 v0, 16, v45
	v_cvt_f64_u32_e32 v[0:1], v0
	v_min_f64 v[0:1], v[0:1], v[2:3]
	v_cvt_i32_f64_e32 v0, v[0:1]
	v_mul_lo_u32 v65, s11, v0
	v_lshl_or_b32 v0, v5, 7, v21
	;; [unrolled: 7-line block ×6, first 2 shown]
	v_add_u32_e32 v85, 0x4200, v0
	v_add_u32_e32 v0, 56, v45
	v_cvt_f64_u32_e32 v[0:1], v0
	v_min_f64 v[0:1], v[0:1], v[2:3]
	v_cvt_i32_f64_e32 v0, v[0:1]
	v_lshrrev_b32_e32 v40, 4, v41
	v_mul_lo_u32 v87, s11, v0
	v_lshl_or_b32 v0, v10, 7, v21
	v_add_u32_e32 v89, 0x4200, v0
	v_lshlrev_b32_e32 v0, 3, v41
	v_lshlrev_b32_e32 v7, 2, v40
	v_add_u32_e32 v1, 32, v41
	v_add3_u32 v93, v7, v0, s18
	v_mov_b32_e32 v0, 0x1080
	v_mad_u32_u24 v95, v41, s1, v0
	v_lshrrev_b32_e32 v0, 2, v1
	v_lshlrev_b32_e32 v2, 3, v1
	v_and_b32_e32 v0, 0x7c, v0
	v_add_u32_e32 v3, 64, v41
	v_add3_u32 v97, v2, v0, s18
	v_mov_b32_e32 v0, 0x2100
	v_mad_u32_u24 v99, v41, s1, v0
	v_lshrrev_b32_e32 v0, 2, v3
	v_lshlrev_b32_e32 v4, 3, v3
	v_and_b32_e32 v0, 0x7c, v0
	s_mov_b32 s0, 0
	v_add_u32_e32 v5, 0x60, v41
	v_add3_u32 v103, v4, v0, s18
	v_mov_b32_e32 v0, 0x3180
	v_mad_u32_u24 v105, v41, s1, v0
	v_lshrrev_b32_e32 v0, 2, v5
	s_mov_b32 s1, s0
	v_lshlrev_b32_e32 v6, 3, v5
	v_and_b32_e32 v0, 0x7c, v0
	v_and_b32_e32 v117, 0x1fc, v5
	v_lshlrev_b32_e32 v121, 5, v41
	v_and_b32_e32 v123, 0x1fc, v3
	v_and_b32_e32 v127, 0x1fc, v1
	;; [unrolled: 1-line block ×3, first 2 shown]
	v_pk_mov_b32 v[112:113], s[0:1], s[0:1] op_sel:[0,1]
	s_movk_i32 s5, 0x54
	v_mul_u32_u24_e32 v91, 0x84, v41
	v_add3_u32 v107, v6, v0, s18
	v_lshrrev_b32_e32 v109, 3, v1
	v_lshrrev_b32_e32 v111, 3, v3
	;; [unrolled: 1-line block ×3, first 2 shown]
	v_or_b32_e32 v119, 0x4200, v117
	v_or_b32_e32 v125, 0x4200, v123
	v_or_b32_e32 v129, 0x4200, v127
	v_or_b32_e32 v135, 0x4200, v131
	v_add_u32_e32 v137, 0x6e08, v117
	v_add_u32_e32 v139, 0x6a08, v123
	;; [unrolled: 1-line block ×15, first 2 shown]
	s_mov_b32 s1, 0x1010101
	v_mov_b32_e32 v167, 4
	v_mov_b32_e32 v168, 15
	v_pk_mov_b32 v[38:39], v[112:113], v[112:113] op_sel:[0,1]
	v_pk_mov_b32 v[30:31], v[112:113], v[112:113] op_sel:[0,1]
	;; [unrolled: 1-line block ×15, first 2 shown]
	s_branch .LBB168_6
.LBB168_5:                              ;   in Loop: Header=BB168_6 Depth=1
	s_add_i32 s0, s0, 2
	s_cmp_ge_i32 s0, s4
	s_cbranch_scc1 .LBB168_16
.LBB168_6:                              ; =>This Loop Header: Depth=1
                                        ;     Child Loop BB168_7 Depth 2
                                        ;     Child Loop BB168_9 Depth 2
	;; [unrolled: 1-line block ×4, first 2 shown]
	s_mul_i32 s11, s0, 0x54
	s_mul_hi_u32 s9, s0, 0x54
	s_add_u32 s16, s7, s11
	s_addc_u32 s17, s8, s9
	v_pk_mov_b32 v[0:1], s[16:17], s[16:17] op_sel:[0,1]
	v_mad_u64_u32 v[2:3], s[16:17], v40, s5, v[0:1]
	v_add_co_u32_e32 v2, vcc, v2, v42
	v_addc_co_u32_e32 v3, vcc, 0, v3, vcc
	v_add_co_u32_e32 v2, vcc, 16, v2
	v_addc_co_u32_e32 v3, vcc, 0, v3, vcc
	v_mad_i64_i32 v[4:5], s[16:17], v44, s5, v[2:3]
	v_mad_i64_i32 v[6:7], s[16:17], v48, s5, v[2:3]
	;; [unrolled: 1-line block ×8, first 2 shown]
	global_load_dword v136, v[4:5], off
	global_load_dword v138, v[6:7], off
	;; [unrolled: 1-line block ×8, first 2 shown]
	v_mad_i64_i32 v[4:5], s[16:17], v80, s5, v[2:3]
	v_mad_i64_i32 v[6:7], s[16:17], v84, s5, v[2:3]
	;; [unrolled: 1-line block ×8, first 2 shown]
	global_load_dword v152, v[4:5], off
	global_load_dword v153, v[6:7], off
	;; [unrolled: 1-line block ×8, first 2 shown]
	v_mad_i64_i32 v[2:3], s[16:17], v118, s5, v[0:1]
	v_mad_u64_u32 v[0:1], s[16:17], v120, s5, v[0:1]
	v_add_co_u32_e32 v0, vcc, v0, v122
	v_addc_co_u32_e32 v1, vcc, 0, v1, vcc
	s_lshl_b32 s9, s0, 3
	v_mad_u64_u32 v[2:3], s[16:17], v116, s5, v[2:3]
	v_mad_i64_i32 v[4:5], s[16:17], v124, s5, v[0:1]
	v_mad_i64_i32 v[6:7], s[16:17], v126, s5, v[0:1]
	;; [unrolled: 1-line block ×4, first 2 shown]
	v_add_u32_e32 v144, s9, v49
	global_load_dword v173, v[2:3], off offset:80
	global_load_dword v174, v[4:5], off
	global_load_dword v175, v[6:7], off
	s_nop 0
	global_load_dword v8, v[8:9], off
	s_nop 0
	global_load_dword v176, v[0:1], off
	v_add_u32_e32 v0, v144, v55
	v_add_u32_e32 v2, v144, v61
	;; [unrolled: 1-line block ×6, first 2 shown]
	v_mad_i64_i32 v[0:1], s[16:17], v0, 36, v[132:133]
	v_mad_i64_i32 v[2:3], s[16:17], v2, 36, v[132:133]
	;; [unrolled: 1-line block ×5, first 2 shown]
	v_add_u32_e32 v12, v144, v79
	v_add_u32_e32 v14, v144, v83
	;; [unrolled: 1-line block ×3, first 2 shown]
	v_mad_i64_i32 v[12:13], s[16:17], v12, 36, v[132:133]
	v_mad_i64_i32 v[14:15], s[16:17], v14, 36, v[132:133]
	;; [unrolled: 1-line block ×3, first 2 shown]
	v_mad_u64_u32 v[146:147], s[16:17], v9, 36, s[2:3]
	global_load_dword v0, v[0:1], off offset:4
	s_nop 0
	global_load_dword v1, v[2:3], off offset:4
	s_nop 0
	global_load_dword v2, v[4:5], off offset:4
	global_load_dword v3, v[6:7], off offset:4
	s_nop 0
	global_load_dword v4, v[10:11], off offset:4
	global_load_dword v5, v[146:147], off
	global_load_dword v6, v[12:13], off offset:4
	global_load_dword v7, v[14:15], off offset:4
	s_nop 0
	global_load_dword v10, v[144:145], off offset:4
	s_waitcnt vmcnt(29)
	ds_write_b32 v46, v136
	s_waitcnt vmcnt(28)
	ds_write_b32 v50, v138
	;; [unrolled: 2-line block ×26, first 2 shown]
	s_waitcnt vmcnt(3)
	v_cvt_f32_f16_e32 v0, v5
	s_mov_b32 s17, -2
	v_mov_b32_e32 v11, v57
	v_mov_b32_e32 v13, v47
	s_mov_b32 s11, 0
	s_waitcnt vmcnt(2)
	ds_write_b32 v81, v6
	s_waitcnt vmcnt(1)
	ds_write_b32 v85, v7
	;; [unrolled: 2-line block ×3, first 2 shown]
	ds_write_b32 v51, v0
	s_waitcnt lgkmcnt(0)
	s_barrier
.LBB168_7:                              ;   Parent Loop BB168_6 Depth=1
                                        ; =>  This Inner Loop Header: Depth=2
	s_and_b32 s16, s11, -16
	v_add_u32_e32 v136, s16, v121
	s_add_i32 s16, s17, 2
	s_and_b32 s18, s16, 0x3ffffff8
	s_lshl_b32 s18, s18, 2
	v_add_u32_e32 v0, 0x7400, v13
	v_add_u32_e32 v8, s18, v91
	ds_read2_b32 v[144:145], v0 offset0:168 offset1:200
	ds_read_b128 v[4:7], v11 offset:16896
	ds_read_b128 v[0:3], v11 offset:16912
	ds_read2_b32 v[14:15], v8 offset1:1
	ds_read2_b32 v[146:147], v8 offset0:4 offset1:5
	s_lshr_b32 s19, s16, 2
	s_and_b32 s19, s19, 0x3ffffffc
	v_mov_b32_e32 v148, 0
	s_waitcnt lgkmcnt(1)
	v_ashrrev_i32_e32 v10, s16, v14
	v_and_b32_e32 v173, 0x3030303, v10
	v_ashrrev_i32_e32 v10, s16, v15
	ds_read2_b32 v[14:15], v8 offset0:2 offset1:3
	v_and_b32_e32 v170, 0x3030303, v10
	v_mov_b32_e32 v216, 0
	v_mov_b32_e32 v217, 0
	v_mov_b32_e32 v218, 0
	s_waitcnt lgkmcnt(0)
	v_ashrrev_i32_e32 v10, s16, v14
	v_and_b32_e32 v171, 0x3030303, v10
	v_ashrrev_i32_e32 v10, s16, v15
	v_and_b32_e32 v172, 0x3030303, v10
	;; [unrolled: 2-line block ×3, first 2 shown]
	v_ashrrev_i32_e32 v10, s16, v147
	ds_read2_b32 v[146:147], v8 offset0:6 offset1:7
	v_and_b32_e32 v154, 0x3030303, v10
	v_add_u32_e32 v10, s19, v93
	v_mov_b32_e32 v219, 0
	s_add_i32 s11, s11, 2
	s_waitcnt lgkmcnt(0)
	v_ashrrev_i32_e32 v8, s16, v146
	v_and_b32_e32 v155, 0x3030303, v8
	v_ashrrev_i32_e32 v8, s16, v147
	v_and_b32_e32 v169, 0x3030303, v8
	v_add3_u32 v8, v135, s17, v136
	ds_read_b32 v10, v10
	ds_read_u16 v12, v8 offset:8194
	s_cmp_lt_u32 s16, 6
	s_waitcnt lgkmcnt(0)
	v_bfe_u32 v8, v12, 4, 4
	v_mul_lo_u32 v174, v8, s1
	v_mov_b32_e32 v8, 0
	v_and_b32_e32 v190, 15, v12
	v_lshrrev_b32_sdwa v14, v167, v12 dst_sel:DWORD dst_unused:UNUSED_PAD src0_sel:DWORD src1_sel:BYTE_1
	v_and_b32_sdwa v189, v12, v168 dst_sel:DWORD dst_unused:UNUSED_PAD src0_sel:BYTE_1 src1_sel:DWORD
	v_add_u32_e32 v12, s18, v95
	v_dot4c_i32_i8_e32 v8, v173, v4
	v_mul_lo_u32 v187, v14, s1
	v_mov_b32_e32 v14, 0
	ds_read2_b32 v[150:151], v12 offset1:1
	v_dot4c_i32_i8_e32 v8, v170, v5
	v_dot4c_i32_i8_e32 v14, v15, v0
	;; [unrolled: 1-line block ×8, first 2 shown]
	v_mul_lo_u32 v8, v190, v8
	v_dot4c_i32_i8_e32 v148, v174, v5
	v_mad_u64_u32 v[146:147], s[20:21], v189, v14, v[8:9]
	s_waitcnt lgkmcnt(0)
	v_ashrrev_i32_e32 v14, s16, v150
	v_and_b32_e32 v186, 0x3030303, v14
	v_ashrrev_i32_e32 v14, s16, v151
	ds_read2_b32 v[150:151], v12 offset0:2 offset1:3
	v_and_b32_e32 v183, 0x3030303, v14
	v_cvt_f32_i32_e32 v147, v146
	v_dot4c_i32_i8_e32 v148, v174, v6
	v_dot4c_i32_i8_e32 v148, v174, v7
	s_waitcnt lgkmcnt(0)
	v_ashrrev_i32_e32 v14, s16, v150
	v_and_b32_e32 v184, 0x3030303, v14
	v_ashrrev_i32_e32 v14, s16, v151
	ds_read2_b32 v[150:151], v12 offset0:4 offset1:5
	v_and_b32_e32 v185, 0x3030303, v14
	v_dot4c_i32_i8_e32 v148, v187, v0
	v_dot4c_i32_i8_e32 v148, v187, v1
	;; [unrolled: 1-line block ×3, first 2 shown]
	s_waitcnt lgkmcnt(0)
	v_ashrrev_i32_e32 v14, s16, v150
	v_and_b32_e32 v175, 0x3030303, v14
	v_ashrrev_i32_e32 v14, s16, v151
	ds_read2_b32 v[150:151], v12 offset0:6 offset1:7
	v_and_b32_e32 v176, 0x3030303, v14
	v_add_u32_e32 v14, s19, v97
	v_dot4c_i32_i8_e32 v148, v187, v3
	v_cvt_f32_f16_e32 v8, v10
	s_waitcnt lgkmcnt(0)
	v_ashrrev_i32_e32 v12, s16, v150
	v_and_b32_e32 v177, 0x3030303, v12
	v_ashrrev_i32_e32 v12, s16, v151
	v_and_b32_e32 v178, 0x3030303, v12
	v_add3_u32 v12, v129, s17, v136
	ds_read_b32 v14, v14
	ds_read_u16 v138, v12 offset:9218
	v_mov_b32_e32 v150, 0
	v_cvt_f32_f16_sdwa v10, v10 dst_sel:DWORD dst_unused:UNUSED_PAD src0_sel:WORD_1
	s_waitcnt lgkmcnt(0)
	v_bfe_u32 v12, v138, 4, 4
	v_mul_lo_u32 v188, v12, s1
	v_mov_b32_e32 v12, 0
	v_lshrrev_b32_sdwa v140, v167, v138 dst_sel:DWORD dst_unused:UNUSED_PAD src0_sel:DWORD src1_sel:BYTE_1
	v_dot4c_i32_i8_e32 v12, v186, v4
	v_mul_lo_u32 v199, v140, s1
	v_mov_b32_e32 v140, 0
	v_dot4c_i32_i8_e32 v12, v183, v5
	v_dot4c_i32_i8_e32 v140, v175, v0
	v_dot4c_i32_i8_e32 v12, v184, v6
	v_dot4c_i32_i8_e32 v140, v176, v1
	v_dot4c_i32_i8_e32 v12, v185, v7
	v_and_b32_e32 v204, 15, v138
	v_dot4c_i32_i8_e32 v140, v177, v2
	v_dot4c_i32_i8_e32 v140, v178, v3
	v_mul_lo_u32 v12, v204, v12
	v_and_b32_sdwa v202, v138, v168 dst_sel:DWORD dst_unused:UNUSED_PAD src0_sel:BYTE_1 src1_sel:DWORD
	v_add_u32_e32 v138, s18, v99
	v_mad_u64_u32 v[152:153], s[20:21], v202, v140, v[12:13]
	v_cvt_f32_i32_e32 v149, v152
	ds_read2_b32 v[152:153], v138 offset1:1
	v_dot4c_i32_i8_e32 v150, v188, v4
	v_dot4c_i32_i8_e32 v150, v188, v5
	;; [unrolled: 1-line block ×4, first 2 shown]
	s_waitcnt lgkmcnt(0)
	v_ashrrev_i32_e32 v140, s16, v152
	v_and_b32_e32 v198, 0x3030303, v140
	v_ashrrev_i32_e32 v140, s16, v153
	ds_read2_b32 v[152:153], v138 offset0:2 offset1:3
	v_and_b32_e32 v195, 0x3030303, v140
	v_dot4c_i32_i8_e32 v150, v199, v0
	v_dot4c_i32_i8_e32 v150, v199, v1
	;; [unrolled: 1-line block ×3, first 2 shown]
	s_waitcnt lgkmcnt(0)
	v_ashrrev_i32_e32 v140, s16, v152
	v_and_b32_e32 v196, 0x3030303, v140
	v_ashrrev_i32_e32 v140, s16, v153
	ds_read2_b32 v[152:153], v138 offset0:4 offset1:5
	v_and_b32_e32 v197, 0x3030303, v140
	v_dot4c_i32_i8_e32 v150, v199, v3
	v_cvt_f32_f16_e32 v12, v14
	v_cvt_f32_f16_sdwa v14, v14 dst_sel:DWORD dst_unused:UNUSED_PAD src0_sel:WORD_1
	s_waitcnt lgkmcnt(0)
	v_ashrrev_i32_e32 v140, s16, v152
	v_and_b32_e32 v191, 0x3030303, v140
	v_ashrrev_i32_e32 v140, s16, v153
	ds_read2_b32 v[152:153], v138 offset0:6 offset1:7
	v_and_b32_e32 v192, 0x3030303, v140
	v_add_u32_e32 v140, s19, v103
	s_waitcnt lgkmcnt(0)
	v_ashrrev_i32_e32 v138, s16, v152
	v_and_b32_e32 v193, 0x3030303, v138
	v_ashrrev_i32_e32 v138, s16, v153
	v_and_b32_e32 v194, 0x3030303, v138
	v_add3_u32 v138, v125, s17, v136
	ds_read_b32 v142, v140
	ds_read_u16 v140, v138 offset:10242
	v_add3_u32 v136, v119, s17, v136
	v_mov_b32_e32 v152, 0
	s_mov_b32 s17, s16
	s_waitcnt lgkmcnt(0)
	v_bfe_u32 v138, v140, 4, 4
	v_mul_lo_u32 v201, v138, s1
	v_mov_b32_e32 v138, 0
	v_lshrrev_b32_sdwa v146, v167, v140 dst_sel:DWORD dst_unused:UNUSED_PAD src0_sel:DWORD src1_sel:BYTE_1
	v_dot4c_i32_i8_e32 v138, v198, v4
	v_mul_lo_u32 v209, v146, s1
	v_mov_b32_e32 v146, 0
	v_dot4c_i32_i8_e32 v138, v195, v5
	v_dot4c_i32_i8_e32 v146, v191, v0
	;; [unrolled: 1-line block ×5, first 2 shown]
	v_and_b32_e32 v212, 15, v140
	v_dot4c_i32_i8_e32 v146, v193, v2
	v_dot4c_i32_i8_e32 v146, v194, v3
	v_mul_lo_u32 v138, v212, v138
	v_and_b32_sdwa v211, v140, v168 dst_sel:DWORD dst_unused:UNUSED_PAD src0_sel:BYTE_1 src1_sel:DWORD
	v_dot4c_i32_i8_e32 v152, v201, v4
	v_mad_u64_u32 v[180:181], s[20:21], v211, v146, v[138:139]
	v_add_u32_e32 v138, s18, v105
	v_cvt_f32_i32_e32 v151, v180
	ds_read2_b32 v[180:181], v138 offset1:1
	ds_read2_b32 v[214:215], v138 offset0:6 offset1:7
	v_dot4c_i32_i8_e32 v152, v201, v5
	v_dot4c_i32_i8_e32 v152, v201, v6
	;; [unrolled: 1-line block ×3, first 2 shown]
	s_waitcnt lgkmcnt(1)
	v_ashrrev_i32_e32 v146, s16, v180
	v_and_b32_e32 v208, 0x3030303, v146
	v_ashrrev_i32_e32 v146, s16, v181
	ds_read2_b32 v[180:181], v138 offset0:2 offset1:3
	v_and_b32_e32 v205, 0x3030303, v146
	v_dot4c_i32_i8_e32 v152, v209, v0
	v_dot4c_i32_i8_e32 v152, v209, v1
	;; [unrolled: 1-line block ×3, first 2 shown]
	s_waitcnt lgkmcnt(0)
	v_ashrrev_i32_e32 v146, s16, v180
	v_and_b32_e32 v206, 0x3030303, v146
	v_ashrrev_i32_e32 v146, s16, v181
	ds_read2_b32 v[180:181], v138 offset0:4 offset1:5
	v_and_b32_e32 v207, 0x3030303, v146
	v_ashrrev_i32_e32 v138, s16, v214
	v_dot4c_i32_i8_e32 v152, v209, v3
	v_mov_b32_e32 v214, 0
	s_waitcnt lgkmcnt(0)
	v_ashrrev_i32_e32 v146, s16, v180
	v_and_b32_e32 v179, 0x3030303, v146
	v_ashrrev_i32_e32 v146, s16, v181
	v_and_b32_e32 v181, 0x3030303, v138
	;; [unrolled: 2-line block ×3, first 2 shown]
	v_add_u32_e32 v138, s19, v107
	ds_read_b32 v138, v138
	ds_read_u16 v136, v136 offset:11266
	v_and_b32_e32 v180, 0x3030303, v146
	v_cvt_f32_f16_e32 v140, v142
	v_cvt_f32_f16_sdwa v142, v142 dst_sel:DWORD dst_unused:UNUSED_PAD src0_sel:WORD_1
	s_waitcnt lgkmcnt(0)
	v_bfe_u32 v146, v136, 4, 4
	v_mul_lo_u32 v210, v146, s1
	v_mov_b32_e32 v146, 0
	v_dot4c_i32_i8_e32 v146, v208, v4
	v_dot4c_i32_i8_e32 v216, v210, v4
	;; [unrolled: 1-line block ×4, first 2 shown]
	v_lshrrev_b32_sdwa v5, v167, v136 dst_sel:DWORD dst_unused:UNUSED_PAD src0_sel:DWORD src1_sel:BYTE_1
	v_mul_lo_u32 v200, v5, s1
	v_mov_b32_e32 v5, 0
	v_dot4c_i32_i8_e32 v216, v210, v6
	v_dot4c_i32_i8_e32 v5, v179, v0
	v_dot4c_i32_i8_e32 v146, v206, v6
	v_dot4c_i32_i8_e32 v216, v210, v7
	v_dot4c_i32_i8_e32 v5, v180, v1
	v_dot4c_i32_i8_e32 v146, v207, v7
	v_and_b32_e32 v213, 15, v136
	v_dot4c_i32_i8_e32 v216, v200, v0
	v_dot4c_i32_i8_e32 v5, v181, v2
	v_mul_lo_u32 v4, v213, v146
	v_dot4c_i32_i8_e32 v216, v200, v1
	v_dot4c_i32_i8_e32 v5, v182, v3
	v_and_b32_sdwa v203, v136, v168 dst_sel:DWORD dst_unused:UNUSED_PAD src0_sel:BYTE_1 src1_sel:DWORD
	v_dot4c_i32_i8_e32 v216, v200, v2
	v_dot4c_i32_i8_e32 v216, v200, v3
	v_mad_u64_u32 v[0:1], s[18:19], v203, v5, v[4:5]
	v_cvt_f32_i32_e32 v153, v0
	ds_read_b128 v[4:7], v11 offset:17920
	ds_read_b128 v[0:3], v11 offset:17936
	v_mov_b32_e32 v146, 0
	v_cvt_f32_f16_e32 v136, v138
	v_cvt_f32_f16_sdwa v138, v138 dst_sel:DWORD dst_unused:UNUSED_PAD src0_sel:WORD_1
	s_waitcnt lgkmcnt(1)
	v_dot4c_i32_i8_e32 v217, v174, v4
	v_dot4c_i32_i8_e32 v217, v174, v5
	;; [unrolled: 1-line block ×6, first 2 shown]
	s_waitcnt lgkmcnt(0)
	v_dot4c_i32_i8_e32 v214, v15, v0
	v_dot4c_i32_i8_e32 v146, v171, v6
	;; [unrolled: 1-line block ×8, first 2 shown]
	v_mul_lo_u32 v146, v146, v190
	v_dot4c_i32_i8_e32 v214, v169, v3
	v_dot4c_i32_i8_e32 v217, v187, v3
	s_nop 1
	v_mad_u64_u32 v[214:215], s[18:19], v214, v189, v[146:147]
	v_cvt_f32_i32_e32 v146, v214
	v_cvt_f32_i32_e32 v215, v148
	;; [unrolled: 1-line block ×3, first 2 shown]
	v_mov_b32_e32 v217, 0
	v_pk_mul_f32 v[214:215], v[10:11], v[214:215] op_sel_hi:[0,1]
	v_pk_fma_f32 v[214:215], v[8:9], v[146:147], v[214:215] op_sel_hi:[0,1,1] neg_lo:[0,0,1] neg_hi:[0,0,1]
	v_mov_b32_e32 v146, v145
	v_mov_b32_e32 v147, v144
	v_pk_fma_f32 v[112:113], v[146:147], v[214:215], v[112:113]
	v_mov_b32_e32 v214, 0
	v_dot4c_i32_i8_e32 v214, v188, v4
	v_mov_b32_e32 v144, 0
	v_dot4c_i32_i8_e32 v214, v188, v5
	v_dot4c_i32_i8_e32 v144, v186, v4
	;; [unrolled: 1-line block ×3, first 2 shown]
	v_mov_b32_e32 v145, 0
	v_dot4c_i32_i8_e32 v144, v183, v5
	v_dot4c_i32_i8_e32 v214, v188, v7
	;; [unrolled: 1-line block ×10, first 2 shown]
	v_mul_lo_u32 v144, v144, v204
	v_dot4c_i32_i8_e32 v145, v178, v3
	v_dot4c_i32_i8_e32 v214, v199, v3
	s_nop 1
	v_mad_u64_u32 v[144:145], s[18:19], v145, v202, v[144:145]
	v_cvt_f32_i32_e32 v148, v144
	v_cvt_f32_i32_e32 v145, v150
	;; [unrolled: 1-line block ×3, first 2 shown]
	v_pk_mul_f32 v[144:145], v[14:15], v[144:145] op_sel_hi:[0,1]
	v_pk_fma_f32 v[144:145], v[12:13], v[148:149], v[144:145] op_sel_hi:[0,1,1] neg_lo:[0,0,1] neg_hi:[0,0,1]
	v_mov_b32_e32 v148, 0
	v_dot4c_i32_i8_e32 v148, v201, v4
	v_pk_fma_f32 v[100:101], v[146:147], v[144:145], v[100:101]
	v_mov_b32_e32 v144, 0
	v_dot4c_i32_i8_e32 v148, v201, v5
	v_dot4c_i32_i8_e32 v144, v198, v4
	;; [unrolled: 1-line block ×3, first 2 shown]
	v_mov_b32_e32 v145, 0
	v_dot4c_i32_i8_e32 v144, v195, v5
	v_dot4c_i32_i8_e32 v148, v201, v7
	;; [unrolled: 1-line block ×10, first 2 shown]
	v_mul_lo_u32 v144, v144, v212
	v_dot4c_i32_i8_e32 v145, v194, v3
	v_dot4c_i32_i8_e32 v148, v209, v3
	v_mov_b32_e32 v149, 0
	s_nop 0
	v_mad_u64_u32 v[144:145], s[18:19], v145, v211, v[144:145]
	v_cvt_f32_i32_e32 v150, v144
	v_cvt_f32_i32_e32 v145, v152
	;; [unrolled: 1-line block ×3, first 2 shown]
	v_pk_mul_f32 v[144:145], v[142:143], v[144:145] op_sel_hi:[0,1]
	v_pk_fma_f32 v[144:145], v[140:141], v[150:151], v[144:145] op_sel_hi:[0,1,1] neg_lo:[0,0,1] neg_hi:[0,0,1]
	v_pk_fma_f32 v[76:77], v[146:147], v[144:145], v[76:77]
	v_mov_b32_e32 v145, 0
	v_mov_b32_e32 v144, 0
	v_dot4c_i32_i8_e32 v145, v210, v4
	v_dot4c_i32_i8_e32 v144, v208, v4
	v_dot4c_i32_i8_e32 v145, v210, v5
	v_dot4c_i32_i8_e32 v144, v205, v5
	v_dot4c_i32_i8_e32 v145, v210, v6
	v_mov_b32_e32 v5, 0
	v_dot4c_i32_i8_e32 v145, v210, v7
	v_dot4c_i32_i8_e32 v5, v179, v0
	;; [unrolled: 1-line block ×9, first 2 shown]
	v_mul_lo_u32 v4, v144, v213
	v_dot4c_i32_i8_e32 v5, v182, v3
	v_dot4c_i32_i8_e32 v145, v200, v3
	v_mov_b32_e32 v151, 0
	s_nop 0
	v_mad_u64_u32 v[0:1], s[18:19], v5, v203, v[4:5]
	v_cvt_f32_i32_e32 v152, v0
	v_cvt_f32_i32_e32 v1, v216
	;; [unrolled: 1-line block ×3, first 2 shown]
	v_mov_b32_e32 v216, 0
	v_pk_mul_f32 v[0:1], v[138:139], v[0:1] op_sel_hi:[0,1]
	v_pk_fma_f32 v[0:1], v[136:137], v[152:153], v[0:1] op_sel_hi:[0,1,1] neg_lo:[0,0,1] neg_hi:[0,0,1]
	v_pk_fma_f32 v[52:53], v[146:147], v[0:1], v[52:53]
	v_add_u32_e32 v0, 0x7600, v13
	ds_read2_b32 v[144:145], v0 offset0:104 offset1:136
	ds_read_b128 v[4:7], v11 offset:18944
	ds_read_b128 v[0:3], v11 offset:18960
	v_mov_b32_e32 v146, 0
	v_mov_b32_e32 v147, 0
	s_waitcnt lgkmcnt(1)
	v_dot4c_i32_i8_e32 v146, v173, v4
	v_dot4c_i32_i8_e32 v146, v170, v5
	s_waitcnt lgkmcnt(0)
	v_dot4c_i32_i8_e32 v147, v15, v0
	v_dot4c_i32_i8_e32 v146, v171, v6
	;; [unrolled: 1-line block ×7, first 2 shown]
	v_mul_lo_u32 v146, v146, v190
	v_dot4c_i32_i8_e32 v216, v188, v4
	v_mad_u64_u32 v[146:147], s[18:19], v147, v189, v[146:147]
	v_cvt_f32_i32_e32 v152, v146
	v_mov_b32_e32 v146, 0
	v_dot4c_i32_i8_e32 v146, v186, v4
	v_mov_b32_e32 v147, 0
	v_dot4c_i32_i8_e32 v146, v183, v5
	v_dot4c_i32_i8_e32 v147, v175, v0
	;; [unrolled: 1-line block ×8, first 2 shown]
	v_mul_lo_u32 v146, v146, v204
	v_dot4c_i32_i8_e32 v218, v210, v4
	v_mad_u64_u32 v[146:147], s[18:19], v147, v202, v[146:147]
	v_cvt_f32_i32_e32 v150, v146
	v_mov_b32_e32 v146, 0
	v_dot4c_i32_i8_e32 v146, v198, v4
	v_mov_b32_e32 v147, 0
	v_dot4c_i32_i8_e32 v146, v195, v5
	v_dot4c_i32_i8_e32 v147, v191, v0
	;; [unrolled: 1-line block ×8, first 2 shown]
	v_mul_lo_u32 v146, v146, v212
	v_dot4c_i32_i8_e32 v216, v188, v5
	v_mad_u64_u32 v[146:147], s[18:19], v147, v211, v[146:147]
	v_cvt_f32_i32_e32 v148, v146
	v_mov_b32_e32 v146, 0
	v_dot4c_i32_i8_e32 v146, v208, v4
	v_dot4c_i32_i8_e32 v217, v201, v5
	;; [unrolled: 1-line block ×4, first 2 shown]
	v_mov_b32_e32 v5, 0
	v_dot4c_i32_i8_e32 v149, v174, v6
	v_dot4c_i32_i8_e32 v216, v188, v6
	;; [unrolled: 1-line block ×20, first 2 shown]
	v_mul_lo_u32 v4, v146, v213
	v_dot4c_i32_i8_e32 v218, v200, v1
	v_dot4c_i32_i8_e32 v5, v182, v3
	;; [unrolled: 1-line block ×6, first 2 shown]
	v_mad_u64_u32 v[0:1], s[18:19], v5, v203, v[4:5]
	v_dot4c_i32_i8_e32 v149, v187, v3
	v_dot4c_i32_i8_e32 v216, v199, v3
	;; [unrolled: 1-line block ×4, first 2 shown]
	v_cvt_f32_i32_e32 v146, v0
	ds_read_b128 v[4:7], v11 offset:19968
	ds_read_b128 v[0:3], v11 offset:19984
	v_mov_b32_e32 v147, 0
	s_waitcnt lgkmcnt(1)
	v_dot4c_i32_i8_e32 v147, v173, v4
	v_dot4c_i32_i8_e32 v147, v170, v5
	;; [unrolled: 1-line block ×8, first 2 shown]
	s_waitcnt lgkmcnt(0)
	v_dot4c_i32_i8_e32 v151, v187, v0
	v_mul_lo_u32 v214, v147, v190
	v_mov_b32_e32 v147, 0
	v_dot4c_i32_i8_e32 v147, v15, v0
	v_dot4c_i32_i8_e32 v147, v154, v1
	;; [unrolled: 1-line block ×7, first 2 shown]
	s_nop 1
	v_mad_u64_u32 v[214:215], s[18:19], v147, v189, v[214:215]
	v_cvt_f32_i32_e32 v153, v214
	v_cvt_f32_i32_e32 v215, v151
	;; [unrolled: 1-line block ×3, first 2 shown]
	v_mov_b32_e32 v147, 0
	v_dot4c_i32_i8_e32 v147, v186, v4
	v_mov_b32_e32 v149, 0
	v_dot4c_i32_i8_e32 v147, v183, v5
	v_pk_mul_f32 v[214:215], v[10:11], v[214:215] op_sel_hi:[0,1]
	v_dot4c_i32_i8_e32 v149, v188, v4
	v_dot4c_i32_i8_e32 v147, v184, v6
	v_pk_fma_f32 v[152:153], v[8:9], v[152:153], v[214:215] op_sel_hi:[0,1,1] neg_lo:[0,0,1] neg_hi:[0,0,1]
	v_dot4c_i32_i8_e32 v149, v188, v5
	v_dot4c_i32_i8_e32 v147, v185, v7
	v_pk_fma_f32 v[38:39], v[144:145], v[152:153], v[38:39]
	v_dot4c_i32_i8_e32 v149, v188, v6
	v_dot4c_i32_i8_e32 v149, v188, v7
	v_mul_lo_u32 v152, v147, v204
	v_mov_b32_e32 v147, 0
	v_dot4c_i32_i8_e32 v147, v175, v0
	v_dot4c_i32_i8_e32 v149, v199, v0
	;; [unrolled: 1-line block ×8, first 2 shown]
	v_add_u32_e32 v214, 0x7800, v13
	v_mov_b32_e32 v215, 0
	v_mad_u64_u32 v[152:153], s[18:19], v147, v202, v[152:153]
	v_cvt_f32_i32_e32 v151, v152
	v_cvt_f32_i32_e32 v153, v149
	;; [unrolled: 1-line block ×3, first 2 shown]
	v_mov_b32_e32 v147, 0
	v_dot4c_i32_i8_e32 v147, v198, v4
	v_dot4c_i32_i8_e32 v147, v195, v5
	v_pk_mul_f32 v[152:153], v[14:15], v[152:153] op_sel_hi:[0,1]
	v_pk_fma_f32 v[150:151], v[12:13], v[150:151], v[152:153] op_sel_hi:[0,1,1] neg_lo:[0,0,1] neg_hi:[0,0,1]
	v_mov_b32_e32 v152, 0
	v_dot4c_i32_i8_e32 v152, v201, v4
	v_dot4c_i32_i8_e32 v147, v196, v6
	v_dot4c_i32_i8_e32 v152, v201, v5
	v_dot4c_i32_i8_e32 v147, v197, v7
	v_pk_fma_f32 v[36:37], v[144:145], v[150:151], v[36:37]
	v_dot4c_i32_i8_e32 v152, v201, v6
	v_dot4c_i32_i8_e32 v152, v201, v7
	v_mul_lo_u32 v150, v147, v212
	v_mov_b32_e32 v147, 0
	v_dot4c_i32_i8_e32 v147, v191, v0
	v_dot4c_i32_i8_e32 v152, v209, v0
	;; [unrolled: 1-line block ×8, first 2 shown]
	s_nop 1
	v_mad_u64_u32 v[150:151], s[18:19], v147, v211, v[150:151]
	v_cvt_f32_i32_e32 v149, v150
	v_cvt_f32_i32_e32 v151, v152
	;; [unrolled: 1-line block ×3, first 2 shown]
	v_mov_b32_e32 v147, 0
	v_dot4c_i32_i8_e32 v147, v208, v4
	v_dot4c_i32_i8_e32 v147, v205, v5
	v_pk_mul_f32 v[150:151], v[142:143], v[150:151] op_sel_hi:[0,1]
	v_pk_fma_f32 v[148:149], v[140:141], v[148:149], v[150:151] op_sel_hi:[0,1,1] neg_lo:[0,0,1] neg_hi:[0,0,1]
	v_pk_fma_f32 v[34:35], v[144:145], v[148:149], v[34:35]
	v_mov_b32_e32 v148, 0
	v_dot4c_i32_i8_e32 v148, v210, v4
	v_dot4c_i32_i8_e32 v148, v210, v5
	;; [unrolled: 1-line block ×3, first 2 shown]
	v_mov_b32_e32 v5, 0
	v_dot4c_i32_i8_e32 v148, v210, v7
	v_dot4c_i32_i8_e32 v5, v179, v0
	;; [unrolled: 1-line block ×9, first 2 shown]
	v_mul_lo_u32 v4, v147, v213
	v_dot4c_i32_i8_e32 v5, v182, v3
	v_dot4c_i32_i8_e32 v148, v200, v3
	v_mov_b32_e32 v149, 0
	v_mov_b32_e32 v151, 0
	v_mad_u64_u32 v[0:1], s[18:19], v5, v203, v[4:5]
	v_cvt_f32_i32_e32 v147, v0
	v_cvt_f32_i32_e32 v1, v148
	;; [unrolled: 1-line block ×3, first 2 shown]
	v_mov_b32_e32 v218, 0
	v_pk_mul_f32 v[0:1], v[138:139], v[0:1] op_sel_hi:[0,1]
	v_pk_fma_f32 v[0:1], v[136:137], v[146:147], v[0:1] op_sel_hi:[0,1,1] neg_lo:[0,0,1] neg_hi:[0,0,1]
	v_pk_fma_f32 v[32:33], v[144:145], v[0:1], v[32:33]
	ds_read2_b32 v[144:145], v214 offset0:40 offset1:72
	ds_read_b128 v[4:7], v11 offset:20992
	ds_read_b128 v[0:3], v11 offset:21008
	v_mov_b32_e32 v146, 0
	v_mov_b32_e32 v147, 0
	s_waitcnt lgkmcnt(1)
	v_dot4c_i32_i8_e32 v146, v173, v4
	v_dot4c_i32_i8_e32 v146, v170, v5
	s_waitcnt lgkmcnt(0)
	v_dot4c_i32_i8_e32 v147, v15, v0
	v_dot4c_i32_i8_e32 v146, v171, v6
	;; [unrolled: 1-line block ×7, first 2 shown]
	v_mul_lo_u32 v146, v146, v190
	v_dot4c_i32_i8_e32 v215, v188, v4
	v_mad_u64_u32 v[146:147], s[18:19], v147, v189, v[146:147]
	v_cvt_f32_i32_e32 v152, v146
	v_mov_b32_e32 v146, 0
	v_dot4c_i32_i8_e32 v146, v186, v4
	v_mov_b32_e32 v147, 0
	v_dot4c_i32_i8_e32 v146, v183, v5
	v_dot4c_i32_i8_e32 v147, v175, v0
	;; [unrolled: 1-line block ×8, first 2 shown]
	v_mul_lo_u32 v146, v146, v204
	v_dot4c_i32_i8_e32 v219, v210, v4
	v_mad_u64_u32 v[146:147], s[18:19], v147, v202, v[146:147]
	v_cvt_f32_i32_e32 v150, v146
	v_mov_b32_e32 v146, 0
	v_dot4c_i32_i8_e32 v146, v198, v4
	v_mov_b32_e32 v147, 0
	v_dot4c_i32_i8_e32 v146, v195, v5
	v_dot4c_i32_i8_e32 v147, v191, v0
	;; [unrolled: 1-line block ×8, first 2 shown]
	v_mul_lo_u32 v146, v146, v212
	v_dot4c_i32_i8_e32 v215, v188, v5
	v_mad_u64_u32 v[146:147], s[18:19], v147, v211, v[146:147]
	v_cvt_f32_i32_e32 v148, v146
	v_mov_b32_e32 v146, 0
	v_dot4c_i32_i8_e32 v146, v208, v4
	v_dot4c_i32_i8_e32 v218, v201, v5
	;; [unrolled: 1-line block ×4, first 2 shown]
	v_mov_b32_e32 v5, 0
	v_dot4c_i32_i8_e32 v149, v174, v6
	v_dot4c_i32_i8_e32 v215, v188, v6
	;; [unrolled: 1-line block ×20, first 2 shown]
	v_mul_lo_u32 v4, v146, v213
	v_dot4c_i32_i8_e32 v219, v200, v1
	v_dot4c_i32_i8_e32 v5, v182, v3
	;; [unrolled: 1-line block ×6, first 2 shown]
	v_mad_u64_u32 v[0:1], s[18:19], v5, v203, v[4:5]
	v_dot4c_i32_i8_e32 v149, v187, v3
	v_dot4c_i32_i8_e32 v215, v199, v3
	;; [unrolled: 1-line block ×4, first 2 shown]
	v_cvt_f32_i32_e32 v146, v0
	ds_read_b128 v[4:7], v11 offset:22016
	ds_read_b128 v[0:3], v11 offset:22032
	v_mov_b32_e32 v147, 0
	s_waitcnt lgkmcnt(1)
	v_dot4c_i32_i8_e32 v147, v173, v4
	v_dot4c_i32_i8_e32 v147, v170, v5
	;; [unrolled: 1-line block ×8, first 2 shown]
	s_waitcnt lgkmcnt(0)
	v_dot4c_i32_i8_e32 v151, v187, v0
	v_mul_lo_u32 v216, v147, v190
	v_mov_b32_e32 v147, 0
	v_dot4c_i32_i8_e32 v147, v15, v0
	v_dot4c_i32_i8_e32 v147, v154, v1
	;; [unrolled: 1-line block ×7, first 2 shown]
	s_nop 1
	v_mad_u64_u32 v[216:217], s[18:19], v147, v189, v[216:217]
	v_cvt_f32_i32_e32 v153, v216
	v_cvt_f32_i32_e32 v217, v151
	v_cvt_f32_i32_e32 v216, v149
	v_mov_b32_e32 v147, 0
	v_dot4c_i32_i8_e32 v147, v186, v4
	v_mov_b32_e32 v149, 0
	v_dot4c_i32_i8_e32 v147, v183, v5
	v_pk_mul_f32 v[216:217], v[10:11], v[216:217] op_sel_hi:[0,1]
	v_dot4c_i32_i8_e32 v149, v188, v4
	v_dot4c_i32_i8_e32 v147, v184, v6
	v_pk_fma_f32 v[152:153], v[8:9], v[152:153], v[216:217] op_sel_hi:[0,1,1] neg_lo:[0,0,1] neg_hi:[0,0,1]
	v_dot4c_i32_i8_e32 v149, v188, v5
	v_dot4c_i32_i8_e32 v147, v185, v7
	v_pk_fma_f32 v[30:31], v[144:145], v[152:153], v[30:31]
	v_dot4c_i32_i8_e32 v149, v188, v6
	v_dot4c_i32_i8_e32 v149, v188, v7
	v_mul_lo_u32 v152, v147, v204
	v_mov_b32_e32 v147, 0
	v_dot4c_i32_i8_e32 v147, v175, v0
	v_dot4c_i32_i8_e32 v149, v199, v0
	;; [unrolled: 1-line block ×8, first 2 shown]
	v_mov_b32_e32 v216, 0
	s_nop 0
	v_mad_u64_u32 v[152:153], s[18:19], v147, v202, v[152:153]
	v_cvt_f32_i32_e32 v151, v152
	v_cvt_f32_i32_e32 v153, v149
	;; [unrolled: 1-line block ×3, first 2 shown]
	v_mov_b32_e32 v147, 0
	v_dot4c_i32_i8_e32 v147, v198, v4
	v_dot4c_i32_i8_e32 v147, v195, v5
	v_pk_mul_f32 v[152:153], v[14:15], v[152:153] op_sel_hi:[0,1]
	v_pk_fma_f32 v[150:151], v[12:13], v[150:151], v[152:153] op_sel_hi:[0,1,1] neg_lo:[0,0,1] neg_hi:[0,0,1]
	v_mov_b32_e32 v152, 0
	v_dot4c_i32_i8_e32 v152, v201, v4
	v_dot4c_i32_i8_e32 v147, v196, v6
	;; [unrolled: 1-line block ×4, first 2 shown]
	v_pk_fma_f32 v[28:29], v[144:145], v[150:151], v[28:29]
	v_dot4c_i32_i8_e32 v152, v201, v6
	v_dot4c_i32_i8_e32 v152, v201, v7
	v_mul_lo_u32 v150, v147, v212
	v_mov_b32_e32 v147, 0
	v_dot4c_i32_i8_e32 v147, v191, v0
	v_dot4c_i32_i8_e32 v152, v209, v0
	;; [unrolled: 1-line block ×8, first 2 shown]
	v_mov_b32_e32 v215, 0
	s_nop 0
	v_mad_u64_u32 v[150:151], s[18:19], v147, v211, v[150:151]
	v_cvt_f32_i32_e32 v149, v150
	v_cvt_f32_i32_e32 v151, v152
	;; [unrolled: 1-line block ×3, first 2 shown]
	v_mov_b32_e32 v147, 0
	v_dot4c_i32_i8_e32 v147, v208, v4
	v_dot4c_i32_i8_e32 v147, v205, v5
	v_pk_mul_f32 v[150:151], v[142:143], v[150:151] op_sel_hi:[0,1]
	v_pk_fma_f32 v[148:149], v[140:141], v[148:149], v[150:151] op_sel_hi:[0,1,1] neg_lo:[0,0,1] neg_hi:[0,0,1]
	v_pk_fma_f32 v[26:27], v[144:145], v[148:149], v[26:27]
	v_mov_b32_e32 v148, 0
	v_dot4c_i32_i8_e32 v148, v210, v4
	v_dot4c_i32_i8_e32 v148, v210, v5
	;; [unrolled: 1-line block ×3, first 2 shown]
	v_mov_b32_e32 v5, 0
	v_dot4c_i32_i8_e32 v148, v210, v7
	v_dot4c_i32_i8_e32 v5, v179, v0
	;; [unrolled: 1-line block ×9, first 2 shown]
	v_mul_lo_u32 v4, v147, v213
	v_dot4c_i32_i8_e32 v5, v182, v3
	v_dot4c_i32_i8_e32 v148, v200, v3
	v_mov_b32_e32 v149, 0
	v_mov_b32_e32 v151, 0
	v_mad_u64_u32 v[0:1], s[18:19], v5, v203, v[4:5]
	v_cvt_f32_i32_e32 v147, v0
	v_cvt_f32_i32_e32 v1, v148
	;; [unrolled: 1-line block ×3, first 2 shown]
	v_pk_mul_f32 v[0:1], v[138:139], v[0:1] op_sel_hi:[0,1]
	v_pk_fma_f32 v[0:1], v[136:137], v[146:147], v[0:1] op_sel_hi:[0,1,1] neg_lo:[0,0,1] neg_hi:[0,0,1]
	v_pk_fma_f32 v[24:25], v[144:145], v[0:1], v[24:25]
	ds_read2_b32 v[144:145], v214 offset0:104 offset1:136
	ds_read_b128 v[4:7], v11 offset:23040
	ds_read_b128 v[0:3], v11 offset:23056
	v_mov_b32_e32 v146, 0
	v_mov_b32_e32 v147, 0
	;; [unrolled: 1-line block ×3, first 2 shown]
	s_waitcnt lgkmcnt(1)
	v_dot4c_i32_i8_e32 v146, v173, v4
	v_dot4c_i32_i8_e32 v146, v170, v5
	s_waitcnt lgkmcnt(0)
	v_dot4c_i32_i8_e32 v147, v15, v0
	v_dot4c_i32_i8_e32 v146, v171, v6
	;; [unrolled: 1-line block ×7, first 2 shown]
	v_mul_lo_u32 v146, v146, v190
	v_dot4c_i32_i8_e32 v215, v188, v4
	v_mad_u64_u32 v[146:147], s[18:19], v147, v189, v[146:147]
	v_cvt_f32_i32_e32 v152, v146
	v_mov_b32_e32 v146, 0
	v_dot4c_i32_i8_e32 v146, v186, v4
	v_mov_b32_e32 v147, 0
	v_dot4c_i32_i8_e32 v146, v183, v5
	v_dot4c_i32_i8_e32 v147, v175, v0
	;; [unrolled: 1-line block ×8, first 2 shown]
	v_mul_lo_u32 v146, v146, v204
	v_dot4c_i32_i8_e32 v214, v210, v4
	v_mad_u64_u32 v[146:147], s[18:19], v147, v202, v[146:147]
	v_cvt_f32_i32_e32 v150, v146
	v_mov_b32_e32 v146, 0
	v_dot4c_i32_i8_e32 v146, v198, v4
	v_mov_b32_e32 v147, 0
	v_dot4c_i32_i8_e32 v146, v195, v5
	v_dot4c_i32_i8_e32 v147, v191, v0
	;; [unrolled: 1-line block ×8, first 2 shown]
	v_mul_lo_u32 v146, v146, v212
	v_dot4c_i32_i8_e32 v215, v188, v5
	v_mad_u64_u32 v[146:147], s[18:19], v147, v211, v[146:147]
	v_cvt_f32_i32_e32 v148, v146
	v_mov_b32_e32 v146, 0
	v_dot4c_i32_i8_e32 v146, v208, v4
	v_dot4c_i32_i8_e32 v216, v201, v5
	;; [unrolled: 1-line block ×4, first 2 shown]
	v_mov_b32_e32 v5, 0
	v_dot4c_i32_i8_e32 v149, v174, v6
	v_dot4c_i32_i8_e32 v215, v188, v6
	;; [unrolled: 1-line block ×20, first 2 shown]
	v_mul_lo_u32 v4, v146, v213
	v_dot4c_i32_i8_e32 v214, v200, v1
	v_dot4c_i32_i8_e32 v5, v182, v3
	;; [unrolled: 1-line block ×6, first 2 shown]
	v_mad_u64_u32 v[0:1], s[18:19], v5, v203, v[4:5]
	v_dot4c_i32_i8_e32 v149, v187, v3
	v_dot4c_i32_i8_e32 v215, v199, v3
	;; [unrolled: 1-line block ×4, first 2 shown]
	v_cvt_f32_i32_e32 v146, v0
	ds_read_b128 v[4:7], v11 offset:24064
	ds_read_b128 v[0:3], v11 offset:24080
	v_mov_b32_e32 v147, 0
	s_waitcnt lgkmcnt(1)
	v_dot4c_i32_i8_e32 v147, v173, v4
	v_dot4c_i32_i8_e32 v147, v170, v5
	;; [unrolled: 1-line block ×8, first 2 shown]
	s_waitcnt lgkmcnt(0)
	v_dot4c_i32_i8_e32 v151, v187, v0
	v_mul_lo_u32 v170, v147, v190
	v_mov_b32_e32 v147, 0
	v_dot4c_i32_i8_e32 v147, v15, v0
	v_dot4c_i32_i8_e32 v147, v154, v1
	;; [unrolled: 1-line block ×7, first 2 shown]
	v_mov_b32_e32 v15, 0
	v_dot4c_i32_i8_e32 v15, v175, v0
	v_mad_u64_u32 v[154:155], s[18:19], v147, v189, v[170:171]
	v_cvt_f32_i32_e32 v153, v154
	v_cvt_f32_i32_e32 v155, v151
	;; [unrolled: 1-line block ×3, first 2 shown]
	v_dot4c_i32_i8_e32 v15, v176, v1
	v_dot4c_i32_i8_e32 v15, v177, v2
	;; [unrolled: 1-line block ×3, first 2 shown]
	v_pk_mul_f32 v[154:155], v[10:11], v[154:155] op_sel_hi:[0,1]
	v_mov_b32_e32 v10, 0
	v_dot4c_i32_i8_e32 v10, v188, v4
	v_pk_fma_f32 v[152:153], v[8:9], v[152:153], v[154:155] op_sel_hi:[0,1,1] neg_lo:[0,0,1] neg_hi:[0,0,1]
	v_mov_b32_e32 v8, 0
	v_dot4c_i32_i8_e32 v10, v188, v5
	v_dot4c_i32_i8_e32 v8, v186, v4
	;; [unrolled: 1-line block ×10, first 2 shown]
	v_pk_fma_f32 v[22:23], v[144:145], v[152:153], v[22:23]
	v_mul_lo_u32 v8, v8, v204
	v_dot4c_i32_i8_e32 v10, v199, v3
	v_mad_u64_u32 v[152:153], s[18:19], v15, v202, v[8:9]
	v_cvt_f32_i32_e32 v151, v152
	s_nop 0
	v_cvt_f32_i32_e32 v153, v10
	v_cvt_f32_i32_e32 v152, v215
	v_mov_b32_e32 v10, 0
	v_dot4c_i32_i8_e32 v10, v201, v4
	v_mov_b32_e32 v8, 0
	v_pk_mul_f32 v[14:15], v[14:15], v[152:153] op_sel_hi:[0,1]
	v_dot4c_i32_i8_e32 v10, v201, v5
	v_pk_fma_f32 v[14:15], v[12:13], v[150:151], v[14:15] op_sel_hi:[0,1,1] neg_lo:[0,0,1] neg_hi:[0,0,1]
	v_dot4c_i32_i8_e32 v8, v198, v4
	v_dot4c_i32_i8_e32 v10, v201, v6
	v_mov_b32_e32 v12, 0
	v_dot4c_i32_i8_e32 v8, v195, v5
	v_dot4c_i32_i8_e32 v10, v201, v7
	;; [unrolled: 1-line block ×10, first 2 shown]
	v_mul_lo_u32 v8, v8, v212
	v_dot4c_i32_i8_e32 v12, v194, v3
	v_pk_fma_f32 v[20:21], v[144:145], v[14:15], v[20:21]
	v_dot4c_i32_i8_e32 v10, v209, v3
	v_add_u32_e32 v13, 4, v13
	v_mad_u64_u32 v[14:15], s[18:19], v12, v211, v[8:9]
	s_nop 0
	v_cvt_f32_i32_e32 v15, v10
	v_mov_b32_e32 v10, 0
	v_mov_b32_e32 v8, 0
	v_dot4c_i32_i8_e32 v10, v210, v4
	v_dot4c_i32_i8_e32 v8, v208, v4
	;; [unrolled: 1-line block ×5, first 2 shown]
	v_mov_b32_e32 v5, 0
	v_dot4c_i32_i8_e32 v10, v210, v7
	v_dot4c_i32_i8_e32 v5, v179, v0
	;; [unrolled: 1-line block ×9, first 2 shown]
	v_mul_lo_u32 v4, v8, v213
	v_dot4c_i32_i8_e32 v5, v182, v3
	v_dot4c_i32_i8_e32 v10, v200, v3
	v_cvt_f32_i32_e32 v149, v14
	v_cvt_f32_i32_e32 v14, v216
	v_mad_u64_u32 v[0:1], s[18:19], v5, v203, v[4:5]
	v_cvt_f32_i32_e32 v147, v0
	v_cvt_f32_i32_e32 v1, v10
	;; [unrolled: 1-line block ×3, first 2 shown]
	v_pk_mul_f32 v[14:15], v[142:143], v[14:15] op_sel_hi:[0,1]
	v_pk_fma_f32 v[14:15], v[140:141], v[148:149], v[14:15] op_sel_hi:[0,1,1] neg_lo:[0,0,1] neg_hi:[0,0,1]
	v_pk_fma_f32 v[18:19], v[144:145], v[14:15], v[18:19]
	v_pk_mul_f32 v[0:1], v[138:139], v[0:1] op_sel_hi:[0,1]
	v_pk_fma_f32 v[0:1], v[136:137], v[146:147], v[0:1] op_sel_hi:[0,1,1] neg_lo:[0,0,1] neg_hi:[0,0,1]
	v_pk_fma_f32 v[16:17], v[144:145], v[0:1], v[16:17]
	v_add_u32_e32 v11, 32, v11
	s_cbranch_scc1 .LBB168_7
; %bb.8:                                ;   in Loop: Header=BB168_6 Depth=1
	v_add_u32_e32 v8, s9, v109
	v_add_u32_e32 v0, v8, v55
	;; [unrolled: 1-line block ×9, first 2 shown]
	v_mad_i64_i32 v[144:145], s[16:17], v8, 36, v[132:133]
	v_add_u32_e32 v8, 4, v9
	v_mad_i64_i32 v[0:1], s[16:17], v0, 36, v[132:133]
	v_mad_i64_i32 v[2:3], s[16:17], v2, 36, v[132:133]
	;; [unrolled: 1-line block ×4, first 2 shown]
	v_mad_u64_u32 v[146:147], s[16:17], v8, 36, s[2:3]
	s_barrier
	v_mad_i64_i32 v[10:11], s[16:17], v10, 36, v[132:133]
	v_mad_i64_i32 v[12:13], s[16:17], v12, 36, v[132:133]
	;; [unrolled: 1-line block ×3, first 2 shown]
	global_load_dword v8, v[146:147], off
	s_nop 0
	global_load_dword v0, v[0:1], off offset:4
	s_nop 0
	global_load_dword v1, v[2:3], off offset:4
	;; [unrolled: 2-line block ×3, first 2 shown]
	global_load_dword v3, v[6:7], off offset:4
	s_nop 0
	global_load_dword v4, v[10:11], off offset:4
	global_load_dword v5, v[12:13], off offset:4
	;; [unrolled: 1-line block ×4, first 2 shown]
	s_mov_b32 s11, 8
	s_mov_b32 s16, 0
	v_mov_b32_e32 v11, v157
	v_mov_b32_e32 v13, v156
	s_waitcnt vmcnt(8)
	v_cvt_f32_f16_e32 v8, v8
	s_waitcnt vmcnt(7)
	ds_write_b32 v59, v0
	s_waitcnt vmcnt(6)
	ds_write_b32 v63, v1
	;; [unrolled: 2-line block ×8, first 2 shown]
	ds_write_b32 v51, v8
	s_waitcnt lgkmcnt(0)
	s_barrier
.LBB168_9:                              ;   Parent Loop BB168_6 Depth=1
                                        ; =>  This Inner Loop Header: Depth=2
	s_add_i32 s17, s16, 8
	s_and_b32 s19, s17, 0x3ffffff8
	s_lshl_b32 s19, s19, 2
	v_add_u32_e32 v8, s19, v91
	ds_read2_b32 v[144:145], v13 offset1:32
	ds_read_b128 v[4:7], v11
	ds_read_b128 v[0:3], v11 offset:16
	ds_read2_b32 v[14:15], v8 offset1:1
	s_lshr_b32 s20, s17, 2
	s_and_b32 s18, s11, -16
	v_add_u32_e32 v136, s16, v121
	s_and_b32 s20, s20, 0x3ffffffc
	s_waitcnt lgkmcnt(0)
	v_ashrrev_i32_e32 v10, s16, v14
	v_and_b32_e32 v185, 0x3030303, v10
	v_ashrrev_i32_e32 v10, s16, v15
	ds_read2_b32 v[14:15], v8 offset0:2 offset1:3
	v_and_b32_e32 v182, 0x3030303, v10
	v_mov_b32_e32 v211, 0
	v_mov_b32_e32 v213, 0
	;; [unrolled: 1-line block ×3, first 2 shown]
	s_waitcnt lgkmcnt(0)
	v_ashrrev_i32_e32 v10, s16, v14
	v_and_b32_e32 v183, 0x3030303, v10
	v_ashrrev_i32_e32 v10, s16, v15
	ds_read2_b32 v[14:15], v8 offset0:4 offset1:5
	v_and_b32_e32 v184, 0x3030303, v10
	v_mov_b32_e32 v219, 0
	v_mov_b32_e32 v147, 0
	;; [unrolled: 1-line block ×3, first 2 shown]
	s_waitcnt lgkmcnt(0)
	v_ashrrev_i32_e32 v10, s16, v14
	v_and_b32_e32 v175, 0x3030303, v10
	v_ashrrev_i32_e32 v10, s16, v15
	ds_read2_b32 v[14:15], v8 offset0:6 offset1:7
	v_and_b32_e32 v176, 0x3030303, v10
	v_add_u32_e32 v10, s20, v93
	v_mov_b32_e32 v214, 0
	v_mov_b32_e32 v218, 0
	s_waitcnt lgkmcnt(0)
	v_ashrrev_i32_e32 v8, s16, v14
	v_and_b32_e32 v177, 0x3030303, v8
	v_ashrrev_i32_e32 v8, s16, v15
	v_and_b32_e32 v178, 0x3030303, v8
	v_add3_u32 v8, v143, s18, v136
	ds_read_b32 v10, v10
	ds_read_u16 v8, v8
	v_dot4c_i32_i8_e32 v147, v185, v4
	v_dot4c_i32_i8_e32 v147, v182, v5
	;; [unrolled: 1-line block ×3, first 2 shown]
	s_waitcnt lgkmcnt(1)
	v_cvt_f32_f16_sdwa v14, v10 dst_sel:DWORD dst_unused:UNUSED_PAD src0_sel:WORD_1
	s_waitcnt lgkmcnt(0)
	v_bfe_u32 v12, v8, 4, 4
	v_mul_lo_u32 v203, v12, s1
	v_and_b32_e32 v194, 15, v8
	v_lshrrev_b32_sdwa v12, v167, v8 dst_sel:DWORD dst_unused:UNUSED_PAD src0_sel:DWORD src1_sel:BYTE_1
	v_and_b32_sdwa v204, v8, v168 dst_sel:DWORD dst_unused:UNUSED_PAD src0_sel:BYTE_1 src1_sel:DWORD
	v_add_u32_e32 v8, s19, v95
	v_mul_lo_u32 v202, v12, s1
	v_mov_b32_e32 v12, 0
	ds_read2_b32 v[148:149], v8 offset1:1
	v_dot4c_i32_i8_e32 v12, v175, v0
	v_dot4c_i32_i8_e32 v12, v176, v1
	;; [unrolled: 1-line block ×7, first 2 shown]
	v_mul_lo_u32 v146, v204, v12
	v_cvt_f32_f16_e32 v12, v10
	s_waitcnt lgkmcnt(0)
	v_ashrrev_i32_e32 v10, s16, v148
	v_and_b32_e32 v199, 0x3030303, v10
	v_ashrrev_i32_e32 v10, s16, v149
	ds_read2_b32 v[148:149], v8 offset0:2 offset1:3
	v_and_b32_e32 v196, 0x3030303, v10
	v_dot4c_i32_i8_e32 v212, v199, v4
	v_dot4c_i32_i8_e32 v211, v203, v7
	;; [unrolled: 1-line block ×3, first 2 shown]
	s_waitcnt lgkmcnt(0)
	v_ashrrev_i32_e32 v10, s16, v148
	v_and_b32_e32 v197, 0x3030303, v10
	v_ashrrev_i32_e32 v10, s16, v149
	ds_read2_b32 v[148:149], v8 offset0:4 offset1:5
	v_and_b32_e32 v198, 0x3030303, v10
	v_dot4c_i32_i8_e32 v211, v202, v1
	v_dot4c_i32_i8_e32 v212, v196, v5
	;; [unrolled: 1-line block ×3, first 2 shown]
	s_waitcnt lgkmcnt(0)
	v_ashrrev_i32_e32 v10, s16, v148
	v_and_b32_e32 v189, 0x3030303, v10
	v_ashrrev_i32_e32 v10, s16, v149
	ds_read2_b32 v[148:149], v8 offset0:6 offset1:7
	v_and_b32_e32 v190, 0x3030303, v10
	v_add_u32_e32 v10, s20, v97
	v_dot4c_i32_i8_e32 v212, v197, v6
	v_dot4c_i32_i8_e32 v147, v184, v7
	s_waitcnt lgkmcnt(0)
	v_ashrrev_i32_e32 v8, s16, v148
	v_and_b32_e32 v191, 0x3030303, v8
	v_ashrrev_i32_e32 v8, s16, v149
	v_and_b32_e32 v192, 0x3030303, v8
	v_add3_u32 v8, v141, s18, v136
	ds_read_b32 v10, v10
	ds_read_u16 v8, v8
	v_dot4c_i32_i8_e32 v211, v202, v3
	v_dot4c_i32_i8_e32 v212, v198, v7
	v_mov_b32_e32 v220, 0
	s_waitcnt lgkmcnt(1)
	v_cvt_f32_f16_e32 v140, v10
	s_waitcnt lgkmcnt(0)
	v_bfe_u32 v15, v8, 4, 4
	v_mul_lo_u32 v201, v15, s1
	v_and_b32_e32 v207, 15, v8
	v_lshrrev_b32_sdwa v15, v167, v8 dst_sel:DWORD dst_unused:UNUSED_PAD src0_sel:DWORD src1_sel:BYTE_1
	v_and_b32_sdwa v210, v8, v168 dst_sel:DWORD dst_unused:UNUSED_PAD src0_sel:BYTE_1 src1_sel:DWORD
	v_add_u32_e32 v8, s19, v99
	ds_read2_b32 v[150:151], v8 offset1:1
	ds_read2_b32 v[152:153], v8 offset0:6 offset1:7
	v_cvt_f32_f16_sdwa v142, v10 dst_sel:DWORD dst_unused:UNUSED_PAD src0_sel:WORD_1
	v_mul_lo_u32 v209, v15, s1
	v_mov_b32_e32 v15, 0
	s_waitcnt lgkmcnt(1)
	v_ashrrev_i32_e32 v10, s16, v150
	v_and_b32_e32 v208, 0x3030303, v10
	v_ashrrev_i32_e32 v10, s16, v151
	ds_read2_b32 v[150:151], v8 offset0:2 offset1:3
	v_and_b32_e32 v154, 0x3030303, v10
	v_dot4c_i32_i8_e32 v15, v189, v0
	v_dot4c_i32_i8_e32 v15, v190, v1
	;; [unrolled: 1-line block ×3, first 2 shown]
	s_waitcnt lgkmcnt(0)
	v_ashrrev_i32_e32 v10, s16, v150
	v_and_b32_e32 v155, 0x3030303, v10
	v_ashrrev_i32_e32 v10, s16, v151
	ds_read2_b32 v[150:151], v8 offset0:4 offset1:5
	v_dot4c_i32_i8_e32 v15, v192, v3
	v_and_b32_e32 v169, 0x3030303, v10
	v_ashrrev_i32_e32 v8, s16, v152
	v_dot4c_i32_i8_e32 v213, v201, v4
	s_waitcnt lgkmcnt(0)
	v_ashrrev_i32_e32 v10, s16, v150
	v_mul_lo_u32 v148, v210, v15
	v_and_b32_e32 v15, 0x3030303, v10
	v_ashrrev_i32_e32 v10, s16, v151
	v_and_b32_e32 v151, 0x3030303, v8
	v_ashrrev_i32_e32 v8, s16, v153
	v_and_b32_e32 v149, 0x3030303, v10
	v_and_b32_e32 v153, 0x3030303, v8
	v_add3_u32 v8, v139, s18, v136
	v_add_u32_e32 v10, s20, v103
	ds_read_b32 v10, v10
	ds_read_u16 v8, v8
	v_add3_u32 v136, v137, s18, v136
	v_dot4c_i32_i8_e32 v213, v201, v5
	v_dot4c_i32_i8_e32 v214, v208, v4
	;; [unrolled: 1-line block ×3, first 2 shown]
	s_waitcnt lgkmcnt(0)
	v_bfe_u32 v138, v8, 4, 4
	v_mul_lo_u32 v174, v138, s1
	v_lshrrev_b32_sdwa v138, v167, v8 dst_sel:DWORD dst_unused:UNUSED_PAD src0_sel:DWORD src1_sel:BYTE_1
	v_mul_lo_u32 v193, v138, s1
	v_mov_b32_e32 v138, 0
	v_dot4c_i32_i8_e32 v138, v15, v0
	v_dot4c_i32_i8_e32 v138, v149, v1
	v_dot4c_i32_i8_e32 v138, v151, v2
	v_dot4c_i32_i8_e32 v138, v153, v3
	v_and_b32_sdwa v195, v8, v168 dst_sel:DWORD dst_unused:UNUSED_PAD src0_sel:BYTE_1 src1_sel:DWORD
	v_dot4c_i32_i8_e32 v215, v174, v4
	v_dot4c_i32_i8_e32 v215, v174, v5
	v_mul_lo_u32 v150, v195, v138
	v_add_u32_e32 v138, s19, v105
	ds_read2_b32 v[170:171], v138 offset1:1
	ds_read2_b32 v[172:173], v138 offset0:6 offset1:7
	v_dot4c_i32_i8_e32 v215, v174, v6
	v_dot4c_i32_i8_e32 v213, v201, v7
	;; [unrolled: 1-line block ×3, first 2 shown]
	s_waitcnt lgkmcnt(1)
	v_ashrrev_i32_e32 v152, s16, v170
	v_and_b32_e32 v187, 0x3030303, v152
	v_ashrrev_i32_e32 v152, s16, v171
	ds_read2_b32 v[170:171], v138 offset0:2 offset1:3
	v_and_b32_e32 v179, 0x3030303, v152
	v_dot4c_i32_i8_e32 v218, v187, v4
	v_dot4c_i32_i8_e32 v213, v209, v0
	;; [unrolled: 1-line block ×3, first 2 shown]
	s_waitcnt lgkmcnt(0)
	v_ashrrev_i32_e32 v152, s16, v170
	v_and_b32_e32 v180, 0x3030303, v152
	v_ashrrev_i32_e32 v152, s16, v171
	ds_read2_b32 v[170:171], v138 offset0:4 offset1:5
	v_ashrrev_i32_e32 v138, s16, v172
	v_and_b32_e32 v172, 0x3030303, v138
	v_ashrrev_i32_e32 v138, s16, v173
	v_and_b32_e32 v173, 0x3030303, v138
	v_add_u32_e32 v138, s20, v107
	ds_read_b32 v138, v138
	ds_read_u16 v136, v136
	v_and_b32_e32 v181, 0x3030303, v152
	s_waitcnt lgkmcnt(2)
	v_ashrrev_i32_e32 v152, s16, v170
	v_and_b32_e32 v170, 0x3030303, v152
	v_ashrrev_i32_e32 v152, s16, v171
	v_and_b32_e32 v171, 0x3030303, v152
	s_waitcnt lgkmcnt(0)
	v_bfe_u32 v152, v136, 4, 4
	v_mul_lo_u32 v188, v152, s1
	v_dot4c_i32_i8_e32 v219, v188, v4
	v_dot4c_i32_i8_e32 v219, v188, v5
	v_lshrrev_b32_sdwa v4, v167, v136 dst_sel:DWORD dst_unused:UNUSED_PAD src0_sel:DWORD src1_sel:BYTE_1
	v_dot4c_i32_i8_e32 v219, v188, v6
	v_mul_lo_u32 v205, v4, s1
	v_mov_b32_e32 v4, 0
	v_dot4c_i32_i8_e32 v219, v188, v7
	v_dot4c_i32_i8_e32 v4, v170, v0
	;; [unrolled: 1-line block ×16, first 2 shown]
	v_and_b32_sdwa v206, v136, v168 dst_sel:DWORD dst_unused:UNUSED_PAD src0_sel:BYTE_1 src1_sel:DWORD
	v_dot4c_i32_i8_e32 v213, v209, v3
	v_dot4c_i32_i8_e32 v214, v169, v7
	;; [unrolled: 1-line block ×5, first 2 shown]
	v_mul_lo_u32 v152, v206, v4
	ds_read_b128 v[4:7], v11 offset:1024
	ds_read_b128 v[0:3], v11 offset:1040
	v_mov_b32_e32 v216, 0
	v_mov_b32_e32 v217, 0
	v_mad_u64_u32 v[146:147], s[18:19], v194, v147, v[146:147]
	s_waitcnt lgkmcnt(1)
	v_dot4c_i32_i8_e32 v220, v203, v4
	v_dot4c_i32_i8_e32 v220, v203, v5
	v_dot4c_i32_i8_e32 v216, v185, v4
	v_dot4c_i32_i8_e32 v220, v203, v6
	v_dot4c_i32_i8_e32 v216, v182, v5
	v_dot4c_i32_i8_e32 v220, v203, v7
	s_waitcnt lgkmcnt(0)
	v_dot4c_i32_i8_e32 v217, v175, v0
	v_dot4c_i32_i8_e32 v216, v183, v6
	v_dot4c_i32_i8_e32 v220, v202, v0
	v_dot4c_i32_i8_e32 v217, v176, v1
	v_dot4c_i32_i8_e32 v216, v184, v7
	v_dot4c_i32_i8_e32 v220, v202, v1
	v_dot4c_i32_i8_e32 v217, v177, v2
	v_dot4c_i32_i8_e32 v220, v202, v2
	v_mul_lo_u32 v216, v216, v194
	v_dot4c_i32_i8_e32 v217, v178, v3
	v_dot4c_i32_i8_e32 v220, v202, v3
	v_cvt_f32_i32_e32 v147, v146
	v_cvt_f32_i32_e32 v213, v213
	v_mad_u64_u32 v[216:217], s[18:19], v217, v204, v[216:217]
	v_cvt_f32_i32_e32 v146, v216
	v_cvt_f32_i32_e32 v217, v211
	;; [unrolled: 1-line block ×3, first 2 shown]
	v_mov_b32_e32 v211, 0
	v_dot4c_i32_i8_e32 v211, v201, v4
	v_dot4c_i32_i8_e32 v211, v201, v5
	v_pk_mul_f32 v[216:217], v[14:15], v[216:217] op_sel_hi:[0,1]
	v_pk_fma_f32 v[216:217], v[12:13], v[146:147], v[216:217] op_sel_hi:[0,1,1] neg_lo:[0,0,1] neg_hi:[0,0,1]
	v_mov_b32_e32 v147, v144
	v_mov_b32_e32 v144, 0
	v_dot4c_i32_i8_e32 v211, v201, v6
	v_mov_b32_e32 v146, v145
	v_dot4c_i32_i8_e32 v144, v199, v4
	v_dot4c_i32_i8_e32 v211, v201, v7
	v_mov_b32_e32 v145, 0
	v_dot4c_i32_i8_e32 v144, v196, v5
	v_dot4c_i32_i8_e32 v145, v189, v0
	;; [unrolled: 1-line block ×10, first 2 shown]
	v_mul_lo_u32 v144, v144, v207
	v_dot4c_i32_i8_e32 v211, v209, v3
	v_pk_fma_f32 v[112:113], v[146:147], v[216:217], v[112:113]
	v_mad_u64_u32 v[144:145], s[18:19], v145, v210, v[144:145]
	v_mad_u64_u32 v[216:217], s[18:19], v207, v212, v[148:149]
	v_cvt_f32_i32_e32 v212, v211
	v_cvt_f32_i32_e32 v145, v216
	;; [unrolled: 1-line block ×3, first 2 shown]
	v_mov_b32_e32 v148, 0
	v_pk_mul_f32 v[212:213], v[142:143], v[212:213] op_sel_hi:[0,1]
	v_dot4c_i32_i8_e32 v148, v174, v4
	v_pk_fma_f32 v[144:145], v[140:141], v[144:145], v[212:213] op_sel_hi:[0,1,1] neg_lo:[0,0,1] neg_hi:[0,0,1]
	v_pk_fma_f32 v[100:101], v[146:147], v[144:145], v[100:101]
	v_mov_b32_e32 v144, 0
	v_dot4c_i32_i8_e32 v148, v174, v5
	v_dot4c_i32_i8_e32 v144, v208, v4
	;; [unrolled: 1-line block ×3, first 2 shown]
	v_mov_b32_e32 v145, 0
	v_dot4c_i32_i8_e32 v144, v154, v5
	v_dot4c_i32_i8_e32 v148, v174, v7
	;; [unrolled: 1-line block ×6, first 2 shown]
	v_and_b32_e32 v186, 15, v8
	v_dot4c_i32_i8_e32 v144, v169, v7
	v_dot4c_i32_i8_e32 v148, v193, v1
	;; [unrolled: 1-line block ×4, first 2 shown]
	v_mul_lo_u32 v144, v144, v186
	v_dot4c_i32_i8_e32 v145, v153, v3
	v_dot4c_i32_i8_e32 v148, v193, v3
	v_mad_u64_u32 v[212:213], s[18:19], v186, v214, v[150:151]
	s_nop 0
	v_mad_u64_u32 v[144:145], s[18:19], v145, v195, v[144:145]
	v_cvt_f32_f16_e32 v8, v10
	v_cvt_f32_f16_sdwa v10, v10 dst_sel:DWORD dst_unused:UNUSED_PAD src0_sel:WORD_1
	v_cvt_f32_i32_e32 v145, v212
	v_cvt_f32_i32_e32 v213, v215
	;; [unrolled: 1-line block ×4, first 2 shown]
	v_and_b32_e32 v200, 15, v136
	v_cvt_f32_f16_e32 v136, v138
	v_pk_mul_f32 v[212:213], v[10:11], v[212:213] op_sel_hi:[0,1]
	v_pk_fma_f32 v[144:145], v[8:9], v[144:145], v[212:213] op_sel_hi:[0,1,1] neg_lo:[0,0,1] neg_hi:[0,0,1]
	v_pk_fma_f32 v[76:77], v[146:147], v[144:145], v[76:77]
	v_mov_b32_e32 v145, 0
	v_mov_b32_e32 v144, 0
	v_dot4c_i32_i8_e32 v145, v188, v4
	v_dot4c_i32_i8_e32 v144, v187, v4
	;; [unrolled: 1-line block ×5, first 2 shown]
	v_mov_b32_e32 v5, 0
	v_dot4c_i32_i8_e32 v145, v188, v7
	v_dot4c_i32_i8_e32 v5, v170, v0
	;; [unrolled: 1-line block ×9, first 2 shown]
	v_mul_lo_u32 v4, v144, v200
	v_dot4c_i32_i8_e32 v5, v173, v3
	v_dot4c_i32_i8_e32 v145, v205, v3
	v_mad_u64_u32 v[2:3], s[18:19], v200, v218, v[152:153]
	s_nop 0
	v_mad_u64_u32 v[0:1], s[18:19], v5, v206, v[4:5]
	v_cvt_f32_f16_sdwa v138, v138 dst_sel:DWORD dst_unused:UNUSED_PAD src0_sel:WORD_1
	v_cvt_f32_i32_e32 v1, v2
	v_cvt_f32_i32_e32 v3, v219
	;; [unrolled: 1-line block ×4, first 2 shown]
	v_mov_b32_e32 v211, 0
	v_mov_b32_e32 v217, 0
	v_pk_mul_f32 v[2:3], v[138:139], v[2:3] op_sel_hi:[0,1]
	v_pk_fma_f32 v[0:1], v[136:137], v[0:1], v[2:3] op_sel_hi:[0,1,1] neg_lo:[0,0,1] neg_hi:[0,0,1]
	v_pk_fma_f32 v[52:53], v[146:147], v[0:1], v[52:53]
	ds_read2_b32 v[144:145], v13 offset0:64 offset1:96
	ds_read_b128 v[0:3], v11 offset:2048
	ds_read_b128 v[4:7], v11 offset:2064
	v_mov_b32_e32 v146, 0
	v_mov_b32_e32 v219, 0
	;; [unrolled: 1-line block ×3, first 2 shown]
	s_waitcnt lgkmcnt(1)
	v_dot4c_i32_i8_e32 v211, v203, v0
	s_waitcnt lgkmcnt(0)
	v_dot4c_i32_i8_e32 v146, v175, v4
	v_dot4c_i32_i8_e32 v146, v176, v5
	;; [unrolled: 1-line block ×7, first 2 shown]
	v_mul_lo_u32 v152, v146, v204
	v_mov_b32_e32 v146, 0
	v_dot4c_i32_i8_e32 v146, v189, v4
	v_dot4c_i32_i8_e32 v146, v190, v5
	;; [unrolled: 1-line block ×3, first 2 shown]
	v_mov_b32_e32 v147, 0
	v_dot4c_i32_i8_e32 v211, v203, v1
	v_mov_b32_e32 v216, 0
	v_dot4c_i32_i8_e32 v217, v201, v1
	v_dot4c_i32_i8_e32 v146, v192, v7
	v_mov_b32_e32 v218, 0
	v_dot4c_i32_i8_e32 v219, v174, v1
	v_mov_b32_e32 v220, 0
	v_dot4c_i32_i8_e32 v221, v188, v1
	v_dot4c_i32_i8_e32 v147, v185, v0
	;; [unrolled: 1-line block ×5, first 2 shown]
	v_mul_lo_u32 v150, v146, v210
	v_dot4c_i32_i8_e32 v218, v208, v0
	v_dot4c_i32_i8_e32 v219, v174, v2
	v_mov_b32_e32 v146, 0
	v_dot4c_i32_i8_e32 v220, v187, v0
	v_dot4c_i32_i8_e32 v221, v188, v2
	v_mov_b32_e32 v0, 0
	v_dot4c_i32_i8_e32 v211, v203, v3
	v_dot4c_i32_i8_e32 v217, v201, v3
	;; [unrolled: 1-line block ×38, first 2 shown]
	v_mul_lo_u32 v148, v146, v195
	v_dot4c_i32_i8_e32 v220, v181, v3
	v_dot4c_i32_i8_e32 v221, v205, v7
	v_mul_lo_u32 v146, v0, v206
	ds_read_b128 v[4:7], v11 offset:3072
	ds_read_b128 v[0:3], v11 offset:3088
	v_mov_b32_e32 v222, 0
	v_mov_b32_e32 v212, 0
	;; [unrolled: 1-line block ×3, first 2 shown]
	s_waitcnt lgkmcnt(1)
	v_dot4c_i32_i8_e32 v222, v203, v4
	v_dot4c_i32_i8_e32 v212, v185, v4
	;; [unrolled: 1-line block ×5, first 2 shown]
	s_waitcnt lgkmcnt(0)
	v_dot4c_i32_i8_e32 v213, v175, v0
	v_dot4c_i32_i8_e32 v212, v183, v6
	;; [unrolled: 1-line block ×4, first 2 shown]
	v_mad_u64_u32 v[214:215], s[18:19], v147, v194, v[152:153]
	v_mov_b32_e32 v147, 0
	v_dot4c_i32_i8_e32 v212, v184, v7
	v_dot4c_i32_i8_e32 v222, v202, v0
	;; [unrolled: 1-line block ×4, first 2 shown]
	v_mul_lo_u32 v212, v212, v194
	v_dot4c_i32_i8_e32 v222, v202, v1
	v_dot4c_i32_i8_e32 v213, v178, v3
	;; [unrolled: 1-line block ×5, first 2 shown]
	v_mad_u64_u32 v[212:213], s[18:19], v213, v204, v[212:213]
	v_dot4c_i32_i8_e32 v222, v202, v3
	v_cvt_f32_i32_e32 v213, v212
	v_cvt_f32_i32_e32 v212, v214
	;; [unrolled: 1-line block ×3, first 2 shown]
	v_mov_b32_e32 v211, 0
	v_dot4c_i32_i8_e32 v147, v198, v7
	v_cvt_f32_i32_e32 v215, v222
	v_dot4c_i32_i8_e32 v211, v201, v4
	v_dot4c_i32_i8_e32 v211, v201, v5
	v_mul_lo_u32 v152, v147, v207
	v_mov_b32_e32 v147, 0
	v_dot4c_i32_i8_e32 v147, v189, v0
	v_dot4c_i32_i8_e32 v211, v201, v6
	;; [unrolled: 1-line block ×5, first 2 shown]
	v_pk_mul_f32 v[214:215], v[14:15], v[214:215] op_sel_hi:[0,1]
	v_dot4c_i32_i8_e32 v211, v209, v0
	v_dot4c_i32_i8_e32 v147, v192, v3
	v_pk_fma_f32 v[212:213], v[12:13], v[212:213], v[214:215] op_sel_hi:[0,1,1] neg_lo:[0,0,1] neg_hi:[0,0,1]
	v_dot4c_i32_i8_e32 v211, v209, v1
	v_dot4c_i32_i8_e32 v211, v209, v2
	v_mad_u64_u32 v[214:215], s[18:19], v147, v210, v[152:153]
	v_mov_b32_e32 v147, 0
	v_dot4c_i32_i8_e32 v147, v208, v4
	v_pk_fma_f32 v[38:39], v[144:145], v[212:213], v[38:39]
	v_dot4c_i32_i8_e32 v211, v209, v3
	v_mad_u64_u32 v[212:213], s[18:19], v216, v207, v[150:151]
	v_dot4c_i32_i8_e32 v147, v154, v5
	v_cvt_f32_i32_e32 v213, v214
	v_cvt_f32_i32_e32 v215, v211
	;; [unrolled: 1-line block ×3, first 2 shown]
	v_dot4c_i32_i8_e32 v147, v155, v6
	v_cvt_f32_i32_e32 v212, v212
	v_dot4c_i32_i8_e32 v147, v169, v7
	v_pk_mul_f32 v[214:215], v[142:143], v[214:215] op_sel_hi:[0,1]
	v_mov_b32_e32 v152, 0
	v_pk_fma_f32 v[212:213], v[140:141], v[212:213], v[214:215] op_sel_hi:[0,1,1] neg_lo:[0,0,1] neg_hi:[0,0,1]
	v_mul_lo_u32 v150, v147, v186
	v_mov_b32_e32 v147, 0
	v_dot4c_i32_i8_e32 v147, v15, v0
	v_dot4c_i32_i8_e32 v147, v149, v1
	;; [unrolled: 1-line block ×3, first 2 shown]
	v_pk_fma_f32 v[36:37], v[144:145], v[212:213], v[36:37]
	v_dot4c_i32_i8_e32 v147, v153, v3
	v_mad_u64_u32 v[212:213], s[18:19], v218, v186, v[148:149]
	v_mov_b32_e32 v148, 0
	v_dot4c_i32_i8_e32 v152, v174, v4
	v_mad_u64_u32 v[214:215], s[18:19], v147, v195, v[150:151]
	v_mov_b32_e32 v147, 0
	v_dot4c_i32_i8_e32 v148, v188, v4
	v_dot4c_i32_i8_e32 v152, v174, v5
	;; [unrolled: 1-line block ×7, first 2 shown]
	v_mov_b32_e32 v5, 0
	v_dot4c_i32_i8_e32 v152, v174, v7
	v_dot4c_i32_i8_e32 v148, v188, v7
	v_dot4c_i32_i8_e32 v5, v170, v0
	v_dot4c_i32_i8_e32 v152, v193, v0
	v_dot4c_i32_i8_e32 v147, v180, v6
	v_dot4c_i32_i8_e32 v148, v205, v0
	v_dot4c_i32_i8_e32 v5, v171, v1
	v_dot4c_i32_i8_e32 v152, v193, v1
	v_dot4c_i32_i8_e32 v147, v181, v7
	v_dot4c_i32_i8_e32 v148, v205, v1
	v_dot4c_i32_i8_e32 v5, v172, v2
	v_dot4c_i32_i8_e32 v152, v193, v2
	v_mul_lo_u32 v4, v147, v200
	v_dot4c_i32_i8_e32 v148, v205, v2
	v_dot4c_i32_i8_e32 v5, v173, v3
	;; [unrolled: 1-line block ×4, first 2 shown]
	v_mad_u64_u32 v[0:1], s[18:19], v220, v200, v[146:147]
	v_mad_u64_u32 v[2:3], s[18:19], v5, v206, v[4:5]
	v_cvt_f32_i32_e32 v213, v214
	v_cvt_f32_i32_e32 v215, v152
	;; [unrolled: 1-line block ×8, first 2 shown]
	v_pk_mul_f32 v[214:215], v[10:11], v[214:215] op_sel_hi:[0,1]
	v_pk_mul_f32 v[2:3], v[138:139], v[2:3] op_sel_hi:[0,1]
	v_pk_fma_f32 v[212:213], v[8:9], v[212:213], v[214:215] op_sel_hi:[0,1,1] neg_lo:[0,0,1] neg_hi:[0,0,1]
	v_pk_fma_f32 v[0:1], v[136:137], v[0:1], v[2:3] op_sel_hi:[0,1,1] neg_lo:[0,0,1] neg_hi:[0,0,1]
	v_pk_fma_f32 v[34:35], v[144:145], v[212:213], v[34:35]
	v_pk_fma_f32 v[32:33], v[144:145], v[0:1], v[32:33]
	ds_read2_b32 v[144:145], v13 offset0:128 offset1:160
	ds_read_b128 v[0:3], v11 offset:4096
	ds_read_b128 v[4:7], v11 offset:4112
	v_mov_b32_e32 v146, 0
	v_mov_b32_e32 v211, 0
	;; [unrolled: 1-line block ×4, first 2 shown]
	s_waitcnt lgkmcnt(0)
	v_dot4c_i32_i8_e32 v146, v175, v4
	v_dot4c_i32_i8_e32 v146, v176, v5
	;; [unrolled: 1-line block ×4, first 2 shown]
	v_mov_b32_e32 v221, 0
	v_dot4c_i32_i8_e32 v211, v203, v0
	v_dot4c_i32_i8_e32 v217, v201, v0
	v_mul_lo_u32 v152, v146, v204
	v_mov_b32_e32 v146, 0
	v_dot4c_i32_i8_e32 v146, v189, v4
	v_dot4c_i32_i8_e32 v146, v190, v5
	;; [unrolled: 1-line block ×5, first 2 shown]
	v_mov_b32_e32 v147, 0
	v_dot4c_i32_i8_e32 v211, v203, v1
	v_mov_b32_e32 v216, 0
	v_dot4c_i32_i8_e32 v217, v201, v1
	v_dot4c_i32_i8_e32 v146, v192, v7
	v_mov_b32_e32 v218, 0
	v_dot4c_i32_i8_e32 v219, v174, v1
	v_mov_b32_e32 v220, 0
	v_dot4c_i32_i8_e32 v221, v188, v1
	v_dot4c_i32_i8_e32 v147, v185, v0
	;; [unrolled: 1-line block ×5, first 2 shown]
	v_mul_lo_u32 v150, v146, v210
	v_dot4c_i32_i8_e32 v218, v208, v0
	v_dot4c_i32_i8_e32 v219, v174, v2
	v_mov_b32_e32 v146, 0
	v_dot4c_i32_i8_e32 v220, v187, v0
	v_dot4c_i32_i8_e32 v221, v188, v2
	v_mov_b32_e32 v0, 0
	v_dot4c_i32_i8_e32 v211, v203, v3
	v_dot4c_i32_i8_e32 v217, v201, v3
	;; [unrolled: 1-line block ×38, first 2 shown]
	v_mul_lo_u32 v148, v146, v195
	v_dot4c_i32_i8_e32 v220, v181, v3
	v_dot4c_i32_i8_e32 v221, v205, v7
	v_mul_lo_u32 v146, v0, v206
	ds_read_b128 v[4:7], v11 offset:5120
	ds_read_b128 v[0:3], v11 offset:5136
	v_mov_b32_e32 v222, 0
	v_mov_b32_e32 v212, 0
	;; [unrolled: 1-line block ×3, first 2 shown]
	s_waitcnt lgkmcnt(1)
	v_dot4c_i32_i8_e32 v222, v203, v4
	v_dot4c_i32_i8_e32 v212, v185, v4
	;; [unrolled: 1-line block ×5, first 2 shown]
	s_waitcnt lgkmcnt(0)
	v_dot4c_i32_i8_e32 v213, v175, v0
	v_dot4c_i32_i8_e32 v212, v183, v6
	;; [unrolled: 1-line block ×4, first 2 shown]
	v_mad_u64_u32 v[214:215], s[18:19], v147, v194, v[152:153]
	v_mov_b32_e32 v147, 0
	v_dot4c_i32_i8_e32 v212, v184, v7
	v_dot4c_i32_i8_e32 v222, v202, v0
	;; [unrolled: 1-line block ×4, first 2 shown]
	v_mul_lo_u32 v212, v212, v194
	v_dot4c_i32_i8_e32 v222, v202, v1
	v_dot4c_i32_i8_e32 v213, v178, v3
	;; [unrolled: 1-line block ×5, first 2 shown]
	v_mad_u64_u32 v[212:213], s[18:19], v213, v204, v[212:213]
	v_dot4c_i32_i8_e32 v222, v202, v3
	v_cvt_f32_i32_e32 v213, v212
	v_cvt_f32_i32_e32 v212, v214
	;; [unrolled: 1-line block ×3, first 2 shown]
	v_mov_b32_e32 v211, 0
	v_dot4c_i32_i8_e32 v147, v198, v7
	v_cvt_f32_i32_e32 v215, v222
	v_dot4c_i32_i8_e32 v211, v201, v4
	v_dot4c_i32_i8_e32 v211, v201, v5
	v_mul_lo_u32 v152, v147, v207
	v_mov_b32_e32 v147, 0
	v_dot4c_i32_i8_e32 v147, v189, v0
	v_dot4c_i32_i8_e32 v211, v201, v6
	;; [unrolled: 1-line block ×5, first 2 shown]
	v_pk_mul_f32 v[214:215], v[14:15], v[214:215] op_sel_hi:[0,1]
	v_dot4c_i32_i8_e32 v211, v209, v0
	v_dot4c_i32_i8_e32 v147, v192, v3
	v_pk_fma_f32 v[212:213], v[12:13], v[212:213], v[214:215] op_sel_hi:[0,1,1] neg_lo:[0,0,1] neg_hi:[0,0,1]
	v_dot4c_i32_i8_e32 v211, v209, v1
	v_dot4c_i32_i8_e32 v211, v209, v2
	v_mad_u64_u32 v[214:215], s[18:19], v147, v210, v[152:153]
	v_mov_b32_e32 v147, 0
	v_dot4c_i32_i8_e32 v147, v208, v4
	v_pk_fma_f32 v[30:31], v[144:145], v[212:213], v[30:31]
	v_dot4c_i32_i8_e32 v211, v209, v3
	v_mad_u64_u32 v[212:213], s[18:19], v216, v207, v[150:151]
	v_dot4c_i32_i8_e32 v147, v154, v5
	v_cvt_f32_i32_e32 v213, v214
	v_cvt_f32_i32_e32 v215, v211
	;; [unrolled: 1-line block ×3, first 2 shown]
	v_dot4c_i32_i8_e32 v147, v155, v6
	v_cvt_f32_i32_e32 v212, v212
	v_dot4c_i32_i8_e32 v147, v169, v7
	v_pk_mul_f32 v[214:215], v[142:143], v[214:215] op_sel_hi:[0,1]
	v_mov_b32_e32 v152, 0
	v_pk_fma_f32 v[212:213], v[140:141], v[212:213], v[214:215] op_sel_hi:[0,1,1] neg_lo:[0,0,1] neg_hi:[0,0,1]
	v_mul_lo_u32 v150, v147, v186
	v_mov_b32_e32 v147, 0
	v_dot4c_i32_i8_e32 v147, v15, v0
	v_dot4c_i32_i8_e32 v147, v149, v1
	;; [unrolled: 1-line block ×3, first 2 shown]
	v_pk_fma_f32 v[28:29], v[144:145], v[212:213], v[28:29]
	v_dot4c_i32_i8_e32 v147, v153, v3
	v_mad_u64_u32 v[212:213], s[18:19], v218, v186, v[148:149]
	v_mov_b32_e32 v148, 0
	v_dot4c_i32_i8_e32 v152, v174, v4
	v_mad_u64_u32 v[214:215], s[18:19], v147, v195, v[150:151]
	v_mov_b32_e32 v147, 0
	v_dot4c_i32_i8_e32 v148, v188, v4
	v_dot4c_i32_i8_e32 v152, v174, v5
	;; [unrolled: 1-line block ×7, first 2 shown]
	v_mov_b32_e32 v5, 0
	v_dot4c_i32_i8_e32 v152, v174, v7
	v_dot4c_i32_i8_e32 v148, v188, v7
	;; [unrolled: 1-line block ×12, first 2 shown]
	v_mul_lo_u32 v4, v147, v200
	v_dot4c_i32_i8_e32 v148, v205, v2
	v_dot4c_i32_i8_e32 v5, v173, v3
	;; [unrolled: 1-line block ×4, first 2 shown]
	v_mad_u64_u32 v[0:1], s[18:19], v220, v200, v[146:147]
	v_mad_u64_u32 v[2:3], s[18:19], v5, v206, v[4:5]
	v_cvt_f32_i32_e32 v213, v214
	v_cvt_f32_i32_e32 v215, v152
	;; [unrolled: 1-line block ×8, first 2 shown]
	v_pk_mul_f32 v[214:215], v[10:11], v[214:215] op_sel_hi:[0,1]
	v_pk_mul_f32 v[2:3], v[138:139], v[2:3] op_sel_hi:[0,1]
	v_pk_fma_f32 v[212:213], v[8:9], v[212:213], v[214:215] op_sel_hi:[0,1,1] neg_lo:[0,0,1] neg_hi:[0,0,1]
	v_pk_fma_f32 v[0:1], v[136:137], v[0:1], v[2:3] op_sel_hi:[0,1,1] neg_lo:[0,0,1] neg_hi:[0,0,1]
	v_pk_fma_f32 v[26:27], v[144:145], v[212:213], v[26:27]
	v_pk_fma_f32 v[24:25], v[144:145], v[0:1], v[24:25]
	ds_read2_b32 v[144:145], v13 offset0:192 offset1:224
	ds_read_b128 v[0:3], v11 offset:6144
	ds_read_b128 v[4:7], v11 offset:6160
	v_mov_b32_e32 v146, 0
	v_mov_b32_e32 v215, 0
	;; [unrolled: 1-line block ×4, first 2 shown]
	s_waitcnt lgkmcnt(0)
	v_dot4c_i32_i8_e32 v146, v175, v4
	v_dot4c_i32_i8_e32 v146, v176, v5
	;; [unrolled: 1-line block ×4, first 2 shown]
	v_mov_b32_e32 v147, 0
	v_dot4c_i32_i8_e32 v215, v203, v0
	v_dot4c_i32_i8_e32 v217, v201, v0
	v_mul_lo_u32 v152, v146, v204
	v_mov_b32_e32 v146, 0
	v_dot4c_i32_i8_e32 v146, v189, v4
	v_dot4c_i32_i8_e32 v146, v190, v5
	;; [unrolled: 1-line block ×5, first 2 shown]
	v_mov_b32_e32 v214, 0
	v_dot4c_i32_i8_e32 v215, v203, v1
	v_mov_b32_e32 v216, 0
	v_dot4c_i32_i8_e32 v217, v201, v1
	v_dot4c_i32_i8_e32 v146, v192, v7
	v_mov_b32_e32 v213, 0
	v_dot4c_i32_i8_e32 v212, v174, v1
	v_mov_b32_e32 v211, 0
	v_dot4c_i32_i8_e32 v147, v188, v1
	v_dot4c_i32_i8_e32 v214, v185, v0
	v_dot4c_i32_i8_e32 v215, v203, v2
	v_dot4c_i32_i8_e32 v216, v199, v0
	v_dot4c_i32_i8_e32 v217, v201, v2
	v_mul_lo_u32 v150, v146, v210
	v_dot4c_i32_i8_e32 v213, v208, v0
	v_dot4c_i32_i8_e32 v212, v174, v2
	v_mov_b32_e32 v146, 0
	v_dot4c_i32_i8_e32 v211, v187, v0
	v_dot4c_i32_i8_e32 v147, v188, v2
	v_mov_b32_e32 v0, 0
	v_dot4c_i32_i8_e32 v215, v203, v3
	v_dot4c_i32_i8_e32 v217, v201, v3
	;; [unrolled: 1-line block ×38, first 2 shown]
	v_mul_lo_u32 v148, v146, v195
	v_dot4c_i32_i8_e32 v211, v181, v3
	v_dot4c_i32_i8_e32 v147, v205, v7
	v_mul_lo_u32 v146, v0, v206
	ds_read_b128 v[4:7], v11 offset:7168
	ds_read_b128 v[0:3], v11 offset:7184
	v_mov_b32_e32 v218, 0
	s_add_i32 s11, s11, 2
	s_add_i32 s16, s16, 2
	s_waitcnt lgkmcnt(1)
	v_dot4c_i32_i8_e32 v218, v185, v4
	v_mov_b32_e32 v185, 0
	v_dot4c_i32_i8_e32 v185, v203, v4
	v_dot4c_i32_i8_e32 v218, v182, v5
	;; [unrolled: 1-line block ×5, first 2 shown]
	v_mov_b32_e32 v183, 0
	v_dot4c_i32_i8_e32 v185, v203, v7
	s_waitcnt lgkmcnt(0)
	v_dot4c_i32_i8_e32 v183, v175, v0
	v_dot4c_i32_i8_e32 v185, v202, v0
	;; [unrolled: 1-line block ×7, first 2 shown]
	v_mul_lo_u32 v182, v218, v194
	v_dot4c_i32_i8_e32 v183, v178, v3
	v_dot4c_i32_i8_e32 v185, v202, v3
	v_mad_u64_u32 v[176:177], s[18:19], v214, v194, v[152:153]
	s_nop 0
	v_mad_u64_u32 v[182:183], s[18:19], v183, v204, v[182:183]
	v_cvt_f32_i32_e32 v177, v182
	v_cvt_f32_i32_e32 v183, v185
	;; [unrolled: 1-line block ×4, first 2 shown]
	v_mov_b32_e32 v152, 0
	v_dot4c_i32_i8_e32 v152, v189, v0
	v_pk_mul_f32 v[182:183], v[14:15], v[182:183] op_sel_hi:[0,1]
	v_mov_b32_e32 v14, 0
	v_dot4c_i32_i8_e32 v14, v201, v4
	v_pk_fma_f32 v[176:177], v[12:13], v[176:177], v[182:183] op_sel_hi:[0,1,1] neg_lo:[0,0,1] neg_hi:[0,0,1]
	v_mov_b32_e32 v12, 0
	v_dot4c_i32_i8_e32 v14, v201, v5
	v_dot4c_i32_i8_e32 v12, v199, v4
	;; [unrolled: 1-line block ×12, first 2 shown]
	v_mul_lo_u32 v12, v12, v207
	v_dot4c_i32_i8_e32 v152, v192, v3
	v_pk_fma_f32 v[22:23], v[144:145], v[176:177], v[22:23]
	v_dot4c_i32_i8_e32 v14, v209, v3
	v_mad_u64_u32 v[176:177], s[18:19], v216, v207, v[150:151]
	v_mad_u64_u32 v[182:183], s[18:19], v152, v210, v[12:13]
	v_cvt_f32_i32_e32 v177, v182
	v_cvt_f32_i32_e32 v183, v14
	;; [unrolled: 1-line block ×4, first 2 shown]
	v_mov_b32_e32 v12, 0
	v_dot4c_i32_i8_e32 v12, v208, v4
	v_pk_mul_f32 v[182:183], v[142:143], v[182:183] op_sel_hi:[0,1]
	v_pk_fma_f32 v[176:177], v[140:141], v[176:177], v[182:183] op_sel_hi:[0,1,1] neg_lo:[0,0,1] neg_hi:[0,0,1]
	v_mov_b32_e32 v140, 0
	v_dot4c_i32_i8_e32 v140, v174, v4
	v_dot4c_i32_i8_e32 v140, v174, v5
	;; [unrolled: 1-line block ×3, first 2 shown]
	v_mov_b32_e32 v142, 0
	v_dot4c_i32_i8_e32 v12, v154, v5
	v_dot4c_i32_i8_e32 v140, v174, v7
	;; [unrolled: 1-line block ×10, first 2 shown]
	v_mul_lo_u32 v12, v12, v186
	v_dot4c_i32_i8_e32 v142, v153, v3
	v_dot4c_i32_i8_e32 v140, v193, v3
	v_mad_u64_u32 v[14:15], s[18:19], v213, v186, v[148:149]
	s_nop 0
	v_mad_u64_u32 v[148:149], s[18:19], v142, v195, v[12:13]
	v_cvt_f32_i32_e32 v15, v148
	v_cvt_f32_i32_e32 v149, v140
	;; [unrolled: 1-line block ×4, first 2 shown]
	v_pk_fma_f32 v[20:21], v[144:145], v[176:177], v[20:21]
	v_add_u32_e32 v13, 4, v13
	v_pk_mul_f32 v[148:149], v[10:11], v[148:149] op_sel_hi:[0,1]
	v_mov_b32_e32 v10, 0
	v_pk_fma_f32 v[14:15], v[8:9], v[14:15], v[148:149] op_sel_hi:[0,1,1] neg_lo:[0,0,1] neg_hi:[0,0,1]
	v_mov_b32_e32 v8, 0
	v_dot4c_i32_i8_e32 v10, v188, v4
	v_dot4c_i32_i8_e32 v8, v187, v4
	;; [unrolled: 1-line block ×5, first 2 shown]
	v_mov_b32_e32 v5, 0
	v_dot4c_i32_i8_e32 v10, v188, v7
	v_dot4c_i32_i8_e32 v5, v170, v0
	v_dot4c_i32_i8_e32 v8, v180, v6
	v_dot4c_i32_i8_e32 v10, v205, v0
	v_dot4c_i32_i8_e32 v5, v171, v1
	v_dot4c_i32_i8_e32 v8, v181, v7
	v_dot4c_i32_i8_e32 v10, v205, v1
	v_dot4c_i32_i8_e32 v5, v172, v2
	v_dot4c_i32_i8_e32 v10, v205, v2
	v_mul_lo_u32 v4, v8, v200
	v_dot4c_i32_i8_e32 v5, v173, v3
	v_dot4c_i32_i8_e32 v10, v205, v3
	v_mad_u64_u32 v[0:1], s[18:19], v211, v200, v[146:147]
	s_nop 0
	v_mad_u64_u32 v[2:3], s[18:19], v5, v206, v[4:5]
	v_cvt_f32_i32_e32 v1, v2
	v_cvt_f32_i32_e32 v3, v10
	;; [unrolled: 1-line block ×4, first 2 shown]
	v_pk_fma_f32 v[18:19], v[144:145], v[14:15], v[18:19]
	v_add_u32_e32 v11, 32, v11
	v_pk_mul_f32 v[2:3], v[138:139], v[2:3] op_sel_hi:[0,1]
	v_pk_fma_f32 v[0:1], v[136:137], v[0:1], v[2:3] op_sel_hi:[0,1,1] neg_lo:[0,0,1] neg_hi:[0,0,1]
	v_pk_fma_f32 v[16:17], v[144:145], v[0:1], v[16:17]
	s_cmp_lt_u32 s17, 14
	s_cbranch_scc1 .LBB168_9
; %bb.10:                               ;   in Loop: Header=BB168_6 Depth=1
	s_or_b32 s11, s0, 1
	s_cmp_ge_i32 s11, s4
	s_barrier
	s_cbranch_scc1 .LBB168_5
; %bb.11:                               ;   in Loop: Header=BB168_6 Depth=1
	v_add_u32_e32 v8, s9, v111
	v_add_u32_e32 v0, v8, v55
	;; [unrolled: 1-line block ×9, first 2 shown]
	v_mad_i64_i32 v[144:145], s[16:17], v8, 36, v[132:133]
	v_add_u32_e32 v8, 8, v9
	v_mad_i64_i32 v[0:1], s[16:17], v0, 36, v[132:133]
	v_mad_i64_i32 v[2:3], s[16:17], v2, 36, v[132:133]
	;; [unrolled: 1-line block ×4, first 2 shown]
	v_mad_u64_u32 v[146:147], s[16:17], v8, 36, s[2:3]
	v_mad_i64_i32 v[10:11], s[16:17], v10, 36, v[132:133]
	v_mad_i64_i32 v[12:13], s[16:17], v12, 36, v[132:133]
	v_mad_i64_i32 v[14:15], s[16:17], v14, 36, v[132:133]
	global_load_dword v8, v[146:147], off
	s_nop 0
	global_load_dword v0, v[0:1], off offset:4
	s_nop 0
	global_load_dword v1, v[2:3], off offset:4
	;; [unrolled: 2-line block ×3, first 2 shown]
	global_load_dword v3, v[6:7], off offset:4
	s_nop 0
	global_load_dword v4, v[10:11], off offset:4
	global_load_dword v5, v[12:13], off offset:4
	;; [unrolled: 1-line block ×4, first 2 shown]
	s_mov_b32 s11, 16
	s_mov_b32 s17, 14
	v_mov_b32_e32 v11, v157
	v_mov_b32_e32 v13, v156
	s_waitcnt vmcnt(8)
	v_cvt_f32_f16_e32 v8, v8
	s_waitcnt vmcnt(7)
	ds_write_b32 v59, v0
	s_waitcnt vmcnt(6)
	ds_write_b32 v63, v1
	;; [unrolled: 2-line block ×8, first 2 shown]
	ds_write_b32 v51, v8
	s_waitcnt lgkmcnt(0)
	s_barrier
.LBB168_12:                             ;   Parent Loop BB168_6 Depth=1
                                        ; =>  This Inner Loop Header: Depth=2
	s_add_i32 s16, s17, 2
	s_and_b32 s19, s16, 0x3ffffff8
	s_lshl_b32 s19, s19, 2
	v_add_u32_e32 v8, s19, v91
	ds_read2_b32 v[144:145], v13 offset1:32
	ds_read_b128 v[4:7], v11
	ds_read_b128 v[0:3], v11 offset:16
	ds_read2_b32 v[14:15], v8 offset1:1
	s_and_b32 s18, s11, -16
	v_add_u32_e32 v12, s18, v121
	s_add_i32 s18, s17, -14
	s_lshr_b32 s20, s16, 2
	s_waitcnt lgkmcnt(0)
	v_ashrrev_i32_e32 v10, s18, v14
	v_and_b32_e32 v184, 0x3030303, v10
	v_ashrrev_i32_e32 v10, s18, v15
	ds_read2_b32 v[14:15], v8 offset0:2 offset1:3
	v_and_b32_e32 v181, 0x3030303, v10
	s_and_b32 s20, s20, 0x3ffffffc
	v_mov_b32_e32 v201, 0
	v_mov_b32_e32 v203, 0
	s_waitcnt lgkmcnt(0)
	v_ashrrev_i32_e32 v10, s18, v14
	v_and_b32_e32 v182, 0x3030303, v10
	v_ashrrev_i32_e32 v10, s18, v15
	ds_read2_b32 v[14:15], v8 offset0:4 offset1:5
	v_and_b32_e32 v183, 0x3030303, v10
	v_mov_b32_e32 v211, 0
	v_mov_b32_e32 v215, 0
	;; [unrolled: 1-line block ×3, first 2 shown]
	s_waitcnt lgkmcnt(0)
	v_ashrrev_i32_e32 v10, s18, v14
	v_and_b32_e32 v177, 0x3030303, v10
	v_ashrrev_i32_e32 v10, s18, v15
	ds_read2_b32 v[14:15], v8 offset0:6 offset1:7
	v_and_b32_e32 v178, 0x3030303, v10
	v_add_u32_e32 v10, s20, v93
	v_mov_b32_e32 v202, 0
	v_mov_b32_e32 v209, 0
	s_waitcnt lgkmcnt(0)
	v_ashrrev_i32_e32 v8, s18, v14
	v_and_b32_e32 v179, 0x3030303, v8
	v_ashrrev_i32_e32 v8, s18, v15
	v_and_b32_e32 v180, 0x3030303, v8
	v_add3_u32 v8, v131, s17, v12
	ds_read_b32 v10, v10
	ds_read_u16 v146, v8 offset:25074
	v_mov_b32_e32 v214, 0
	v_dot4c_i32_i8_e32 v147, v184, v4
	v_mov_b32_e32 v206, 0
	s_waitcnt lgkmcnt(1)
	v_cvt_f32_f16_e32 v136, v10
	s_waitcnt lgkmcnt(0)
	v_bfe_u32 v8, v146, 4, 4
	v_mul_lo_u32 v190, v8, s1
	v_lshrrev_b32_sdwa v8, v167, v146 dst_sel:DWORD dst_unused:UNUSED_PAD src0_sel:DWORD src1_sel:BYTE_1
	v_mul_lo_u32 v197, v8, s1
	v_add_u32_e32 v8, s19, v95
	ds_read2_b32 v[14:15], v8 offset1:1
	v_cvt_f32_f16_sdwa v138, v10 dst_sel:DWORD dst_unused:UNUSED_PAD src0_sel:WORD_1
	v_dot4c_i32_i8_e32 v201, v190, v4
	v_dot4c_i32_i8_e32 v201, v190, v5
	;; [unrolled: 1-line block ×3, first 2 shown]
	s_waitcnt lgkmcnt(0)
	v_ashrrev_i32_e32 v10, s18, v14
	v_and_b32_e32 v194, 0x3030303, v10
	v_ashrrev_i32_e32 v10, s18, v15
	ds_read2_b32 v[14:15], v8 offset0:2 offset1:3
	v_and_b32_e32 v191, 0x3030303, v10
	v_dot4c_i32_i8_e32 v202, v194, v4
	v_dot4c_i32_i8_e32 v201, v190, v7
	v_mov_b32_e32 v212, 0
	s_waitcnt lgkmcnt(0)
	v_ashrrev_i32_e32 v10, s18, v14
	v_and_b32_e32 v192, 0x3030303, v10
	v_ashrrev_i32_e32 v10, s18, v15
	ds_read2_b32 v[14:15], v8 offset0:4 offset1:5
	v_and_b32_e32 v193, 0x3030303, v10
	v_mov_b32_e32 v213, 0
	v_mov_b32_e32 v216, 0
	v_dot4c_i32_i8_e32 v206, v177, v0
	s_waitcnt lgkmcnt(0)
	v_ashrrev_i32_e32 v10, s18, v14
	v_and_b32_e32 v186, 0x3030303, v10
	v_ashrrev_i32_e32 v10, s18, v15
	ds_read2_b32 v[14:15], v8 offset0:6 offset1:7
	v_and_b32_e32 v187, 0x3030303, v10
	v_add_u32_e32 v10, s20, v97
	v_dot4c_i32_i8_e32 v201, v197, v0
	v_dot4c_i32_i8_e32 v212, v186, v0
	s_waitcnt lgkmcnt(0)
	v_ashrrev_i32_e32 v8, s18, v14
	v_and_b32_e32 v188, 0x3030303, v8
	v_ashrrev_i32_e32 v8, s18, v15
	v_and_b32_e32 v189, 0x3030303, v8
	v_add3_u32 v8, v127, s17, v12
	ds_read_b32 v10, v10
	ds_read_u16 v200, v8 offset:26098
	v_dot4c_i32_i8_e32 v147, v181, v5
	v_dot4c_i32_i8_e32 v206, v178, v1
	;; [unrolled: 1-line block ×3, first 2 shown]
	s_waitcnt lgkmcnt(1)
	v_cvt_f32_f16_e32 v140, v10
	s_waitcnt lgkmcnt(0)
	v_bfe_u32 v8, v200, 4, 4
	v_mul_lo_u32 v196, v8, s1
	v_lshrrev_b32_sdwa v8, v167, v200 dst_sel:DWORD dst_unused:UNUSED_PAD src0_sel:DWORD src1_sel:BYTE_1
	v_mul_lo_u32 v199, v8, s1
	v_add_u32_e32 v8, s19, v99
	ds_read2_b32 v[14:15], v8 offset1:1
	ds_read2_b32 v[148:149], v8 offset0:4 offset1:5
	v_cvt_f32_f16_sdwa v142, v10 dst_sel:DWORD dst_unused:UNUSED_PAD src0_sel:WORD_1
	ds_read2_b32 v[154:155], v8 offset0:6 offset1:7
	v_dot4c_i32_i8_e32 v203, v196, v4
	s_waitcnt lgkmcnt(2)
	v_ashrrev_i32_e32 v10, s18, v14
	v_and_b32_e32 v198, 0x3030303, v10
	v_ashrrev_i32_e32 v10, s18, v15
	ds_read2_b32 v[14:15], v8 offset0:2 offset1:3
	v_and_b32_e32 v151, 0x3030303, v10
	s_waitcnt lgkmcnt(1)
	v_ashrrev_i32_e32 v8, s18, v154
	v_dot4c_i32_i8_e32 v203, v196, v5
	v_dot4c_i32_i8_e32 v203, v196, v6
	s_waitcnt lgkmcnt(0)
	v_ashrrev_i32_e32 v10, s18, v14
	v_and_b32_e32 v152, 0x3030303, v10
	v_ashrrev_i32_e32 v10, s18, v15
	v_and_b32_e32 v153, 0x3030303, v10
	;; [unrolled: 2-line block ×4, first 2 shown]
	v_and_b32_e32 v149, 0x3030303, v8
	v_ashrrev_i32_e32 v8, s18, v155
	v_add_u32_e32 v10, s20, v103
	v_add_u32_e32 v14, s19, v105
	v_and_b32_e32 v150, 0x3030303, v8
	v_add3_u32 v8, v123, s17, v12
	ds_read_b32 v10, v10
	ds_read_u16 v208, v8 offset:27122
	ds_read2_b32 v[154:155], v14 offset1:1
	ds_read2_b32 v[204:205], v14 offset0:6 offset1:7
	v_add3_u32 v12, v117, s17, v12
	v_dot4c_i32_i8_e32 v209, v198, v4
	s_waitcnt lgkmcnt(2)
	v_bfe_u32 v8, v208, 4, 4
	s_waitcnt lgkmcnt(1)
	v_ashrrev_i32_e32 v154, s18, v154
	v_and_b32_e32 v175, 0x3030303, v154
	v_ashrrev_i32_e32 v154, s18, v155
	v_and_b32_e32 v172, 0x3030303, v154
	ds_read2_b32 v[154:155], v14 offset0:2 offset1:3
	v_mul_lo_u32 v171, v8, s1
	v_dot4c_i32_i8_e32 v211, v171, v4
	v_dot4c_i32_i8_e32 v211, v171, v5
	;; [unrolled: 1-line block ×3, first 2 shown]
	s_waitcnt lgkmcnt(0)
	v_ashrrev_i32_e32 v154, s18, v154
	v_and_b32_e32 v173, 0x3030303, v154
	v_ashrrev_i32_e32 v154, s18, v155
	v_and_b32_e32 v174, 0x3030303, v154
	ds_read2_b32 v[154:155], v14 offset0:4 offset1:5
	v_ashrrev_i32_e32 v14, s18, v204
	v_and_b32_e32 v169, 0x3030303, v14
	v_ashrrev_i32_e32 v14, s18, v205
	v_and_b32_e32 v170, 0x3030303, v14
	v_add_u32_e32 v14, s20, v107
	ds_read_b32 v14, v14
	ds_read_u16 v210, v12 offset:28146
	v_lshrrev_b32_sdwa v8, v167, v208 dst_sel:DWORD dst_unused:UNUSED_PAD src0_sel:DWORD src1_sel:BYTE_1
	s_waitcnt lgkmcnt(2)
	v_ashrrev_i32_e32 v154, s18, v154
	v_dot4c_i32_i8_e32 v214, v175, v4
	v_dot4c_i32_i8_e32 v203, v196, v7
	s_waitcnt lgkmcnt(0)
	v_bfe_u32 v12, v210, 4, 4
	v_mul_lo_u32 v176, v12, s1
	v_dot4c_i32_i8_e32 v215, v176, v4
	v_dot4c_i32_i8_e32 v215, v176, v5
	;; [unrolled: 1-line block ×3, first 2 shown]
	v_lshrrev_b32_sdwa v4, v167, v210 dst_sel:DWORD dst_unused:UNUSED_PAD src0_sel:DWORD src1_sel:BYTE_1
	v_dot4c_i32_i8_e32 v211, v171, v7
	v_mul_lo_u32 v185, v8, s1
	v_and_b32_e32 v154, 0x3030303, v154
	v_ashrrev_i32_e32 v155, s18, v155
	v_dot4c_i32_i8_e32 v215, v176, v7
	v_mul_lo_u32 v195, v4, s1
	v_dot4c_i32_i8_e32 v203, v199, v0
	v_dot4c_i32_i8_e32 v213, v15, v0
	;; [unrolled: 1-line block ×3, first 2 shown]
	v_and_b32_e32 v155, 0x3030303, v155
	v_dot4c_i32_i8_e32 v216, v154, v0
	v_dot4c_i32_i8_e32 v215, v195, v0
	;; [unrolled: 1-line block ×35, first 2 shown]
	ds_read_b128 v[4:7], v11 offset:1024
	ds_read_b128 v[0:3], v11 offset:1040
	v_mov_b32_e32 v217, 0
	v_mov_b32_e32 v207, 0
	v_mov_b32_e32 v218, 0
	s_waitcnt lgkmcnt(1)
	v_dot4c_i32_i8_e32 v217, v190, v4
	v_dot4c_i32_i8_e32 v217, v190, v5
	;; [unrolled: 1-line block ×6, first 2 shown]
	s_waitcnt lgkmcnt(0)
	v_dot4c_i32_i8_e32 v218, v177, v0
	v_dot4c_i32_i8_e32 v207, v182, v6
	;; [unrolled: 1-line block ×7, first 2 shown]
	v_and_b32_e32 v205, 15, v146
	v_and_b32_sdwa v204, v146, v168 dst_sel:DWORD dst_unused:UNUSED_PAD src0_sel:BYTE_1 src1_sel:DWORD
	v_dot4c_i32_i8_e32 v217, v197, v2
	v_dot4c_i32_i8_e32 v218, v180, v3
	v_mul_lo_u32 v146, v204, v206
	v_mul_lo_u32 v206, v205, v207
                                        ; kill: def $vgpr207 killed $sgpr0 killed $exec
	v_dot4c_i32_i8_e32 v217, v197, v3
	v_mad_u64_u32 v[206:207], s[18:19], v204, v218, v[206:207]
	v_mad_u64_u32 v[146:147], s[18:19], v205, v147, v[146:147]
	v_cvt_f32_i32_e32 v147, v146
	v_cvt_f32_i32_e32 v146, v206
	;; [unrolled: 1-line block ×4, first 2 shown]
	v_mov_b32_e32 v217, 0
	v_dot4c_i32_i8_e32 v217, v196, v4
	v_dot4c_i32_i8_e32 v217, v196, v5
	v_pk_mul_f32 v[206:207], v[138:139], v[206:207] op_sel_hi:[0,1]
	v_pk_fma_f32 v[206:207], v[136:137], v[146:147], v[206:207] op_sel_hi:[0,1,1] neg_lo:[0,0,1] neg_hi:[0,0,1]
	v_mov_b32_e32 v146, v145
	v_mov_b32_e32 v145, 0
	v_dot4c_i32_i8_e32 v145, v194, v4
	v_dot4c_i32_i8_e32 v217, v196, v6
	v_mov_b32_e32 v201, 0
	v_dot4c_i32_i8_e32 v145, v191, v5
	v_dot4c_i32_i8_e32 v217, v196, v7
	;; [unrolled: 1-line block ×3, first 2 shown]
	v_mov_b32_e32 v147, v144
	v_dot4c_i32_i8_e32 v145, v192, v6
	v_dot4c_i32_i8_e32 v217, v199, v0
	;; [unrolled: 1-line block ×3, first 2 shown]
	v_pk_fma_f32 v[112:113], v[146:147], v[206:207], v[112:113]
	v_dot4c_i32_i8_e32 v145, v193, v7
	v_dot4c_i32_i8_e32 v217, v199, v1
	;; [unrolled: 1-line block ×3, first 2 shown]
	v_and_b32_e32 v207, 15, v200
	v_and_b32_sdwa v206, v200, v168 dst_sel:DWORD dst_unused:UNUSED_PAD src0_sel:BYTE_1 src1_sel:DWORD
	v_dot4c_i32_i8_e32 v217, v199, v2
	v_dot4c_i32_i8_e32 v201, v189, v3
	v_mul_lo_u32 v144, v206, v212
	v_mul_lo_u32 v200, v207, v145
                                        ; kill: def $vgpr145 killed $sgpr0 killed $exec
	v_dot4c_i32_i8_e32 v217, v199, v3
	v_mad_u64_u32 v[200:201], s[18:19], v206, v201, v[200:201]
	v_mad_u64_u32 v[144:145], s[18:19], v207, v202, v[144:145]
	v_cvt_f32_i32_e32 v145, v144
	v_cvt_f32_i32_e32 v144, v200
	;; [unrolled: 1-line block ×4, first 2 shown]
	v_mov_b32_e32 v212, 0
	v_dot4c_i32_i8_e32 v212, v171, v4
	v_dot4c_i32_i8_e32 v212, v171, v5
	v_pk_mul_f32 v[200:201], v[142:143], v[200:201] op_sel_hi:[0,1]
	v_pk_fma_f32 v[144:145], v[140:141], v[144:145], v[200:201] op_sel_hi:[0,1,1] neg_lo:[0,0,1] neg_hi:[0,0,1]
	v_pk_fma_f32 v[100:101], v[146:147], v[144:145], v[100:101]
	v_mov_b32_e32 v145, 0
	v_dot4c_i32_i8_e32 v145, v198, v4
	v_dot4c_i32_i8_e32 v212, v171, v6
	v_mov_b32_e32 v201, 0
	v_dot4c_i32_i8_e32 v145, v151, v5
	v_dot4c_i32_i8_e32 v212, v171, v7
	;; [unrolled: 1-line block ×9, first 2 shown]
	v_and_b32_e32 v203, 15, v208
	v_and_b32_sdwa v202, v208, v168 dst_sel:DWORD dst_unused:UNUSED_PAD src0_sel:BYTE_1 src1_sel:DWORD
	v_dot4c_i32_i8_e32 v212, v185, v2
	v_dot4c_i32_i8_e32 v201, v150, v3
	v_mul_lo_u32 v144, v202, v213
	v_mul_lo_u32 v200, v203, v145
                                        ; kill: def $vgpr145 killed $sgpr0 killed $exec
	v_dot4c_i32_i8_e32 v212, v185, v3
	v_mad_u64_u32 v[200:201], s[18:19], v202, v201, v[200:201]
	v_mad_u64_u32 v[144:145], s[18:19], v203, v209, v[144:145]
	v_cvt_f32_f16_e32 v8, v10
	v_cvt_f32_f16_sdwa v10, v10 dst_sel:DWORD dst_unused:UNUSED_PAD src0_sel:WORD_1
	v_cvt_f32_i32_e32 v145, v144
	v_cvt_f32_i32_e32 v144, v200
	v_cvt_f32_i32_e32 v201, v211
	v_cvt_f32_i32_e32 v200, v212
	v_cvt_f32_f16_e32 v12, v14
	v_cvt_f32_f16_sdwa v14, v14 dst_sel:DWORD dst_unused:UNUSED_PAD src0_sel:WORD_1
	v_mov_b32_e32 v212, 0
	v_pk_mul_f32 v[200:201], v[10:11], v[200:201] op_sel_hi:[0,1]
	v_pk_fma_f32 v[144:145], v[8:9], v[144:145], v[200:201] op_sel_hi:[0,1,1] neg_lo:[0,0,1] neg_hi:[0,0,1]
	v_pk_fma_f32 v[76:77], v[146:147], v[144:145], v[76:77]
	v_mov_b32_e32 v145, 0
	v_dot4c_i32_i8_e32 v145, v176, v4
	v_mov_b32_e32 v144, 0
	v_dot4c_i32_i8_e32 v145, v176, v5
	v_dot4c_i32_i8_e32 v144, v175, v4
	;; [unrolled: 1-line block ×3, first 2 shown]
	v_mov_b32_e32 v4, 0
	v_dot4c_i32_i8_e32 v144, v172, v5
	v_dot4c_i32_i8_e32 v145, v176, v7
	;; [unrolled: 1-line block ×9, first 2 shown]
	v_and_b32_e32 v201, 15, v210
	v_and_b32_sdwa v200, v210, v168 dst_sel:DWORD dst_unused:UNUSED_PAD src0_sel:BYTE_1 src1_sel:DWORD
	v_dot4c_i32_i8_e32 v145, v195, v2
	v_dot4c_i32_i8_e32 v4, v170, v3
	v_mul_lo_u32 v0, v200, v216
	v_mul_lo_u32 v2, v201, v144
                                        ; kill: def $vgpr1 killed $sgpr0 killed $exec
	v_dot4c_i32_i8_e32 v145, v195, v3
	v_mad_u64_u32 v[2:3], s[18:19], v200, v4, v[2:3]
	v_mad_u64_u32 v[0:1], s[18:19], v201, v214, v[0:1]
	v_cvt_f32_i32_e32 v1, v0
	v_cvt_f32_i32_e32 v0, v2
	;; [unrolled: 1-line block ×4, first 2 shown]
	v_mov_b32_e32 v210, 0
	v_mov_b32_e32 v215, 0
	;; [unrolled: 1-line block ×3, first 2 shown]
	v_pk_mul_f32 v[2:3], v[14:15], v[2:3] op_sel_hi:[0,1]
	v_pk_fma_f32 v[0:1], v[12:13], v[0:1], v[2:3] op_sel_hi:[0,1,1] neg_lo:[0,0,1] neg_hi:[0,0,1]
	v_pk_fma_f32 v[52:53], v[146:147], v[0:1], v[52:53]
	ds_read2_b32 v[144:145], v13 offset0:64 offset1:96
	ds_read_b128 v[0:3], v11 offset:2048
	ds_read_b128 v[4:7], v11 offset:2064
	v_mov_b32_e32 v147, 0
	v_mov_b32_e32 v208, 0
	;; [unrolled: 1-line block ×3, first 2 shown]
	s_waitcnt lgkmcnt(1)
	v_dot4c_i32_i8_e32 v210, v190, v0
	v_dot4c_i32_i8_e32 v212, v196, v0
	;; [unrolled: 1-line block ×14, first 2 shown]
	v_mov_b32_e32 v213, 0
	v_mov_b32_e32 v214, 0
	v_dot4c_i32_i8_e32 v215, v171, v3
	v_mov_b32_e32 v216, 0
	v_mov_b32_e32 v217, 0
	v_dot4c_i32_i8_e32 v218, v176, v3
	v_mov_b32_e32 v219, 0
	v_dot4c_i32_i8_e32 v147, v184, v0
	s_waitcnt lgkmcnt(0)
	v_dot4c_i32_i8_e32 v208, v177, v4
	v_dot4c_i32_i8_e32 v210, v197, v4
	;; [unrolled: 1-line block ×47, first 2 shown]
	ds_read_b128 v[4:7], v11 offset:3072
	ds_read_b128 v[0:3], v11 offset:3088
	v_mov_b32_e32 v220, 0
	v_mov_b32_e32 v146, 0
	;; [unrolled: 1-line block ×3, first 2 shown]
	s_waitcnt lgkmcnt(1)
	v_dot4c_i32_i8_e32 v220, v190, v4
	v_dot4c_i32_i8_e32 v220, v190, v5
	;; [unrolled: 1-line block ×6, first 2 shown]
	s_waitcnt lgkmcnt(0)
	v_dot4c_i32_i8_e32 v221, v177, v0
	v_dot4c_i32_i8_e32 v146, v182, v6
	;; [unrolled: 1-line block ×7, first 2 shown]
	v_mul_lo_u32 v208, v208, v204
                                        ; kill: def $vgpr209 killed $sgpr0 killed $exec
	v_dot4c_i32_i8_e32 v220, v197, v2
	v_dot4c_i32_i8_e32 v221, v180, v3
	v_mul_lo_u32 v146, v146, v205
	v_mad_u64_u32 v[208:209], s[18:19], v147, v205, v[208:209]
                                        ; kill: def $vgpr147 killed $sgpr0 killed $exec
	v_dot4c_i32_i8_e32 v220, v197, v3
	v_mad_u64_u32 v[146:147], s[18:19], v221, v204, v[146:147]
	v_cvt_f32_i32_e32 v147, v146
	v_cvt_f32_i32_e32 v146, v208
	;; [unrolled: 1-line block ×4, first 2 shown]
	v_mov_b32_e32 v210, 0
	v_dot4c_i32_i8_e32 v210, v196, v4
	v_dot4c_i32_i8_e32 v210, v196, v5
	v_pk_mul_f32 v[208:209], v[138:139], v[208:209] op_sel_hi:[0,1]
	v_pk_fma_f32 v[146:147], v[136:137], v[146:147], v[208:209] op_sel_hi:[0,1,1] neg_lo:[0,0,1] neg_hi:[0,0,1]
	v_pk_fma_f32 v[38:39], v[144:145], v[146:147], v[38:39]
	v_mov_b32_e32 v146, 0
	v_dot4c_i32_i8_e32 v146, v194, v4
	v_dot4c_i32_i8_e32 v210, v196, v6
	v_mov_b32_e32 v147, 0
	v_dot4c_i32_i8_e32 v146, v191, v5
	v_dot4c_i32_i8_e32 v210, v196, v7
	;; [unrolled: 1-line block ×11, first 2 shown]
	v_mul_lo_u32 v146, v146, v207
	v_mul_lo_u32 v208, v213, v206
                                        ; kill: def $vgpr209 killed $sgpr0 killed $exec
	v_dot4c_i32_i8_e32 v210, v199, v3
	v_mad_u64_u32 v[208:209], s[18:19], v211, v207, v[208:209]
	v_mad_u64_u32 v[146:147], s[18:19], v147, v206, v[146:147]
	v_cvt_f32_i32_e32 v147, v146
	v_cvt_f32_i32_e32 v146, v208
	;; [unrolled: 1-line block ×4, first 2 shown]
	v_mov_b32_e32 v210, 0
	v_dot4c_i32_i8_e32 v210, v171, v4
	v_dot4c_i32_i8_e32 v210, v171, v5
	v_pk_mul_f32 v[208:209], v[142:143], v[208:209] op_sel_hi:[0,1]
	v_pk_fma_f32 v[146:147], v[140:141], v[146:147], v[208:209] op_sel_hi:[0,1,1] neg_lo:[0,0,1] neg_hi:[0,0,1]
	v_pk_fma_f32 v[36:37], v[144:145], v[146:147], v[36:37]
	v_mov_b32_e32 v146, 0
	v_dot4c_i32_i8_e32 v146, v198, v4
	v_dot4c_i32_i8_e32 v210, v171, v6
	v_mov_b32_e32 v147, 0
	v_dot4c_i32_i8_e32 v146, v151, v5
	v_dot4c_i32_i8_e32 v210, v171, v7
	;; [unrolled: 1-line block ×11, first 2 shown]
	v_mul_lo_u32 v146, v146, v203
	v_mul_lo_u32 v208, v216, v202
                                        ; kill: def $vgpr209 killed $sgpr0 killed $exec
	v_dot4c_i32_i8_e32 v210, v185, v3
	v_mad_u64_u32 v[208:209], s[18:19], v214, v203, v[208:209]
	v_mad_u64_u32 v[146:147], s[18:19], v147, v202, v[146:147]
	v_cvt_f32_i32_e32 v147, v146
	v_cvt_f32_i32_e32 v146, v208
	;; [unrolled: 1-line block ×4, first 2 shown]
	v_mov_b32_e32 v210, 0
	v_mov_b32_e32 v212, 0
	;; [unrolled: 1-line block ×3, first 2 shown]
	v_pk_mul_f32 v[208:209], v[10:11], v[208:209] op_sel_hi:[0,1]
	v_pk_fma_f32 v[146:147], v[8:9], v[146:147], v[208:209] op_sel_hi:[0,1,1] neg_lo:[0,0,1] neg_hi:[0,0,1]
	v_pk_fma_f32 v[34:35], v[144:145], v[146:147], v[34:35]
	v_mov_b32_e32 v147, 0
	v_dot4c_i32_i8_e32 v147, v176, v4
	v_mov_b32_e32 v146, 0
	v_dot4c_i32_i8_e32 v147, v176, v5
	v_dot4c_i32_i8_e32 v146, v175, v4
	;; [unrolled: 1-line block ×3, first 2 shown]
	v_mov_b32_e32 v4, 0
	v_dot4c_i32_i8_e32 v146, v172, v5
	v_dot4c_i32_i8_e32 v147, v176, v7
	;; [unrolled: 1-line block ×11, first 2 shown]
	v_mul_lo_u32 v0, v146, v201
	v_mul_lo_u32 v2, v219, v200
                                        ; kill: def $vgpr1 killed $sgpr0 killed $exec
	v_dot4c_i32_i8_e32 v147, v195, v3
	v_mad_u64_u32 v[2:3], s[18:19], v217, v201, v[2:3]
	v_mad_u64_u32 v[0:1], s[18:19], v4, v200, v[0:1]
	v_cvt_f32_i32_e32 v1, v0
	v_cvt_f32_i32_e32 v0, v2
	;; [unrolled: 1-line block ×4, first 2 shown]
	v_mov_b32_e32 v218, 0
	v_mov_b32_e32 v147, 0
	;; [unrolled: 1-line block ×3, first 2 shown]
	v_pk_mul_f32 v[2:3], v[14:15], v[2:3] op_sel_hi:[0,1]
	v_pk_fma_f32 v[0:1], v[12:13], v[0:1], v[2:3] op_sel_hi:[0,1,1] neg_lo:[0,0,1] neg_hi:[0,0,1]
	v_pk_fma_f32 v[32:33], v[144:145], v[0:1], v[32:33]
	ds_read2_b32 v[144:145], v13 offset0:128 offset1:160
	ds_read_b128 v[0:3], v11 offset:4096
	ds_read_b128 v[4:7], v11 offset:4112
	v_mov_b32_e32 v211, 0
	v_mov_b32_e32 v213, 0
	;; [unrolled: 1-line block ×3, first 2 shown]
	s_waitcnt lgkmcnt(1)
	v_dot4c_i32_i8_e32 v210, v190, v0
	v_dot4c_i32_i8_e32 v212, v196, v0
	;; [unrolled: 1-line block ×15, first 2 shown]
	v_mov_b32_e32 v216, 0
	v_mov_b32_e32 v217, 0
	v_dot4c_i32_i8_e32 v218, v176, v3
	v_mov_b32_e32 v219, 0
	v_dot4c_i32_i8_e32 v147, v184, v0
	s_waitcnt lgkmcnt(0)
	v_dot4c_i32_i8_e32 v208, v177, v4
	v_dot4c_i32_i8_e32 v210, v197, v4
	;; [unrolled: 1-line block ×47, first 2 shown]
	ds_read_b128 v[4:7], v11 offset:5120
	ds_read_b128 v[0:3], v11 offset:5136
	v_mov_b32_e32 v220, 0
	v_mov_b32_e32 v146, 0
	;; [unrolled: 1-line block ×3, first 2 shown]
	s_waitcnt lgkmcnt(1)
	v_dot4c_i32_i8_e32 v220, v190, v4
	v_dot4c_i32_i8_e32 v220, v190, v5
	v_dot4c_i32_i8_e32 v146, v184, v4
	v_dot4c_i32_i8_e32 v220, v190, v6
	v_dot4c_i32_i8_e32 v146, v181, v5
	v_dot4c_i32_i8_e32 v220, v190, v7
	s_waitcnt lgkmcnt(0)
	v_dot4c_i32_i8_e32 v221, v177, v0
	v_dot4c_i32_i8_e32 v146, v182, v6
	;; [unrolled: 1-line block ×7, first 2 shown]
	v_mul_lo_u32 v208, v208, v204
                                        ; kill: def $vgpr209 killed $sgpr0 killed $exec
	v_dot4c_i32_i8_e32 v220, v197, v2
	v_dot4c_i32_i8_e32 v221, v180, v3
	v_mul_lo_u32 v146, v146, v205
	v_mad_u64_u32 v[208:209], s[18:19], v147, v205, v[208:209]
                                        ; kill: def $vgpr147 killed $sgpr0 killed $exec
	v_dot4c_i32_i8_e32 v220, v197, v3
	v_mad_u64_u32 v[146:147], s[18:19], v221, v204, v[146:147]
	v_cvt_f32_i32_e32 v147, v146
	v_cvt_f32_i32_e32 v146, v208
	;; [unrolled: 1-line block ×4, first 2 shown]
	v_mov_b32_e32 v210, 0
	v_dot4c_i32_i8_e32 v210, v196, v4
	v_dot4c_i32_i8_e32 v210, v196, v5
	v_pk_mul_f32 v[208:209], v[138:139], v[208:209] op_sel_hi:[0,1]
	v_pk_fma_f32 v[146:147], v[136:137], v[146:147], v[208:209] op_sel_hi:[0,1,1] neg_lo:[0,0,1] neg_hi:[0,0,1]
	v_pk_fma_f32 v[30:31], v[144:145], v[146:147], v[30:31]
	v_mov_b32_e32 v146, 0
	v_dot4c_i32_i8_e32 v146, v194, v4
	v_dot4c_i32_i8_e32 v210, v196, v6
	v_mov_b32_e32 v147, 0
	v_dot4c_i32_i8_e32 v146, v191, v5
	v_dot4c_i32_i8_e32 v210, v196, v7
	;; [unrolled: 1-line block ×11, first 2 shown]
	v_mul_lo_u32 v146, v146, v207
	v_mul_lo_u32 v208, v213, v206
                                        ; kill: def $vgpr209 killed $sgpr0 killed $exec
	v_dot4c_i32_i8_e32 v210, v199, v3
	v_mad_u64_u32 v[208:209], s[18:19], v211, v207, v[208:209]
	v_mad_u64_u32 v[146:147], s[18:19], v147, v206, v[146:147]
	v_cvt_f32_i32_e32 v147, v146
	v_cvt_f32_i32_e32 v146, v208
	;; [unrolled: 1-line block ×4, first 2 shown]
	v_mov_b32_e32 v210, 0
	v_dot4c_i32_i8_e32 v210, v171, v4
	v_dot4c_i32_i8_e32 v210, v171, v5
	v_pk_mul_f32 v[208:209], v[142:143], v[208:209] op_sel_hi:[0,1]
	v_pk_fma_f32 v[146:147], v[140:141], v[146:147], v[208:209] op_sel_hi:[0,1,1] neg_lo:[0,0,1] neg_hi:[0,0,1]
	v_pk_fma_f32 v[28:29], v[144:145], v[146:147], v[28:29]
	v_mov_b32_e32 v146, 0
	v_dot4c_i32_i8_e32 v146, v198, v4
	v_dot4c_i32_i8_e32 v210, v171, v6
	v_mov_b32_e32 v147, 0
	v_dot4c_i32_i8_e32 v146, v151, v5
	v_dot4c_i32_i8_e32 v210, v171, v7
	;; [unrolled: 1-line block ×11, first 2 shown]
	v_mul_lo_u32 v146, v146, v203
	v_mul_lo_u32 v208, v216, v202
                                        ; kill: def $vgpr209 killed $sgpr0 killed $exec
	v_dot4c_i32_i8_e32 v210, v185, v3
	v_mad_u64_u32 v[208:209], s[18:19], v214, v203, v[208:209]
	v_mad_u64_u32 v[146:147], s[18:19], v147, v202, v[146:147]
	v_cvt_f32_i32_e32 v147, v146
	v_cvt_f32_i32_e32 v146, v208
	;; [unrolled: 1-line block ×4, first 2 shown]
	v_mov_b32_e32 v212, 0
	v_mov_b32_e32 v215, 0
	;; [unrolled: 1-line block ×3, first 2 shown]
	v_pk_mul_f32 v[208:209], v[10:11], v[208:209] op_sel_hi:[0,1]
	v_pk_fma_f32 v[146:147], v[8:9], v[146:147], v[208:209] op_sel_hi:[0,1,1] neg_lo:[0,0,1] neg_hi:[0,0,1]
	v_pk_fma_f32 v[26:27], v[144:145], v[146:147], v[26:27]
	v_mov_b32_e32 v147, 0
	v_dot4c_i32_i8_e32 v147, v176, v4
	v_mov_b32_e32 v146, 0
	v_dot4c_i32_i8_e32 v147, v176, v5
	v_dot4c_i32_i8_e32 v146, v175, v4
	;; [unrolled: 1-line block ×3, first 2 shown]
	v_mov_b32_e32 v4, 0
	v_dot4c_i32_i8_e32 v146, v172, v5
	v_dot4c_i32_i8_e32 v147, v176, v7
	v_dot4c_i32_i8_e32 v4, v154, v0
	v_dot4c_i32_i8_e32 v146, v173, v6
	v_dot4c_i32_i8_e32 v147, v195, v0
	v_dot4c_i32_i8_e32 v4, v155, v1
	v_dot4c_i32_i8_e32 v146, v174, v7
	v_dot4c_i32_i8_e32 v147, v195, v1
	v_dot4c_i32_i8_e32 v4, v169, v2
	v_dot4c_i32_i8_e32 v147, v195, v2
	v_dot4c_i32_i8_e32 v4, v170, v3
	v_mul_lo_u32 v0, v146, v201
	v_mul_lo_u32 v2, v219, v200
                                        ; kill: def $vgpr1 killed $sgpr0 killed $exec
	v_dot4c_i32_i8_e32 v147, v195, v3
	v_mad_u64_u32 v[2:3], s[18:19], v217, v201, v[2:3]
	v_mad_u64_u32 v[0:1], s[18:19], v4, v200, v[0:1]
	v_cvt_f32_i32_e32 v1, v0
	v_cvt_f32_i32_e32 v0, v2
	;; [unrolled: 1-line block ×4, first 2 shown]
	v_mov_b32_e32 v208, 0
	v_mov_b32_e32 v146, 0
	;; [unrolled: 1-line block ×3, first 2 shown]
	v_pk_mul_f32 v[2:3], v[14:15], v[2:3] op_sel_hi:[0,1]
	v_pk_fma_f32 v[0:1], v[12:13], v[0:1], v[2:3] op_sel_hi:[0,1,1] neg_lo:[0,0,1] neg_hi:[0,0,1]
	v_pk_fma_f32 v[24:25], v[144:145], v[0:1], v[24:25]
	ds_read2_b32 v[144:145], v13 offset0:192 offset1:224
	ds_read_b128 v[0:3], v11 offset:6144
	ds_read_b128 v[4:7], v11 offset:6160
	v_mov_b32_e32 v214, 0
	v_mov_b32_e32 v216, 0
	v_mov_b32_e32 v210, 0
	s_waitcnt lgkmcnt(1)
	v_dot4c_i32_i8_e32 v212, v190, v0
	v_dot4c_i32_i8_e32 v215, v196, v0
	v_dot4c_i32_i8_e32 v208, v171, v0
	v_dot4c_i32_i8_e32 v146, v176, v0
	v_dot4c_i32_i8_e32 v212, v190, v1
	v_dot4c_i32_i8_e32 v215, v196, v1
	v_dot4c_i32_i8_e32 v208, v171, v1
	v_dot4c_i32_i8_e32 v146, v176, v1
	v_dot4c_i32_i8_e32 v212, v190, v2
	v_dot4c_i32_i8_e32 v215, v196, v2
	v_dot4c_i32_i8_e32 v208, v171, v2
	v_dot4c_i32_i8_e32 v146, v176, v2
	v_dot4c_i32_i8_e32 v212, v190, v3
	v_dot4c_i32_i8_e32 v215, v196, v3
	v_dot4c_i32_i8_e32 v208, v171, v3
	v_mov_b32_e32 v217, 0
	v_mov_b32_e32 v147, 0
	v_dot4c_i32_i8_e32 v146, v176, v3
	v_mov_b32_e32 v209, 0
	v_dot4c_i32_i8_e32 v211, v184, v0
	s_waitcnt lgkmcnt(0)
	v_dot4c_i32_i8_e32 v213, v177, v4
	v_dot4c_i32_i8_e32 v212, v197, v4
	;; [unrolled: 1-line block ×47, first 2 shown]
	ds_read_b128 v[4:7], v11 offset:7168
	ds_read_b128 v[0:3], v11 offset:7184
	v_mov_b32_e32 v218, 0
	s_add_i32 s11, s11, 2
	s_cmp_lt_u32 s16, 22
	s_waitcnt lgkmcnt(1)
	v_dot4c_i32_i8_e32 v218, v184, v4
	v_mov_b32_e32 v184, 0
	v_dot4c_i32_i8_e32 v184, v190, v4
	v_dot4c_i32_i8_e32 v218, v181, v5
	v_dot4c_i32_i8_e32 v184, v190, v5
	v_dot4c_i32_i8_e32 v218, v182, v6
	v_dot4c_i32_i8_e32 v184, v190, v6
	v_mov_b32_e32 v182, 0
	v_dot4c_i32_i8_e32 v184, v190, v7
	s_waitcnt lgkmcnt(0)
	v_dot4c_i32_i8_e32 v182, v177, v0
	v_dot4c_i32_i8_e32 v184, v197, v0
	;; [unrolled: 1-line block ×8, first 2 shown]
	v_mul_lo_u32 v178, v218, v205
	v_mul_lo_u32 v180, v213, v204
	v_dot4c_i32_i8_e32 v184, v197, v3
	v_mad_u64_u32 v[180:181], s[18:19], v211, v205, v[180:181]
	v_mad_u64_u32 v[178:179], s[18:19], v182, v204, v[178:179]
	v_cvt_f32_i32_e32 v179, v178
	v_cvt_f32_i32_e32 v178, v180
	;; [unrolled: 1-line block ×4, first 2 shown]
	v_mov_b32_e32 v177, 0
	v_dot4c_i32_i8_e32 v177, v196, v4
	v_dot4c_i32_i8_e32 v177, v196, v5
	v_pk_mul_f32 v[180:181], v[138:139], v[180:181] op_sel_hi:[0,1]
	v_pk_fma_f32 v[178:179], v[136:137], v[178:179], v[180:181] op_sel_hi:[0,1,1] neg_lo:[0,0,1] neg_hi:[0,0,1]
	v_mov_b32_e32 v136, 0
	v_dot4c_i32_i8_e32 v136, v194, v4
	v_dot4c_i32_i8_e32 v177, v196, v6
	v_mov_b32_e32 v180, 0
	v_dot4c_i32_i8_e32 v136, v191, v5
	v_dot4c_i32_i8_e32 v177, v196, v7
	;; [unrolled: 1-line block ×11, first 2 shown]
	v_mul_lo_u32 v136, v136, v207
	v_mul_lo_u32 v138, v216, v206
	v_pk_fma_f32 v[22:23], v[144:145], v[178:179], v[22:23]
	v_dot4c_i32_i8_e32 v177, v199, v3
	v_mad_u64_u32 v[178:179], s[18:19], v214, v207, v[138:139]
	v_mad_u64_u32 v[180:181], s[18:19], v180, v206, v[136:137]
	v_cvt_f32_i32_e32 v179, v180
	v_cvt_f32_i32_e32 v181, v177
	;; [unrolled: 1-line block ×4, first 2 shown]
	v_mov_b32_e32 v136, 0
	v_dot4c_i32_i8_e32 v136, v198, v4
	v_pk_mul_f32 v[180:181], v[142:143], v[180:181] op_sel_hi:[0,1]
	v_pk_fma_f32 v[178:179], v[140:141], v[178:179], v[180:181] op_sel_hi:[0,1,1] neg_lo:[0,0,1] neg_hi:[0,0,1]
	v_mov_b32_e32 v140, 0
	v_dot4c_i32_i8_e32 v140, v171, v4
	v_dot4c_i32_i8_e32 v140, v171, v5
	;; [unrolled: 1-line block ×3, first 2 shown]
	v_mov_b32_e32 v142, 0
	v_dot4c_i32_i8_e32 v136, v151, v5
	v_dot4c_i32_i8_e32 v140, v171, v7
	;; [unrolled: 1-line block ×11, first 2 shown]
	v_mul_lo_u32 v136, v136, v203
	v_mul_lo_u32 v138, v217, v202
	v_dot4c_i32_i8_e32 v140, v185, v3
	v_mad_u64_u32 v[148:149], s[18:19], v210, v203, v[138:139]
	v_mad_u64_u32 v[150:151], s[18:19], v142, v202, v[136:137]
	v_cvt_f32_i32_e32 v149, v150
	v_cvt_f32_i32_e32 v151, v140
	;; [unrolled: 1-line block ×4, first 2 shown]
                                        ; kill: def $vgpr15 killed $sgpr0 killed $exec
	v_pk_fma_f32 v[20:21], v[144:145], v[178:179], v[20:21]
	s_mov_b32 s17, s16
	v_pk_mul_f32 v[150:151], v[10:11], v[150:151] op_sel_hi:[0,1]
	v_mov_b32_e32 v10, 0
	v_dot4c_i32_i8_e32 v10, v176, v4
	v_pk_fma_f32 v[148:149], v[8:9], v[148:149], v[150:151] op_sel_hi:[0,1,1] neg_lo:[0,0,1] neg_hi:[0,0,1]
	v_mov_b32_e32 v8, 0
	v_dot4c_i32_i8_e32 v10, v176, v5
	v_dot4c_i32_i8_e32 v8, v175, v4
	;; [unrolled: 1-line block ×3, first 2 shown]
	v_mov_b32_e32 v4, 0
	v_dot4c_i32_i8_e32 v8, v172, v5
	v_dot4c_i32_i8_e32 v10, v176, v7
	;; [unrolled: 1-line block ×11, first 2 shown]
	v_mul_lo_u32 v0, v8, v201
	v_mul_lo_u32 v2, v209, v200
                                        ; kill: def $vgpr1 killed $sgpr0 killed $exec
	v_dot4c_i32_i8_e32 v10, v195, v3
	v_mad_u64_u32 v[2:3], s[18:19], v147, v201, v[2:3]
	v_mad_u64_u32 v[0:1], s[18:19], v4, v200, v[0:1]
	v_cvt_f32_i32_e32 v1, v0
	v_cvt_f32_i32_e32 v0, v2
	;; [unrolled: 1-line block ×4, first 2 shown]
	v_pk_fma_f32 v[18:19], v[144:145], v[148:149], v[18:19]
	v_add_u32_e32 v11, 32, v11
	v_pk_mul_f32 v[2:3], v[14:15], v[2:3] op_sel_hi:[0,1]
	v_pk_fma_f32 v[0:1], v[12:13], v[0:1], v[2:3] op_sel_hi:[0,1,1] neg_lo:[0,0,1] neg_hi:[0,0,1]
	v_pk_fma_f32 v[16:17], v[144:145], v[0:1], v[16:17]
	v_add_u32_e32 v13, 4, v13
	s_cbranch_scc1 .LBB168_12
; %bb.13:                               ;   in Loop: Header=BB168_6 Depth=1
	v_add_u32_e32 v8, s9, v115
	v_add_u32_e32 v0, v8, v55
	;; [unrolled: 1-line block ×9, first 2 shown]
	v_mad_i64_i32 v[144:145], s[16:17], v8, 36, v[132:133]
	v_add_u32_e32 v8, 12, v9
	v_mad_i64_i32 v[0:1], s[16:17], v0, 36, v[132:133]
	v_mad_i64_i32 v[2:3], s[16:17], v2, 36, v[132:133]
	;; [unrolled: 1-line block ×4, first 2 shown]
	v_mad_u64_u32 v[8:9], s[16:17], v8, 36, s[2:3]
	s_barrier
	v_mad_i64_i32 v[10:11], s[16:17], v10, 36, v[132:133]
	v_mad_i64_i32 v[12:13], s[16:17], v12, 36, v[132:133]
	;; [unrolled: 1-line block ×3, first 2 shown]
	global_load_dword v8, v[8:9], off
	s_nop 0
	global_load_dword v0, v[0:1], off offset:4
	s_nop 0
	global_load_dword v1, v[2:3], off offset:4
	;; [unrolled: 2-line block ×3, first 2 shown]
	global_load_dword v3, v[6:7], off offset:4
	s_nop 0
	global_load_dword v4, v[10:11], off offset:4
	global_load_dword v5, v[12:13], off offset:4
	;; [unrolled: 1-line block ×4, first 2 shown]
	s_mov_b32 s9, 24
	s_mov_b32 s16, 22
	v_mov_b32_e32 v145, v157
	v_mov_b32_e32 v147, v156
	s_waitcnt vmcnt(8)
	v_cvt_f32_f16_e32 v8, v8
	s_waitcnt vmcnt(7)
	ds_write_b32 v59, v0
	s_waitcnt vmcnt(6)
	ds_write_b32 v63, v1
	;; [unrolled: 2-line block ×8, first 2 shown]
	ds_write_b32 v51, v8
	s_waitcnt lgkmcnt(0)
	s_barrier
.LBB168_14:                             ;   Parent Loop BB168_6 Depth=1
                                        ; =>  This Inner Loop Header: Depth=2
	s_add_i32 s11, s16, 2
	s_and_b32 s18, s11, 0x3ffffff8
	s_lshl_b32 s18, s18, 2
	v_add_u32_e32 v10, s18, v91
	ds_read2_b32 v[152:153], v147 offset1:32
	ds_read_b128 v[4:7], v145
	ds_read_b128 v[0:3], v145 offset:16
	ds_read2_b32 v[8:9], v10 offset1:1
	s_sub_i32 s17, s16, 22
	s_and_b32 s19, s9, -16
	s_add_i32 s16, s16, s19
	s_lshr_b32 s19, s11, 2
	s_waitcnt lgkmcnt(0)
	v_ashrrev_i32_e32 v8, s17, v8
	v_and_b32_e32 v194, 0x3030303, v8
	v_ashrrev_i32_e32 v8, s17, v9
	v_and_b32_e32 v188, 0x3030303, v8
	ds_read2_b32 v[8:9], v10 offset0:2 offset1:3
	s_and_b32 s19, s19, 0x3ffffffc
	v_add_u32_e32 v154, s16, v161
	v_add_u32_e32 v202, s16, v160
	v_mov_b32_e32 v208, 0
	s_waitcnt lgkmcnt(0)
	v_ashrrev_i32_e32 v8, s17, v8
	v_and_b32_e32 v191, 0x3030303, v8
	v_ashrrev_i32_e32 v8, s17, v9
	v_and_b32_e32 v192, 0x3030303, v8
	ds_read2_b32 v[8:9], v10 offset0:4 offset1:5
	v_mov_b32_e32 v209, 0
	v_mov_b32_e32 v211, 0
	;; [unrolled: 1-line block ×4, first 2 shown]
	s_waitcnt lgkmcnt(0)
	v_ashrrev_i32_e32 v8, s17, v8
	v_and_b32_e32 v181, 0x3030303, v8
	v_ashrrev_i32_e32 v8, s17, v9
	v_and_b32_e32 v182, 0x3030303, v8
	ds_read2_b32 v[8:9], v10 offset0:6 offset1:7
	v_add_u32_e32 v10, s18, v95
	v_dot4c_i32_i8_e32 v208, v181, v0
	v_dot4c_i32_i8_e32 v155, v194, v4
	;; [unrolled: 1-line block ×3, first 2 shown]
	s_waitcnt lgkmcnt(0)
	v_ashrrev_i32_e32 v8, s17, v8
	v_and_b32_e32 v185, 0x3030303, v8
	v_ashrrev_i32_e32 v8, s17, v9
	v_and_b32_e32 v186, 0x3030303, v8
	v_add_u32_e32 v8, s19, v93
	ds_read_b32 v8, v8
	v_mov_b32_e32 v210, 0
	v_dot4c_i32_i8_e32 v155, v188, v5
	v_dot4c_i32_i8_e32 v208, v185, v2
	v_dot4c_i32_i8_e32 v155, v191, v6
	s_waitcnt lgkmcnt(0)
	v_cvt_f32_f16_e32 v144, v8
	v_cvt_f32_f16_sdwa v146, v8 dst_sel:DWORD dst_unused:UNUSED_PAD src0_sel:WORD_1
	ds_read2_b32 v[8:9], v10 offset1:1
	v_dot4c_i32_i8_e32 v208, v186, v3
	v_dot4c_i32_i8_e32 v155, v192, v7
	v_add_u32_e32 v200, s16, v159
	v_add_u32_e32 v199, s16, v158
	s_waitcnt lgkmcnt(0)
	v_ashrrev_i32_e32 v8, s17, v8
	v_and_b32_e32 v193, 0x3030303, v8
	v_ashrrev_i32_e32 v8, s17, v9
	v_and_b32_e32 v187, 0x3030303, v8
	ds_read2_b32 v[8:9], v10 offset0:2 offset1:3
	v_mov_b32_e32 v218, 0
	v_mov_b32_e32 v219, 0
	;; [unrolled: 1-line block ×4, first 2 shown]
	s_waitcnt lgkmcnt(0)
	v_ashrrev_i32_e32 v8, s17, v8
	v_and_b32_e32 v189, 0x3030303, v8
	v_ashrrev_i32_e32 v8, s17, v9
	v_and_b32_e32 v190, 0x3030303, v8
	ds_read2_b32 v[8:9], v10 offset0:4 offset1:5
	v_dot4c_i32_i8_e32 v201, v193, v4
	v_dot4c_i32_i8_e32 v201, v187, v5
	;; [unrolled: 1-line block ×4, first 2 shown]
	s_waitcnt lgkmcnt(0)
	v_ashrrev_i32_e32 v8, s17, v8
	v_and_b32_e32 v179, 0x3030303, v8
	v_ashrrev_i32_e32 v8, s17, v9
	v_and_b32_e32 v180, 0x3030303, v8
	ds_read2_b32 v[8:9], v10 offset0:6 offset1:7
	v_add_u32_e32 v10, s18, v99
	v_dot4c_i32_i8_e32 v212, v179, v0
	v_dot4c_i32_i8_e32 v212, v180, v1
	v_mov_b32_e32 v215, 0
	s_waitcnt lgkmcnt(0)
	v_ashrrev_i32_e32 v8, s17, v8
	v_and_b32_e32 v183, 0x3030303, v8
	v_ashrrev_i32_e32 v8, s17, v9
	v_and_b32_e32 v184, 0x3030303, v8
	v_add_u32_e32 v8, s19, v97
	ds_read_b32 v8, v8
	v_dot4c_i32_i8_e32 v212, v183, v2
	v_dot4c_i32_i8_e32 v212, v184, v3
	v_mov_b32_e32 v207, 0
	v_mov_b32_e32 v213, 0
	s_waitcnt lgkmcnt(0)
	v_cvt_f32_f16_e32 v148, v8
	v_cvt_f32_f16_sdwa v150, v8 dst_sel:DWORD dst_unused:UNUSED_PAD src0_sel:WORD_1
	ds_read2_b32 v[8:9], v10 offset1:1
	v_mov_b32_e32 v214, 0
	v_mov_b32_e32 v220, 0
	s_add_i32 s9, s9, 2
	s_cmp_lt_u32 s11, 30
	s_waitcnt lgkmcnt(0)
	v_ashrrev_i32_e32 v8, s17, v8
	v_and_b32_e32 v198, 0x3030303, v8
	v_ashrrev_i32_e32 v8, s17, v9
	v_and_b32_e32 v195, 0x3030303, v8
	ds_read2_b32 v[8:9], v10 offset0:2 offset1:3
	v_dot4c_i32_i8_e32 v207, v198, v4
	v_dot4c_i32_i8_e32 v207, v195, v5
	s_waitcnt lgkmcnt(0)
	v_ashrrev_i32_e32 v8, s17, v8
	v_and_b32_e32 v196, 0x3030303, v8
	v_ashrrev_i32_e32 v8, s17, v9
	v_and_b32_e32 v197, 0x3030303, v8
	ds_read2_b32 v[8:9], v10 offset0:4 offset1:5
	v_dot4c_i32_i8_e32 v207, v196, v6
	v_dot4c_i32_i8_e32 v207, v197, v7
	s_waitcnt lgkmcnt(0)
	v_ashrrev_i32_e32 v8, s17, v8
	v_and_b32_e32 v171, 0x3030303, v8
	v_ashrrev_i32_e32 v8, s17, v9
	v_and_b32_e32 v172, 0x3030303, v8
	ds_read2_b32 v[8:9], v10 offset0:6 offset1:7
	v_add_u32_e32 v10, s18, v105
	v_dot4c_i32_i8_e32 v215, v171, v0
	v_dot4c_i32_i8_e32 v215, v172, v1
	s_waitcnt lgkmcnt(0)
	v_ashrrev_i32_e32 v8, s17, v8
	v_and_b32_e32 v173, 0x3030303, v8
	v_ashrrev_i32_e32 v8, s17, v9
	v_and_b32_e32 v174, 0x3030303, v8
	v_add_u32_e32 v8, s19, v103
	ds_read_b32 v8, v8
	v_dot4c_i32_i8_e32 v215, v173, v2
	v_dot4c_i32_i8_e32 v215, v174, v3
	s_waitcnt lgkmcnt(0)
	v_cvt_f32_f16_e32 v140, v8
	v_cvt_f32_f16_sdwa v142, v8 dst_sel:DWORD dst_unused:UNUSED_PAD src0_sel:WORD_1
	ds_read2_b32 v[8:9], v10 offset1:1
	s_waitcnt lgkmcnt(0)
	v_ashrrev_i32_e32 v8, s17, v8
	v_and_b32_e32 v178, 0x3030303, v8
	v_ashrrev_i32_e32 v8, s17, v9
	v_and_b32_e32 v175, 0x3030303, v8
	ds_read2_b32 v[8:9], v10 offset0:2 offset1:3
	v_dot4c_i32_i8_e32 v213, v178, v4
	v_dot4c_i32_i8_e32 v213, v175, v5
	s_waitcnt lgkmcnt(0)
	v_ashrrev_i32_e32 v8, s17, v8
	v_and_b32_e32 v176, 0x3030303, v8
	v_ashrrev_i32_e32 v8, s17, v9
	v_and_b32_e32 v177, 0x3030303, v8
	ds_read2_b32 v[8:9], v10 offset0:4 offset1:5
	v_dot4c_i32_i8_e32 v213, v176, v6
	v_dot4c_i32_i8_e32 v213, v177, v7
	;; [unrolled: 8-line block ×3, first 2 shown]
	s_waitcnt lgkmcnt(0)
	v_ashrrev_i32_e32 v8, s17, v8
	v_and_b32_e32 v169, 0x3030303, v8
	v_ashrrev_i32_e32 v8, s17, v9
	v_and_b32_e32 v170, 0x3030303, v8
	v_add_u32_e32 v8, s19, v107
	ds_read_b32 v8, v8
	v_dot4c_i32_i8_e32 v214, v169, v2
	v_dot4c_i32_i8_e32 v214, v170, v3
	s_waitcnt lgkmcnt(0)
	v_cvt_f32_f16_e32 v136, v8
	v_cvt_f32_f16_sdwa v138, v8 dst_sel:DWORD dst_unused:UNUSED_PAD src0_sel:WORD_1
	ds_read_b128 v[12:15], v145 offset:1024
	ds_read_b128 v[8:11], v145 offset:1040
	ds_read_u16 v154, v154 offset:25074
	ds_read_u16 v202, v202 offset:26098
	s_waitcnt lgkmcnt(3)
	v_dot4c_i32_i8_e32 v209, v194, v12
	v_dot4c_i32_i8_e32 v209, v188, v13
	s_waitcnt lgkmcnt(1)
	v_bfe_u32 v203, v154, 4, 4
	v_mul_lo_u32 v206, v203, s1
	v_dot4c_i32_i8_e32 v211, v206, v4
	v_dot4c_i32_i8_e32 v216, v206, v12
	;; [unrolled: 1-line block ×7, first 2 shown]
	v_lshrrev_b32_sdwa v203, v167, v154 dst_sel:DWORD dst_unused:UNUSED_PAD src0_sel:DWORD src1_sel:BYTE_1
	v_dot4c_i32_i8_e32 v216, v206, v14
	v_dot4c_i32_i8_e32 v209, v192, v15
	;; [unrolled: 1-line block ×4, first 2 shown]
	v_mul_lo_u32 v205, v203, s1
	v_and_b32_sdwa v203, v154, v168 dst_sel:DWORD dst_unused:UNUSED_PAD src0_sel:BYTE_1 src1_sel:DWORD
	v_and_b32_e32 v204, 15, v154
	v_dot4c_i32_i8_e32 v216, v206, v15
	v_dot4c_i32_i8_e32 v210, v185, v10
	;; [unrolled: 1-line block ×3, first 2 shown]
	v_mul_lo_u32 v154, v204, v209
	v_mul_lo_u32 v208, v203, v208
	v_dot4c_i32_i8_e32 v216, v205, v8
                                        ; kill: def $vgpr209 killed $sgpr0 killed $exec
	v_dot4c_i32_i8_e32 v210, v186, v11
	v_dot4c_i32_i8_e32 v211, v205, v1
	;; [unrolled: 1-line block ×3, first 2 shown]
	v_mad_u64_u32 v[208:209], s[16:17], v204, v155, v[208:209]
                                        ; kill: def $vgpr155 killed $sgpr0 killed $exec
	v_dot4c_i32_i8_e32 v211, v205, v2
	v_dot4c_i32_i8_e32 v216, v205, v10
	v_mad_u64_u32 v[154:155], s[16:17], v203, v210, v[154:155]
	v_dot4c_i32_i8_e32 v211, v205, v3
	v_dot4c_i32_i8_e32 v216, v205, v11
	v_cvt_f32_i32_e32 v155, v154
	v_cvt_f32_i32_e32 v154, v208
	;; [unrolled: 1-line block ×4, first 2 shown]
	v_pk_mul_f32 v[154:155], v[144:145], v[154:155] op_sel_hi:[0,1]
	v_pk_fma_f32 v[208:209], v[146:147], v[208:209], v[154:155] op_sel:[0,0,1] op_sel_hi:[0,1,0] neg_lo:[1,0,0] neg_hi:[1,0,0]
	v_mov_b32_e32 v154, v153
	v_mov_b32_e32 v155, v152
	v_pk_fma_f32 v[112:113], v[154:155], v[208:209], v[112:113]
	s_waitcnt lgkmcnt(0)
	v_bfe_u32 v208, v202, 4, 4
	v_mul_lo_u32 v211, v208, s1
	v_mov_b32_e32 v152, 0
	v_dot4c_i32_i8_e32 v218, v211, v4
	v_dot4c_i32_i8_e32 v219, v211, v12
	;; [unrolled: 1-line block ×3, first 2 shown]
	v_mov_b32_e32 v153, 0
	v_dot4c_i32_i8_e32 v218, v211, v5
	v_dot4c_i32_i8_e32 v219, v211, v13
	;; [unrolled: 1-line block ×5, first 2 shown]
	v_lshrrev_b32_sdwa v208, v167, v202 dst_sel:DWORD dst_unused:UNUSED_PAD src0_sel:DWORD src1_sel:BYTE_1
	v_dot4c_i32_i8_e32 v219, v211, v14
	v_dot4c_i32_i8_e32 v152, v189, v14
	;; [unrolled: 1-line block ×4, first 2 shown]
	v_mul_lo_u32 v210, v208, s1
	v_dot4c_i32_i8_e32 v219, v211, v15
	v_dot4c_i32_i8_e32 v152, v190, v15
	v_dot4c_i32_i8_e32 v153, v183, v10
	v_dot4c_i32_i8_e32 v218, v210, v0
	v_and_b32_sdwa v208, v202, v168 dst_sel:DWORD dst_unused:UNUSED_PAD src0_sel:BYTE_1 src1_sel:DWORD
	v_and_b32_e32 v209, 15, v202
	v_dot4c_i32_i8_e32 v219, v210, v8
	v_dot4c_i32_i8_e32 v153, v184, v11
	;; [unrolled: 1-line block ×3, first 2 shown]
	v_mul_lo_u32 v152, v209, v152
	v_mul_lo_u32 v202, v208, v212
	v_dot4c_i32_i8_e32 v219, v210, v9
	v_dot4c_i32_i8_e32 v218, v210, v2
	;; [unrolled: 1-line block ×3, first 2 shown]
	v_mad_u64_u32 v[216:217], s[16:17], v209, v201, v[202:203]
	v_mad_u64_u32 v[152:153], s[16:17], v208, v153, v[152:153]
	ds_read_u16 v201, v200 offset:27122
	v_dot4c_i32_i8_e32 v218, v210, v3
	v_dot4c_i32_i8_e32 v219, v210, v11
	v_cvt_f32_i32_e32 v153, v152
	v_cvt_f32_i32_e32 v152, v216
	;; [unrolled: 1-line block ×4, first 2 shown]
	s_waitcnt lgkmcnt(0)
	v_bfe_u32 v200, v201, 4, 4
	v_pk_mul_f32 v[152:153], v[148:149], v[152:153] op_sel_hi:[0,1]
	v_mul_lo_u32 v212, v200, s1
	v_pk_fma_f32 v[152:153], v[150:151], v[216:217], v[152:153] op_sel:[0,0,1] op_sel_hi:[0,1,0] neg_lo:[1,0,0] neg_hi:[1,0,0]
	v_mov_b32_e32 v218, 0
	v_mov_b32_e32 v219, 0
	v_pk_fma_f32 v[100:101], v[154:155], v[152:153], v[100:101]
	v_mov_b32_e32 v152, 0
	v_dot4c_i32_i8_e32 v218, v212, v4
	v_dot4c_i32_i8_e32 v219, v212, v12
	v_dot4c_i32_i8_e32 v152, v198, v12
	v_mov_b32_e32 v153, 0
	v_dot4c_i32_i8_e32 v218, v212, v5
	v_dot4c_i32_i8_e32 v219, v212, v13
	;; [unrolled: 1-line block ×5, first 2 shown]
	v_lshrrev_b32_sdwa v200, v167, v201 dst_sel:DWORD dst_unused:UNUSED_PAD src0_sel:DWORD src1_sel:BYTE_1
	v_dot4c_i32_i8_e32 v219, v212, v14
	v_dot4c_i32_i8_e32 v152, v196, v14
	;; [unrolled: 1-line block ×4, first 2 shown]
	v_mul_lo_u32 v202, v200, s1
	v_dot4c_i32_i8_e32 v219, v212, v15
	v_dot4c_i32_i8_e32 v152, v197, v15
	;; [unrolled: 1-line block ×4, first 2 shown]
	v_and_b32_sdwa v200, v201, v168 dst_sel:DWORD dst_unused:UNUSED_PAD src0_sel:BYTE_1 src1_sel:DWORD
	v_and_b32_e32 v201, 15, v201
	v_dot4c_i32_i8_e32 v219, v202, v8
	v_dot4c_i32_i8_e32 v153, v174, v11
	;; [unrolled: 1-line block ×3, first 2 shown]
	v_mul_lo_u32 v152, v201, v152
	v_mul_lo_u32 v216, v200, v215
	v_dot4c_i32_i8_e32 v219, v202, v9
	v_dot4c_i32_i8_e32 v218, v202, v2
	;; [unrolled: 1-line block ×3, first 2 shown]
	v_mad_u64_u32 v[216:217], s[16:17], v201, v207, v[216:217]
	v_mad_u64_u32 v[152:153], s[16:17], v200, v153, v[152:153]
	v_dot4c_i32_i8_e32 v218, v202, v3
	v_dot4c_i32_i8_e32 v219, v202, v11
	v_cvt_f32_i32_e32 v153, v152
	v_cvt_f32_i32_e32 v152, v216
	;; [unrolled: 1-line block ×4, first 2 shown]
	v_mov_b32_e32 v215, 0
	v_pk_mul_f32 v[152:153], v[140:141], v[152:153] op_sel_hi:[0,1]
	v_dot4c_i32_i8_e32 v215, v178, v12
	v_pk_fma_f32 v[152:153], v[142:143], v[216:217], v[152:153] op_sel:[0,0,1] op_sel_hi:[0,1,0] neg_lo:[1,0,0] neg_hi:[1,0,0]
	v_pk_fma_f32 v[76:77], v[154:155], v[152:153], v[76:77]
	ds_read_u16 v153, v199 offset:28146
	v_mov_b32_e32 v217, 0
	v_mov_b32_e32 v216, 0
	v_dot4c_i32_i8_e32 v215, v175, v13
	v_dot4c_i32_i8_e32 v216, v149, v8
	s_waitcnt lgkmcnt(0)
	v_bfe_u32 v152, v153, 4, 4
	v_mul_lo_u32 v207, v152, s1
	v_dot4c_i32_i8_e32 v217, v207, v4
	v_lshrrev_b32_sdwa v4, v167, v153 dst_sel:DWORD dst_unused:UNUSED_PAD src0_sel:DWORD src1_sel:BYTE_1
	v_mul_lo_u32 v199, v4, s1
	v_mov_b32_e32 v4, 0
	v_dot4c_i32_i8_e32 v217, v207, v5
	v_dot4c_i32_i8_e32 v4, v207, v12
	;; [unrolled: 1-line block ×13, first 2 shown]
	v_and_b32_sdwa v152, v153, v168 dst_sel:DWORD dst_unused:UNUSED_PAD src0_sel:BYTE_1 src1_sel:DWORD
	v_and_b32_e32 v153, 15, v153
	v_dot4c_i32_i8_e32 v4, v199, v8
	v_dot4c_i32_i8_e32 v216, v170, v11
	;; [unrolled: 1-line block ×3, first 2 shown]
	v_mul_lo_u32 v0, v153, v215
	v_mul_lo_u32 v2, v152, v214
	v_dot4c_i32_i8_e32 v4, v199, v9
                                        ; kill: def $vgpr1 killed $sgpr0 killed $exec
	v_dot4c_i32_i8_e32 v217, v199, v3
	v_dot4c_i32_i8_e32 v4, v199, v10
	v_mad_u64_u32 v[2:3], s[16:17], v153, v213, v[2:3]
	v_mad_u64_u32 v[0:1], s[16:17], v152, v216, v[0:1]
	v_dot4c_i32_i8_e32 v4, v199, v11
	v_cvt_f32_i32_e32 v1, v0
	v_cvt_f32_i32_e32 v0, v2
	;; [unrolled: 1-line block ×4, first 2 shown]
	v_mov_b32_e32 v14, 0
	v_pk_mul_f32 v[0:1], v[136:137], v[0:1] op_sel_hi:[0,1]
	v_mov_b32_e32 v214, 0
	v_pk_fma_f32 v[0:1], v[138:139], v[2:3], v[0:1] op_sel:[0,0,1] op_sel_hi:[0,1,0] neg_lo:[1,0,0] neg_hi:[1,0,0]
	v_pk_fma_f32 v[52:53], v[154:155], v[0:1], v[52:53]
	ds_read2_b32 v[8:9], v147 offset0:64 offset1:96
	ds_read_b128 v[0:3], v145 offset:2048
	ds_read_b128 v[4:7], v145 offset:2064
	v_mov_b32_e32 v154, 0
	v_mov_b32_e32 v217, 0
	;; [unrolled: 1-line block ×3, first 2 shown]
	s_waitcnt lgkmcnt(1)
	v_dot4c_i32_i8_e32 v14, v206, v0
	v_dot4c_i32_i8_e32 v154, v211, v0
	;; [unrolled: 1-line block ×13, first 2 shown]
	v_mov_b32_e32 v12, 0
	v_mov_b32_e32 v15, 0
	v_dot4c_i32_i8_e32 v154, v211, v3
	v_mov_b32_e32 v155, 0
	v_mov_b32_e32 v213, 0
	v_dot4c_i32_i8_e32 v214, v212, v3
	;; [unrolled: 3-line block ×3, first 2 shown]
	v_mov_b32_e32 v218, 0
	v_dot4c_i32_i8_e32 v11, v194, v0
	s_waitcnt lgkmcnt(0)
	v_dot4c_i32_i8_e32 v12, v181, v4
	v_dot4c_i32_i8_e32 v14, v205, v4
	v_dot4c_i32_i8_e32 v15, v193, v0
	v_dot4c_i32_i8_e32 v155, v179, v4
	v_dot4c_i32_i8_e32 v154, v210, v4
	v_dot4c_i32_i8_e32 v213, v198, v0
	v_dot4c_i32_i8_e32 v215, v171, v4
	v_dot4c_i32_i8_e32 v214, v202, v4
	v_dot4c_i32_i8_e32 v216, v178, v0
	v_dot4c_i32_i8_e32 v218, v149, v4
	v_dot4c_i32_i8_e32 v217, v199, v4
	v_dot4c_i32_i8_e32 v11, v188, v1
	v_dot4c_i32_i8_e32 v12, v182, v5
	v_dot4c_i32_i8_e32 v14, v205, v5
	v_dot4c_i32_i8_e32 v15, v187, v1
	v_dot4c_i32_i8_e32 v155, v180, v5
	v_dot4c_i32_i8_e32 v154, v210, v5
	v_dot4c_i32_i8_e32 v213, v195, v1
	v_dot4c_i32_i8_e32 v215, v172, v5
	v_dot4c_i32_i8_e32 v214, v202, v5
	v_dot4c_i32_i8_e32 v216, v175, v1
	v_dot4c_i32_i8_e32 v218, v151, v5
	v_dot4c_i32_i8_e32 v217, v199, v5
	v_dot4c_i32_i8_e32 v11, v191, v2
	v_dot4c_i32_i8_e32 v12, v185, v6
	v_dot4c_i32_i8_e32 v14, v205, v6
	v_dot4c_i32_i8_e32 v15, v189, v2
	v_dot4c_i32_i8_e32 v155, v183, v6
	v_dot4c_i32_i8_e32 v154, v210, v6
	v_dot4c_i32_i8_e32 v213, v196, v2
	v_dot4c_i32_i8_e32 v215, v173, v6
	v_dot4c_i32_i8_e32 v214, v202, v6
	v_dot4c_i32_i8_e32 v216, v176, v2
	v_dot4c_i32_i8_e32 v218, v169, v6
	v_dot4c_i32_i8_e32 v217, v199, v6
	v_dot4c_i32_i8_e32 v11, v192, v3
	v_dot4c_i32_i8_e32 v12, v186, v7
	v_dot4c_i32_i8_e32 v14, v205, v7
	v_dot4c_i32_i8_e32 v15, v190, v3
	v_dot4c_i32_i8_e32 v155, v184, v7
	v_dot4c_i32_i8_e32 v154, v210, v7
	v_dot4c_i32_i8_e32 v213, v197, v3
	v_dot4c_i32_i8_e32 v215, v174, v7
	v_dot4c_i32_i8_e32 v214, v202, v7
	v_dot4c_i32_i8_e32 v216, v177, v3
	v_dot4c_i32_i8_e32 v218, v170, v7
	v_dot4c_i32_i8_e32 v217, v199, v7
	ds_read_b128 v[4:7], v145 offset:3072
	ds_read_b128 v[0:3], v145 offset:3088
	v_mov_b32_e32 v219, 0
	v_mov_b32_e32 v10, 0
	v_mul_lo_u32 v12, v12, v203
	s_waitcnt lgkmcnt(1)
	v_dot4c_i32_i8_e32 v219, v206, v4
	v_dot4c_i32_i8_e32 v219, v206, v5
	;; [unrolled: 1-line block ×6, first 2 shown]
	s_waitcnt lgkmcnt(0)
	v_dot4c_i32_i8_e32 v220, v181, v0
	v_dot4c_i32_i8_e32 v10, v191, v6
	;; [unrolled: 1-line block ×7, first 2 shown]
                                        ; kill: def $vgpr13 killed $sgpr0 killed $exec
	v_dot4c_i32_i8_e32 v219, v205, v2
	v_dot4c_i32_i8_e32 v220, v186, v3
	v_mul_lo_u32 v10, v10, v204
	v_mad_u64_u32 v[12:13], s[16:17], v11, v204, v[12:13]
                                        ; kill: def $vgpr11 killed $sgpr0 killed $exec
	v_dot4c_i32_i8_e32 v219, v205, v3
	v_mad_u64_u32 v[10:11], s[16:17], v220, v203, v[10:11]
	v_cvt_f32_i32_e32 v11, v10
	v_cvt_f32_i32_e32 v10, v12
	;; [unrolled: 1-line block ×4, first 2 shown]
	v_mov_b32_e32 v14, 0
	v_dot4c_i32_i8_e32 v14, v211, v4
	v_dot4c_i32_i8_e32 v14, v211, v5
	v_pk_mul_f32 v[12:13], v[146:147], v[12:13] op_sel_hi:[0,1]
	v_pk_fma_f32 v[10:11], v[144:145], v[10:11], v[12:13] op_sel_hi:[0,1,1] neg_lo:[0,0,1] neg_hi:[0,0,1]
	v_pk_fma_f32 v[38:39], v[8:9], v[10:11], v[38:39]
	v_mov_b32_e32 v10, 0
	v_dot4c_i32_i8_e32 v10, v193, v4
	v_dot4c_i32_i8_e32 v14, v211, v6
	v_mov_b32_e32 v11, 0
	v_dot4c_i32_i8_e32 v10, v187, v5
	v_dot4c_i32_i8_e32 v14, v211, v7
	;; [unrolled: 1-line block ×11, first 2 shown]
	v_mul_lo_u32 v10, v10, v209
	v_mul_lo_u32 v12, v155, v208
                                        ; kill: def $vgpr13 killed $sgpr0 killed $exec
	v_dot4c_i32_i8_e32 v14, v210, v3
	v_mad_u64_u32 v[12:13], s[16:17], v15, v209, v[12:13]
	v_mad_u64_u32 v[10:11], s[16:17], v11, v208, v[10:11]
	v_cvt_f32_i32_e32 v11, v10
	v_cvt_f32_i32_e32 v10, v12
	;; [unrolled: 1-line block ×4, first 2 shown]
	v_mov_b32_e32 v14, 0
	v_dot4c_i32_i8_e32 v14, v212, v4
	v_dot4c_i32_i8_e32 v14, v212, v5
	v_pk_mul_f32 v[12:13], v[150:151], v[12:13] op_sel_hi:[0,1]
	v_pk_fma_f32 v[10:11], v[148:149], v[10:11], v[12:13] op_sel_hi:[0,1,1] neg_lo:[0,0,1] neg_hi:[0,0,1]
	v_pk_fma_f32 v[36:37], v[8:9], v[10:11], v[36:37]
	v_mov_b32_e32 v10, 0
	v_dot4c_i32_i8_e32 v10, v198, v4
	v_dot4c_i32_i8_e32 v14, v212, v6
	v_mov_b32_e32 v11, 0
	v_dot4c_i32_i8_e32 v10, v195, v5
	v_dot4c_i32_i8_e32 v14, v212, v7
	;; [unrolled: 1-line block ×11, first 2 shown]
	v_mul_lo_u32 v10, v10, v201
	v_mul_lo_u32 v12, v215, v200
                                        ; kill: def $vgpr13 killed $sgpr0 killed $exec
	v_dot4c_i32_i8_e32 v14, v202, v3
	v_mad_u64_u32 v[12:13], s[16:17], v213, v201, v[12:13]
	v_mad_u64_u32 v[10:11], s[16:17], v11, v200, v[10:11]
	v_cvt_f32_i32_e32 v11, v10
	v_cvt_f32_i32_e32 v10, v12
	;; [unrolled: 1-line block ×4, first 2 shown]
	v_mov_b32_e32 v14, 0
	v_mov_b32_e32 v154, 0
	;; [unrolled: 1-line block ×3, first 2 shown]
	v_pk_mul_f32 v[12:13], v[142:143], v[12:13] op_sel_hi:[0,1]
	v_pk_fma_f32 v[10:11], v[140:141], v[10:11], v[12:13] op_sel_hi:[0,1,1] neg_lo:[0,0,1] neg_hi:[0,0,1]
	v_pk_fma_f32 v[34:35], v[8:9], v[10:11], v[34:35]
	v_mov_b32_e32 v11, 0
	v_dot4c_i32_i8_e32 v11, v207, v4
	v_mov_b32_e32 v10, 0
	v_dot4c_i32_i8_e32 v11, v207, v5
	v_dot4c_i32_i8_e32 v10, v178, v4
	;; [unrolled: 1-line block ×3, first 2 shown]
	v_mov_b32_e32 v4, 0
	v_dot4c_i32_i8_e32 v10, v175, v5
	v_dot4c_i32_i8_e32 v11, v207, v7
	;; [unrolled: 1-line block ×11, first 2 shown]
	v_mul_lo_u32 v0, v10, v153
	v_mul_lo_u32 v2, v218, v152
                                        ; kill: def $vgpr1 killed $sgpr0 killed $exec
	v_dot4c_i32_i8_e32 v11, v199, v3
	v_mad_u64_u32 v[2:3], s[16:17], v216, v153, v[2:3]
	v_mad_u64_u32 v[0:1], s[16:17], v4, v152, v[0:1]
	v_cvt_f32_i32_e32 v1, v0
	v_cvt_f32_i32_e32 v0, v2
	;; [unrolled: 1-line block ×4, first 2 shown]
	v_mov_b32_e32 v217, 0
	v_mov_b32_e32 v11, 0
	;; [unrolled: 1-line block ×3, first 2 shown]
	v_pk_mul_f32 v[2:3], v[138:139], v[2:3] op_sel_hi:[0,1]
	v_pk_fma_f32 v[0:1], v[136:137], v[0:1], v[2:3] op_sel_hi:[0,1,1] neg_lo:[0,0,1] neg_hi:[0,0,1]
	v_pk_fma_f32 v[32:33], v[8:9], v[0:1], v[32:33]
	ds_read2_b32 v[8:9], v147 offset0:128 offset1:160
	ds_read_b128 v[0:3], v145 offset:4096
	ds_read_b128 v[4:7], v145 offset:4112
	v_mov_b32_e32 v15, 0
	v_mov_b32_e32 v155, 0
	;; [unrolled: 1-line block ×3, first 2 shown]
	s_waitcnt lgkmcnt(1)
	v_dot4c_i32_i8_e32 v14, v206, v0
	v_dot4c_i32_i8_e32 v154, v211, v0
	;; [unrolled: 1-line block ×15, first 2 shown]
	v_mov_b32_e32 v215, 0
	v_mov_b32_e32 v216, 0
	v_dot4c_i32_i8_e32 v217, v207, v3
	v_mov_b32_e32 v218, 0
	v_dot4c_i32_i8_e32 v11, v194, v0
	s_waitcnt lgkmcnt(0)
	v_dot4c_i32_i8_e32 v12, v181, v4
	v_dot4c_i32_i8_e32 v14, v205, v4
	;; [unrolled: 1-line block ×47, first 2 shown]
	ds_read_b128 v[4:7], v145 offset:5120
	ds_read_b128 v[0:3], v145 offset:5136
	v_mov_b32_e32 v219, 0
	v_mov_b32_e32 v10, 0
	v_mov_b32_e32 v220, 0
	s_waitcnt lgkmcnt(1)
	v_dot4c_i32_i8_e32 v219, v206, v4
	v_dot4c_i32_i8_e32 v219, v206, v5
	;; [unrolled: 1-line block ×6, first 2 shown]
	s_waitcnt lgkmcnt(0)
	v_dot4c_i32_i8_e32 v220, v181, v0
	v_dot4c_i32_i8_e32 v10, v191, v6
	;; [unrolled: 1-line block ×7, first 2 shown]
	v_mul_lo_u32 v12, v12, v203
                                        ; kill: def $vgpr13 killed $sgpr0 killed $exec
	v_dot4c_i32_i8_e32 v219, v205, v2
	v_dot4c_i32_i8_e32 v220, v186, v3
	v_mul_lo_u32 v10, v10, v204
	v_mad_u64_u32 v[12:13], s[16:17], v11, v204, v[12:13]
                                        ; kill: def $vgpr11 killed $sgpr0 killed $exec
	v_dot4c_i32_i8_e32 v219, v205, v3
	v_mad_u64_u32 v[10:11], s[16:17], v220, v203, v[10:11]
	v_cvt_f32_i32_e32 v11, v10
	v_cvt_f32_i32_e32 v10, v12
	;; [unrolled: 1-line block ×4, first 2 shown]
	v_mov_b32_e32 v14, 0
	v_dot4c_i32_i8_e32 v14, v211, v4
	v_dot4c_i32_i8_e32 v14, v211, v5
	v_pk_mul_f32 v[12:13], v[146:147], v[12:13] op_sel_hi:[0,1]
	v_pk_fma_f32 v[10:11], v[144:145], v[10:11], v[12:13] op_sel_hi:[0,1,1] neg_lo:[0,0,1] neg_hi:[0,0,1]
	v_pk_fma_f32 v[30:31], v[8:9], v[10:11], v[30:31]
	v_mov_b32_e32 v10, 0
	v_dot4c_i32_i8_e32 v10, v193, v4
	v_dot4c_i32_i8_e32 v14, v211, v6
	v_mov_b32_e32 v11, 0
	v_dot4c_i32_i8_e32 v10, v187, v5
	v_dot4c_i32_i8_e32 v14, v211, v7
	;; [unrolled: 1-line block ×11, first 2 shown]
	v_mul_lo_u32 v10, v10, v209
	v_mul_lo_u32 v12, v155, v208
                                        ; kill: def $vgpr13 killed $sgpr0 killed $exec
	v_dot4c_i32_i8_e32 v14, v210, v3
	v_mad_u64_u32 v[12:13], s[16:17], v15, v209, v[12:13]
	v_mad_u64_u32 v[10:11], s[16:17], v11, v208, v[10:11]
	v_cvt_f32_i32_e32 v11, v10
	v_cvt_f32_i32_e32 v10, v12
	;; [unrolled: 1-line block ×4, first 2 shown]
	v_mov_b32_e32 v14, 0
	v_dot4c_i32_i8_e32 v14, v212, v4
	v_dot4c_i32_i8_e32 v14, v212, v5
	v_pk_mul_f32 v[12:13], v[150:151], v[12:13] op_sel_hi:[0,1]
	v_pk_fma_f32 v[10:11], v[148:149], v[10:11], v[12:13] op_sel_hi:[0,1,1] neg_lo:[0,0,1] neg_hi:[0,0,1]
	v_pk_fma_f32 v[28:29], v[8:9], v[10:11], v[28:29]
	v_mov_b32_e32 v10, 0
	v_dot4c_i32_i8_e32 v10, v198, v4
	v_dot4c_i32_i8_e32 v14, v212, v6
	v_mov_b32_e32 v11, 0
	v_dot4c_i32_i8_e32 v10, v195, v5
	v_dot4c_i32_i8_e32 v14, v212, v7
	;; [unrolled: 1-line block ×11, first 2 shown]
	v_mul_lo_u32 v10, v10, v201
	v_mul_lo_u32 v12, v215, v200
                                        ; kill: def $vgpr13 killed $sgpr0 killed $exec
	v_dot4c_i32_i8_e32 v14, v202, v3
	v_mad_u64_u32 v[12:13], s[16:17], v213, v201, v[12:13]
	v_mad_u64_u32 v[10:11], s[16:17], v11, v200, v[10:11]
	v_cvt_f32_i32_e32 v11, v10
	v_cvt_f32_i32_e32 v10, v12
	;; [unrolled: 1-line block ×4, first 2 shown]
	v_mov_b32_e32 v213, 0
	v_mov_b32_e32 v215, 0
	;; [unrolled: 1-line block ×3, first 2 shown]
	v_pk_mul_f32 v[12:13], v[142:143], v[12:13] op_sel_hi:[0,1]
	v_pk_fma_f32 v[10:11], v[140:141], v[10:11], v[12:13] op_sel_hi:[0,1,1] neg_lo:[0,0,1] neg_hi:[0,0,1]
	v_pk_fma_f32 v[26:27], v[8:9], v[10:11], v[26:27]
	v_mov_b32_e32 v11, 0
	v_dot4c_i32_i8_e32 v11, v207, v4
	v_mov_b32_e32 v10, 0
	v_dot4c_i32_i8_e32 v11, v207, v5
	v_dot4c_i32_i8_e32 v10, v178, v4
	;; [unrolled: 1-line block ×3, first 2 shown]
	v_mov_b32_e32 v4, 0
	v_dot4c_i32_i8_e32 v10, v175, v5
	v_dot4c_i32_i8_e32 v11, v207, v7
	;; [unrolled: 1-line block ×11, first 2 shown]
	v_mul_lo_u32 v0, v10, v153
	v_mul_lo_u32 v2, v218, v152
                                        ; kill: def $vgpr1 killed $sgpr0 killed $exec
	v_dot4c_i32_i8_e32 v11, v199, v3
	v_mad_u64_u32 v[2:3], s[16:17], v216, v153, v[2:3]
	v_mad_u64_u32 v[0:1], s[16:17], v4, v152, v[0:1]
	v_cvt_f32_i32_e32 v1, v0
	v_cvt_f32_i32_e32 v0, v2
	;; [unrolled: 1-line block ×4, first 2 shown]
	v_mov_b32_e32 v13, 0
	v_mov_b32_e32 v10, 0
	;; [unrolled: 1-line block ×3, first 2 shown]
	v_pk_mul_f32 v[2:3], v[138:139], v[2:3] op_sel_hi:[0,1]
	v_pk_fma_f32 v[0:1], v[136:137], v[0:1], v[2:3] op_sel_hi:[0,1,1] neg_lo:[0,0,1] neg_hi:[0,0,1]
	v_pk_fma_f32 v[24:25], v[8:9], v[0:1], v[24:25]
	ds_read2_b32 v[8:9], v147 offset0:192 offset1:224
	ds_read_b128 v[0:3], v145 offset:6144
	ds_read_b128 v[4:7], v145 offset:6160
	v_mov_b32_e32 v214, 0
	v_mov_b32_e32 v216, 0
	;; [unrolled: 1-line block ×3, first 2 shown]
	s_waitcnt lgkmcnt(1)
	v_dot4c_i32_i8_e32 v213, v206, v0
	v_dot4c_i32_i8_e32 v215, v211, v0
	;; [unrolled: 1-line block ×15, first 2 shown]
	v_mov_b32_e32 v217, 0
	v_mov_b32_e32 v11, 0
	v_dot4c_i32_i8_e32 v10, v207, v3
	v_mov_b32_e32 v12, 0
	v_dot4c_i32_i8_e32 v15, v194, v0
	s_waitcnt lgkmcnt(0)
	v_dot4c_i32_i8_e32 v155, v181, v4
	v_dot4c_i32_i8_e32 v213, v205, v4
	;; [unrolled: 1-line block ×47, first 2 shown]
	ds_read_b128 v[4:7], v145 offset:7168
	ds_read_b128 v[0:3], v145 offset:7184
	v_mov_b32_e32 v154, 0
	s_waitcnt lgkmcnt(1)
	v_dot4c_i32_i8_e32 v154, v194, v4
	v_mov_b32_e32 v194, 0
	v_dot4c_i32_i8_e32 v194, v206, v4
	v_dot4c_i32_i8_e32 v194, v206, v5
	;; [unrolled: 1-line block ×5, first 2 shown]
	v_mov_b32_e32 v188, 0
	s_waitcnt lgkmcnt(0)
	v_dot4c_i32_i8_e32 v188, v181, v0
	v_dot4c_i32_i8_e32 v194, v205, v0
	;; [unrolled: 1-line block ×8, first 2 shown]
	v_mul_lo_u32 v182, v155, v203
	v_dot4c_i32_i8_e32 v188, v186, v3
	v_dot4c_i32_i8_e32 v194, v205, v3
	v_mul_lo_u32 v154, v154, v204
                                        ; kill: def $vgpr155 killed $sgpr0 killed $exec
	v_mad_u64_u32 v[204:205], s[16:17], v15, v204, v[182:183]
	v_mov_b32_e32 v182, 0
	v_mad_u64_u32 v[154:155], s[16:17], v188, v203, v[154:155]
	v_dot4c_i32_i8_e32 v182, v211, v4
	v_cvt_f32_i32_e32 v155, v154
	v_cvt_f32_i32_e32 v154, v204
	;; [unrolled: 1-line block ×4, first 2 shown]
	v_mov_b32_e32 v15, 0
	v_dot4c_i32_i8_e32 v182, v211, v5
	v_dot4c_i32_i8_e32 v15, v193, v4
	;; [unrolled: 1-line block ×3, first 2 shown]
	v_mov_b32_e32 v181, 0
	v_dot4c_i32_i8_e32 v15, v187, v5
	v_dot4c_i32_i8_e32 v182, v211, v7
	;; [unrolled: 1-line block ×6, first 2 shown]
	v_pk_mul_f32 v[204:205], v[146:147], v[204:205] op_sel_hi:[0,1]
	v_dot4c_i32_i8_e32 v15, v190, v7
	v_dot4c_i32_i8_e32 v182, v210, v1
	;; [unrolled: 1-line block ×3, first 2 shown]
	v_pk_fma_f32 v[154:155], v[144:145], v[154:155], v[204:205] op_sel_hi:[0,1,1] neg_lo:[0,0,1] neg_hi:[0,0,1]
	v_dot4c_i32_i8_e32 v182, v210, v2
	v_dot4c_i32_i8_e32 v181, v184, v3
	v_mul_lo_u32 v144, v15, v209
	v_mul_lo_u32 v146, v216, v208
	v_pk_fma_f32 v[22:23], v[8:9], v[154:155], v[22:23]
	v_dot4c_i32_i8_e32 v182, v210, v3
	v_mad_u64_u32 v[154:155], s[16:17], v214, v209, v[146:147]
	v_mad_u64_u32 v[180:181], s[16:17], v181, v208, v[144:145]
	v_cvt_f32_i32_e32 v155, v180
	v_cvt_f32_i32_e32 v181, v182
	;; [unrolled: 1-line block ×4, first 2 shown]
	v_mov_b32_e32 v15, 0
	v_dot4c_i32_i8_e32 v15, v198, v4
	v_pk_mul_f32 v[180:181], v[150:151], v[180:181] op_sel_hi:[0,1]
	v_pk_fma_f32 v[154:155], v[148:149], v[154:155], v[180:181] op_sel_hi:[0,1,1] neg_lo:[0,0,1] neg_hi:[0,0,1]
	v_mov_b32_e32 v148, 0
	v_dot4c_i32_i8_e32 v148, v212, v4
	v_dot4c_i32_i8_e32 v148, v212, v5
	v_dot4c_i32_i8_e32 v148, v212, v6
	v_mov_b32_e32 v150, 0
	v_dot4c_i32_i8_e32 v15, v195, v5
	v_dot4c_i32_i8_e32 v148, v212, v7
	;; [unrolled: 1-line block ×11, first 2 shown]
	v_mul_lo_u32 v144, v15, v201
	v_mul_lo_u32 v146, v217, v200
	v_pk_fma_f32 v[20:21], v[8:9], v[154:155], v[20:21]
	v_dot4c_i32_i8_e32 v148, v202, v3
	v_mad_u64_u32 v[14:15], s[16:17], v14, v201, v[146:147]
	v_mad_u64_u32 v[154:155], s[16:17], v150, v200, v[144:145]
	v_cvt_f32_i32_e32 v15, v154
	v_cvt_f32_i32_e32 v155, v148
	;; [unrolled: 1-line block ×4, first 2 shown]
	v_mov_b32_e32 v13, 0
	v_dot4c_i32_i8_e32 v13, v178, v4
	v_pk_mul_f32 v[154:155], v[142:143], v[154:155] op_sel_hi:[0,1]
	v_pk_fma_f32 v[14:15], v[140:141], v[14:15], v[154:155] op_sel_hi:[0,1,1] neg_lo:[0,0,1] neg_hi:[0,0,1]
	v_pk_fma_f32 v[18:19], v[8:9], v[14:15], v[18:19]
	v_mov_b32_e32 v14, 0
	v_dot4c_i32_i8_e32 v14, v207, v4
	v_dot4c_i32_i8_e32 v14, v207, v5
	;; [unrolled: 1-line block ×3, first 2 shown]
	v_mov_b32_e32 v4, 0
	v_dot4c_i32_i8_e32 v13, v175, v5
	v_dot4c_i32_i8_e32 v14, v207, v7
	;; [unrolled: 1-line block ×11, first 2 shown]
	v_mul_lo_u32 v0, v13, v153
	v_mul_lo_u32 v2, v12, v152
                                        ; kill: def $vgpr1 killed $sgpr0 killed $exec
	v_dot4c_i32_i8_e32 v14, v199, v3
	v_mad_u64_u32 v[2:3], s[16:17], v11, v153, v[2:3]
	v_mad_u64_u32 v[0:1], s[16:17], v4, v152, v[0:1]
	v_cvt_f32_i32_e32 v1, v0
	v_cvt_f32_i32_e32 v0, v2
	;; [unrolled: 1-line block ×4, first 2 shown]
	v_add_u32_e32 v147, 4, v147
	v_add_u32_e32 v145, 32, v145
	s_mov_b32 s16, s11
	v_pk_mul_f32 v[2:3], v[138:139], v[2:3] op_sel_hi:[0,1]
	v_pk_fma_f32 v[0:1], v[136:137], v[0:1], v[2:3] op_sel_hi:[0,1,1] neg_lo:[0,0,1] neg_hi:[0,0,1]
	v_pk_fma_f32 v[16:17], v[8:9], v[0:1], v[16:17]
	s_cbranch_scc1 .LBB168_14
; %bb.15:                               ;   in Loop: Header=BB168_6 Depth=1
	s_barrier
	s_branch .LBB168_5
.LBB168_16:
	v_mov_b32_e32 v1, v43
.LBB168_17:
	v_cmp_gt_u32_e32 vcc, s10, v45
	s_and_saveexec_b64 s[0:1], vcc
	s_cbranch_execz .LBB168_68
; %bb.18:
	v_add_u32_e32 v0, s6, v41
	v_mul_lo_u32 v5, v45, s14
	v_cmp_gt_u32_e32 vcc, s14, v0
	s_and_saveexec_b64 s[2:3], vcc
	s_cbranch_execz .LBB168_20
; %bb.19:
	v_bfe_u32 v2, v113, 16, 1
	s_movk_i32 s0, 0x7fff
	v_add3_u32 v2, v113, v2, s0
	v_lshrrev_b32_e32 v2, 16, v2
	v_mov_b32_e32 v3, 0x7fc0
	v_cmp_o_f32_e64 s[0:1], v113, v113
	v_cndmask_b32_e64 v4, v3, v2, s[0:1]
	v_add_u32_e32 v2, v0, v5
	v_mov_b32_e32 v3, 0
	v_lshlrev_b64 v[2:3], 1, v[2:3]
	s_waitcnt lgkmcnt(0)
	v_mov_b32_e32 v6, s13
	v_add_co_u32_e64 v2, s[0:1], s12, v2
	v_addc_co_u32_e64 v3, s[0:1], v6, v3, s[0:1]
	global_store_short v[2:3], v4, off
.LBB168_20:
	s_or_b64 exec, exec, s[2:3]
	v_add_u32_e32 v2, 32, v0
	v_cmp_gt_u32_e64 s[0:1], s14, v2
	s_and_saveexec_b64 s[4:5], s[0:1]
	s_cbranch_execz .LBB168_22
; %bb.21:
	v_bfe_u32 v3, v101, 16, 1
	s_movk_i32 s2, 0x7fff
	v_add3_u32 v3, v101, v3, s2
	v_add_u32_e32 v6, v2, v5
	v_mov_b32_e32 v7, 0
	v_lshrrev_b32_e32 v3, 16, v3
	v_mov_b32_e32 v4, 0x7fc0
	v_cmp_o_f32_e64 s[2:3], v101, v101
	v_lshlrev_b64 v[6:7], 1, v[6:7]
	v_cndmask_b32_e64 v3, v4, v3, s[2:3]
	s_waitcnt lgkmcnt(0)
	v_mov_b32_e32 v4, s13
	v_add_co_u32_e64 v6, s[2:3], s12, v6
	v_addc_co_u32_e64 v7, s[2:3], v4, v7, s[2:3]
	global_store_short v[6:7], v3, off
.LBB168_22:
	s_or_b64 exec, exec, s[4:5]
	v_add_u32_e32 v3, 64, v0
	v_cmp_gt_u32_e64 s[2:3], s14, v3
	s_and_saveexec_b64 s[6:7], s[2:3]
	s_cbranch_execz .LBB168_24
; %bb.23:
	v_bfe_u32 v4, v77, 16, 1
	s_movk_i32 s4, 0x7fff
	v_add3_u32 v4, v77, v4, s4
	v_lshrrev_b32_e32 v4, 16, v4
	v_mov_b32_e32 v6, 0x7fc0
	v_cmp_o_f32_e64 s[4:5], v77, v77
	v_cndmask_b32_e64 v4, v6, v4, s[4:5]
	v_add_u32_e32 v6, v3, v5
	v_mov_b32_e32 v7, 0
	v_lshlrev_b64 v[6:7], 1, v[6:7]
	s_waitcnt lgkmcnt(0)
	v_mov_b32_e32 v8, s13
	v_add_co_u32_e64 v6, s[4:5], s12, v6
	v_addc_co_u32_e64 v7, s[4:5], v8, v7, s[4:5]
	global_store_short v[6:7], v4, off
.LBB168_24:
	s_or_b64 exec, exec, s[6:7]
	v_add_u32_e32 v4, 0x60, v0
	v_cmp_gt_u32_e64 s[4:5], s14, v4
	s_and_saveexec_b64 s[8:9], s[4:5]
	s_cbranch_execz .LBB168_26
; %bb.25:
	v_bfe_u32 v6, v53, 16, 1
	s_movk_i32 s6, 0x7fff
	v_add3_u32 v6, v53, v6, s6
	v_lshrrev_b32_e32 v6, 16, v6
	v_mov_b32_e32 v7, 0x7fc0
	v_cmp_o_f32_e64 s[6:7], v53, v53
	v_cndmask_b32_e64 v8, v7, v6, s[6:7]
	v_add_u32_e32 v6, v4, v5
	v_mov_b32_e32 v7, 0
	v_lshlrev_b64 v[6:7], 1, v[6:7]
	s_waitcnt lgkmcnt(0)
	v_mov_b32_e32 v5, s13
	v_add_co_u32_e64 v6, s[6:7], s12, v6
	v_addc_co_u32_e64 v7, s[6:7], v5, v7, s[6:7]
	global_store_short v[6:7], v8, off
.LBB168_26:
	s_or_b64 exec, exec, s[8:9]
	v_add3_u32 v5, v1, s15, 8
	v_cmp_gt_u32_e64 s[6:7], s10, v5
	s_and_b64 exec, exec, s[6:7]
	s_cbranch_execz .LBB168_68
; %bb.27:
	v_mul_lo_u32 v5, v5, s14
	s_and_saveexec_b64 s[8:9], vcc
	s_cbranch_execnz .LBB168_69
; %bb.28:
	s_or_b64 exec, exec, s[8:9]
	s_and_saveexec_b64 s[8:9], s[0:1]
	s_cbranch_execnz .LBB168_70
.LBB168_29:
	s_or_b64 exec, exec, s[8:9]
	s_and_saveexec_b64 s[8:9], s[2:3]
	s_cbranch_execnz .LBB168_71
.LBB168_30:
	s_or_b64 exec, exec, s[8:9]
	s_and_saveexec_b64 s[8:9], s[4:5]
	s_cbranch_execz .LBB168_32
.LBB168_31:
	v_bfe_u32 v6, v52, 16, 1
	s_movk_i32 s6, 0x7fff
	v_add3_u32 v6, v52, v6, s6
	v_lshrrev_b32_e32 v6, 16, v6
	v_mov_b32_e32 v7, 0x7fc0
	v_cmp_o_f32_e64 s[6:7], v52, v52
	v_cndmask_b32_e64 v8, v7, v6, s[6:7]
	v_add_u32_e32 v6, v5, v4
	v_mov_b32_e32 v7, 0
	v_lshlrev_b64 v[6:7], 1, v[6:7]
	s_waitcnt lgkmcnt(0)
	v_mov_b32_e32 v5, s13
	v_add_co_u32_e64 v6, s[6:7], s12, v6
	v_addc_co_u32_e64 v7, s[6:7], v5, v7, s[6:7]
	global_store_short v[6:7], v8, off
.LBB168_32:
	s_or_b64 exec, exec, s[8:9]
	v_add3_u32 v5, v1, s15, 16
	v_cmp_gt_u32_e64 s[6:7], s10, v5
	s_and_b64 exec, exec, s[6:7]
	s_cbranch_execz .LBB168_68
; %bb.33:
	v_mul_lo_u32 v5, v5, s14
	s_and_saveexec_b64 s[8:9], vcc
	s_cbranch_execnz .LBB168_72
; %bb.34:
	s_or_b64 exec, exec, s[8:9]
	s_and_saveexec_b64 s[8:9], s[0:1]
	s_cbranch_execnz .LBB168_73
.LBB168_35:
	s_or_b64 exec, exec, s[8:9]
	s_and_saveexec_b64 s[8:9], s[2:3]
	s_cbranch_execnz .LBB168_74
.LBB168_36:
	s_or_b64 exec, exec, s[8:9]
	s_and_saveexec_b64 s[8:9], s[4:5]
	s_cbranch_execz .LBB168_38
.LBB168_37:
	v_bfe_u32 v6, v32, 16, 1
	s_movk_i32 s6, 0x7fff
	v_add3_u32 v6, v32, v6, s6
	v_lshrrev_b32_e32 v6, 16, v6
	v_mov_b32_e32 v7, 0x7fc0
	v_cmp_o_f32_e64 s[6:7], v32, v32
	v_cndmask_b32_e64 v8, v7, v6, s[6:7]
	v_add_u32_e32 v6, v5, v4
	v_mov_b32_e32 v7, 0
	v_lshlrev_b64 v[6:7], 1, v[6:7]
	s_waitcnt lgkmcnt(0)
	v_mov_b32_e32 v5, s13
	v_add_co_u32_e64 v6, s[6:7], s12, v6
	v_addc_co_u32_e64 v7, s[6:7], v5, v7, s[6:7]
	global_store_short v[6:7], v8, off
.LBB168_38:
	s_or_b64 exec, exec, s[8:9]
	v_add3_u32 v5, v1, s15, 24
	v_cmp_gt_u32_e64 s[6:7], s10, v5
	s_and_b64 exec, exec, s[6:7]
	s_cbranch_execz .LBB168_68
; %bb.39:
	v_mul_lo_u32 v5, v5, s14
	s_and_saveexec_b64 s[8:9], vcc
	s_cbranch_execnz .LBB168_75
; %bb.40:
	s_or_b64 exec, exec, s[8:9]
	s_and_saveexec_b64 s[8:9], s[0:1]
	s_cbranch_execnz .LBB168_76
.LBB168_41:
	s_or_b64 exec, exec, s[8:9]
	s_and_saveexec_b64 s[8:9], s[2:3]
	s_cbranch_execnz .LBB168_77
.LBB168_42:
	s_or_b64 exec, exec, s[8:9]
	s_and_saveexec_b64 s[8:9], s[4:5]
	s_cbranch_execz .LBB168_44
.LBB168_43:
	v_bfe_u32 v6, v33, 16, 1
	s_movk_i32 s6, 0x7fff
	v_add3_u32 v6, v33, v6, s6
	v_lshrrev_b32_e32 v6, 16, v6
	v_mov_b32_e32 v7, 0x7fc0
	v_cmp_o_f32_e64 s[6:7], v33, v33
	v_cndmask_b32_e64 v8, v7, v6, s[6:7]
	v_add_u32_e32 v6, v5, v4
	v_mov_b32_e32 v7, 0
	v_lshlrev_b64 v[6:7], 1, v[6:7]
	s_waitcnt lgkmcnt(0)
	v_mov_b32_e32 v5, s13
	v_add_co_u32_e64 v6, s[6:7], s12, v6
	v_addc_co_u32_e64 v7, s[6:7], v5, v7, s[6:7]
	global_store_short v[6:7], v8, off
.LBB168_44:
	s_or_b64 exec, exec, s[8:9]
	v_add3_u32 v5, v1, s15, 32
	v_cmp_gt_u32_e64 s[6:7], s10, v5
	s_and_b64 exec, exec, s[6:7]
	s_cbranch_execz .LBB168_68
; %bb.45:
	v_mul_lo_u32 v5, v5, s14
	s_and_saveexec_b64 s[8:9], vcc
	s_cbranch_execnz .LBB168_78
; %bb.46:
	s_or_b64 exec, exec, s[8:9]
	s_and_saveexec_b64 s[8:9], s[0:1]
	s_cbranch_execnz .LBB168_79
.LBB168_47:
	s_or_b64 exec, exec, s[8:9]
	s_and_saveexec_b64 s[8:9], s[2:3]
	s_cbranch_execnz .LBB168_80
.LBB168_48:
	s_or_b64 exec, exec, s[8:9]
	s_and_saveexec_b64 s[8:9], s[4:5]
	s_cbranch_execz .LBB168_50
.LBB168_49:
	v_bfe_u32 v6, v24, 16, 1
	s_movk_i32 s6, 0x7fff
	v_add3_u32 v6, v24, v6, s6
	v_lshrrev_b32_e32 v6, 16, v6
	v_mov_b32_e32 v7, 0x7fc0
	v_cmp_o_f32_e64 s[6:7], v24, v24
	v_cndmask_b32_e64 v8, v7, v6, s[6:7]
	v_add_u32_e32 v6, v5, v4
	v_mov_b32_e32 v7, 0
	v_lshlrev_b64 v[6:7], 1, v[6:7]
	s_waitcnt lgkmcnt(0)
	v_mov_b32_e32 v5, s13
	v_add_co_u32_e64 v6, s[6:7], s12, v6
	v_addc_co_u32_e64 v7, s[6:7], v5, v7, s[6:7]
	global_store_short v[6:7], v8, off
.LBB168_50:
	s_or_b64 exec, exec, s[8:9]
	v_add3_u32 v5, v1, s15, 40
	v_cmp_gt_u32_e64 s[6:7], s10, v5
	s_and_b64 exec, exec, s[6:7]
	s_cbranch_execz .LBB168_68
; %bb.51:
	v_mul_lo_u32 v5, v5, s14
	s_and_saveexec_b64 s[8:9], vcc
	s_cbranch_execnz .LBB168_81
; %bb.52:
	s_or_b64 exec, exec, s[8:9]
	s_and_saveexec_b64 s[8:9], s[0:1]
	s_cbranch_execnz .LBB168_82
.LBB168_53:
	s_or_b64 exec, exec, s[8:9]
	s_and_saveexec_b64 s[8:9], s[2:3]
	s_cbranch_execnz .LBB168_83
.LBB168_54:
	s_or_b64 exec, exec, s[8:9]
	s_and_saveexec_b64 s[8:9], s[4:5]
	s_cbranch_execz .LBB168_56
.LBB168_55:
	v_bfe_u32 v6, v25, 16, 1
	s_movk_i32 s6, 0x7fff
	v_add3_u32 v6, v25, v6, s6
	v_lshrrev_b32_e32 v6, 16, v6
	v_mov_b32_e32 v7, 0x7fc0
	v_cmp_o_f32_e64 s[6:7], v25, v25
	v_cndmask_b32_e64 v8, v7, v6, s[6:7]
	v_add_u32_e32 v6, v5, v4
	v_mov_b32_e32 v7, 0
	v_lshlrev_b64 v[6:7], 1, v[6:7]
	s_waitcnt lgkmcnt(0)
	v_mov_b32_e32 v5, s13
	v_add_co_u32_e64 v6, s[6:7], s12, v6
	v_addc_co_u32_e64 v7, s[6:7], v5, v7, s[6:7]
	global_store_short v[6:7], v8, off
.LBB168_56:
	s_or_b64 exec, exec, s[8:9]
	v_add3_u32 v5, v1, s15, 48
	v_cmp_gt_u32_e64 s[6:7], s10, v5
	s_and_b64 exec, exec, s[6:7]
	s_cbranch_execz .LBB168_68
; %bb.57:
	v_mul_lo_u32 v5, v5, s14
	s_and_saveexec_b64 s[8:9], vcc
	s_cbranch_execnz .LBB168_84
; %bb.58:
	s_or_b64 exec, exec, s[8:9]
	s_and_saveexec_b64 s[8:9], s[0:1]
	s_cbranch_execnz .LBB168_85
.LBB168_59:
	s_or_b64 exec, exec, s[8:9]
	s_and_saveexec_b64 s[8:9], s[2:3]
	s_cbranch_execnz .LBB168_86
.LBB168_60:
	s_or_b64 exec, exec, s[8:9]
	s_and_saveexec_b64 s[8:9], s[4:5]
	s_cbranch_execz .LBB168_62
.LBB168_61:
	v_bfe_u32 v6, v16, 16, 1
	s_movk_i32 s6, 0x7fff
	v_add3_u32 v6, v16, v6, s6
	v_lshrrev_b32_e32 v6, 16, v6
	v_mov_b32_e32 v7, 0x7fc0
	v_cmp_o_f32_e64 s[6:7], v16, v16
	v_cndmask_b32_e64 v8, v7, v6, s[6:7]
	v_add_u32_e32 v6, v5, v4
	v_mov_b32_e32 v7, 0
	v_lshlrev_b64 v[6:7], 1, v[6:7]
	s_waitcnt lgkmcnt(0)
	v_mov_b32_e32 v5, s13
	v_add_co_u32_e64 v6, s[6:7], s12, v6
	v_addc_co_u32_e64 v7, s[6:7], v5, v7, s[6:7]
	global_store_short v[6:7], v8, off
.LBB168_62:
	s_or_b64 exec, exec, s[8:9]
	v_add3_u32 v1, v1, s15, 56
	v_cmp_gt_u32_e64 s[6:7], s10, v1
	s_and_b64 exec, exec, s[6:7]
	s_cbranch_execz .LBB168_68
; %bb.63:
	v_mul_lo_u32 v1, v1, s14
	s_and_saveexec_b64 s[6:7], vcc
	s_cbranch_execnz .LBB168_87
; %bb.64:
	s_or_b64 exec, exec, s[6:7]
	s_and_saveexec_b64 s[6:7], s[0:1]
	s_cbranch_execnz .LBB168_88
.LBB168_65:
	s_or_b64 exec, exec, s[6:7]
	s_and_saveexec_b64 s[0:1], s[2:3]
	s_cbranch_execnz .LBB168_89
.LBB168_66:
	s_or_b64 exec, exec, s[0:1]
	s_and_b64 exec, exec, s[4:5]
	s_cbranch_execz .LBB168_68
.LBB168_67:
	v_bfe_u32 v0, v17, 16, 1
	s_movk_i32 s0, 0x7fff
	v_add3_u32 v0, v17, v0, s0
	v_lshrrev_b32_e32 v0, 16, v0
	v_mov_b32_e32 v2, 0x7fc0
	v_cmp_o_f32_e32 vcc, v17, v17
	v_cndmask_b32_e32 v2, v2, v0, vcc
	v_add_u32_e32 v0, v1, v4
	v_mov_b32_e32 v1, 0
	v_lshlrev_b64 v[0:1], 1, v[0:1]
	s_waitcnt lgkmcnt(0)
	v_mov_b32_e32 v3, s13
	v_add_co_u32_e32 v0, vcc, s12, v0
	v_addc_co_u32_e32 v1, vcc, v3, v1, vcc
	global_store_short v[0:1], v2, off
.LBB168_68:
	s_endpgm
.LBB168_69:
	v_bfe_u32 v6, v112, 16, 1
	s_movk_i32 s6, 0x7fff
	v_add3_u32 v6, v112, v6, s6
	v_lshrrev_b32_e32 v6, 16, v6
	v_mov_b32_e32 v7, 0x7fc0
	v_cmp_o_f32_e64 s[6:7], v112, v112
	v_cndmask_b32_e64 v8, v7, v6, s[6:7]
	v_add_u32_e32 v6, v5, v0
	v_mov_b32_e32 v7, 0
	v_lshlrev_b64 v[6:7], 1, v[6:7]
	s_waitcnt lgkmcnt(0)
	v_mov_b32_e32 v9, s13
	v_add_co_u32_e64 v6, s[6:7], s12, v6
	v_addc_co_u32_e64 v7, s[6:7], v9, v7, s[6:7]
	global_store_short v[6:7], v8, off
	s_or_b64 exec, exec, s[8:9]
	s_and_saveexec_b64 s[8:9], s[0:1]
	s_cbranch_execz .LBB168_29
.LBB168_70:
	v_bfe_u32 v6, v100, 16, 1
	s_movk_i32 s6, 0x7fff
	v_add3_u32 v6, v100, v6, s6
	v_lshrrev_b32_e32 v6, 16, v6
	v_mov_b32_e32 v7, 0x7fc0
	v_cmp_o_f32_e64 s[6:7], v100, v100
	v_cndmask_b32_e64 v8, v7, v6, s[6:7]
	v_add_u32_e32 v6, v5, v2
	v_mov_b32_e32 v7, 0
	v_lshlrev_b64 v[6:7], 1, v[6:7]
	s_waitcnt lgkmcnt(0)
	v_mov_b32_e32 v9, s13
	v_add_co_u32_e64 v6, s[6:7], s12, v6
	v_addc_co_u32_e64 v7, s[6:7], v9, v7, s[6:7]
	global_store_short v[6:7], v8, off
	s_or_b64 exec, exec, s[8:9]
	s_and_saveexec_b64 s[8:9], s[2:3]
	s_cbranch_execz .LBB168_30
.LBB168_71:
	v_bfe_u32 v6, v76, 16, 1
	s_movk_i32 s6, 0x7fff
	v_add3_u32 v6, v76, v6, s6
	v_lshrrev_b32_e32 v6, 16, v6
	v_mov_b32_e32 v7, 0x7fc0
	v_cmp_o_f32_e64 s[6:7], v76, v76
	v_cndmask_b32_e64 v8, v7, v6, s[6:7]
	v_add_u32_e32 v6, v5, v3
	v_mov_b32_e32 v7, 0
	v_lshlrev_b64 v[6:7], 1, v[6:7]
	s_waitcnt lgkmcnt(0)
	v_mov_b32_e32 v9, s13
	v_add_co_u32_e64 v6, s[6:7], s12, v6
	v_addc_co_u32_e64 v7, s[6:7], v9, v7, s[6:7]
	global_store_short v[6:7], v8, off
	s_or_b64 exec, exec, s[8:9]
	s_and_saveexec_b64 s[8:9], s[4:5]
	s_cbranch_execnz .LBB168_31
	s_branch .LBB168_32
.LBB168_72:
	v_bfe_u32 v6, v38, 16, 1
	s_movk_i32 s6, 0x7fff
	v_add3_u32 v6, v38, v6, s6
	v_lshrrev_b32_e32 v6, 16, v6
	v_mov_b32_e32 v7, 0x7fc0
	v_cmp_o_f32_e64 s[6:7], v38, v38
	v_cndmask_b32_e64 v8, v7, v6, s[6:7]
	v_add_u32_e32 v6, v5, v0
	v_mov_b32_e32 v7, 0
	v_lshlrev_b64 v[6:7], 1, v[6:7]
	s_waitcnt lgkmcnt(0)
	v_mov_b32_e32 v9, s13
	v_add_co_u32_e64 v6, s[6:7], s12, v6
	v_addc_co_u32_e64 v7, s[6:7], v9, v7, s[6:7]
	global_store_short v[6:7], v8, off
	s_or_b64 exec, exec, s[8:9]
	s_and_saveexec_b64 s[8:9], s[0:1]
	s_cbranch_execz .LBB168_35
.LBB168_73:
	v_bfe_u32 v6, v36, 16, 1
	s_movk_i32 s6, 0x7fff
	v_add3_u32 v6, v36, v6, s6
	v_lshrrev_b32_e32 v6, 16, v6
	v_mov_b32_e32 v7, 0x7fc0
	v_cmp_o_f32_e64 s[6:7], v36, v36
	v_cndmask_b32_e64 v8, v7, v6, s[6:7]
	v_add_u32_e32 v6, v5, v2
	v_mov_b32_e32 v7, 0
	v_lshlrev_b64 v[6:7], 1, v[6:7]
	s_waitcnt lgkmcnt(0)
	v_mov_b32_e32 v9, s13
	v_add_co_u32_e64 v6, s[6:7], s12, v6
	v_addc_co_u32_e64 v7, s[6:7], v9, v7, s[6:7]
	global_store_short v[6:7], v8, off
	s_or_b64 exec, exec, s[8:9]
	s_and_saveexec_b64 s[8:9], s[2:3]
	s_cbranch_execz .LBB168_36
.LBB168_74:
	v_bfe_u32 v6, v34, 16, 1
	s_movk_i32 s6, 0x7fff
	v_add3_u32 v6, v34, v6, s6
	v_lshrrev_b32_e32 v6, 16, v6
	v_mov_b32_e32 v7, 0x7fc0
	v_cmp_o_f32_e64 s[6:7], v34, v34
	v_cndmask_b32_e64 v8, v7, v6, s[6:7]
	v_add_u32_e32 v6, v5, v3
	v_mov_b32_e32 v7, 0
	v_lshlrev_b64 v[6:7], 1, v[6:7]
	s_waitcnt lgkmcnt(0)
	v_mov_b32_e32 v9, s13
	v_add_co_u32_e64 v6, s[6:7], s12, v6
	v_addc_co_u32_e64 v7, s[6:7], v9, v7, s[6:7]
	global_store_short v[6:7], v8, off
	s_or_b64 exec, exec, s[8:9]
	s_and_saveexec_b64 s[8:9], s[4:5]
	s_cbranch_execnz .LBB168_37
	s_branch .LBB168_38
.LBB168_75:
	v_bfe_u32 v6, v39, 16, 1
	s_movk_i32 s6, 0x7fff
	v_add3_u32 v6, v39, v6, s6
	v_lshrrev_b32_e32 v6, 16, v6
	v_mov_b32_e32 v7, 0x7fc0
	v_cmp_o_f32_e64 s[6:7], v39, v39
	v_cndmask_b32_e64 v8, v7, v6, s[6:7]
	v_add_u32_e32 v6, v5, v0
	v_mov_b32_e32 v7, 0
	v_lshlrev_b64 v[6:7], 1, v[6:7]
	s_waitcnt lgkmcnt(0)
	v_mov_b32_e32 v9, s13
	v_add_co_u32_e64 v6, s[6:7], s12, v6
	v_addc_co_u32_e64 v7, s[6:7], v9, v7, s[6:7]
	global_store_short v[6:7], v8, off
	s_or_b64 exec, exec, s[8:9]
	s_and_saveexec_b64 s[8:9], s[0:1]
	s_cbranch_execz .LBB168_41
.LBB168_76:
	v_bfe_u32 v6, v37, 16, 1
	s_movk_i32 s6, 0x7fff
	v_add3_u32 v6, v37, v6, s6
	v_lshrrev_b32_e32 v6, 16, v6
	v_mov_b32_e32 v7, 0x7fc0
	v_cmp_o_f32_e64 s[6:7], v37, v37
	v_cndmask_b32_e64 v8, v7, v6, s[6:7]
	v_add_u32_e32 v6, v5, v2
	v_mov_b32_e32 v7, 0
	v_lshlrev_b64 v[6:7], 1, v[6:7]
	s_waitcnt lgkmcnt(0)
	v_mov_b32_e32 v9, s13
	v_add_co_u32_e64 v6, s[6:7], s12, v6
	v_addc_co_u32_e64 v7, s[6:7], v9, v7, s[6:7]
	global_store_short v[6:7], v8, off
	s_or_b64 exec, exec, s[8:9]
	s_and_saveexec_b64 s[8:9], s[2:3]
	s_cbranch_execz .LBB168_42
.LBB168_77:
	v_bfe_u32 v6, v35, 16, 1
	s_movk_i32 s6, 0x7fff
	v_add3_u32 v6, v35, v6, s6
	v_lshrrev_b32_e32 v6, 16, v6
	v_mov_b32_e32 v7, 0x7fc0
	v_cmp_o_f32_e64 s[6:7], v35, v35
	v_cndmask_b32_e64 v8, v7, v6, s[6:7]
	v_add_u32_e32 v6, v5, v3
	v_mov_b32_e32 v7, 0
	v_lshlrev_b64 v[6:7], 1, v[6:7]
	s_waitcnt lgkmcnt(0)
	v_mov_b32_e32 v9, s13
	v_add_co_u32_e64 v6, s[6:7], s12, v6
	v_addc_co_u32_e64 v7, s[6:7], v9, v7, s[6:7]
	global_store_short v[6:7], v8, off
	s_or_b64 exec, exec, s[8:9]
	s_and_saveexec_b64 s[8:9], s[4:5]
	s_cbranch_execnz .LBB168_43
	s_branch .LBB168_44
.LBB168_78:
	v_bfe_u32 v6, v30, 16, 1
	s_movk_i32 s6, 0x7fff
	v_add3_u32 v6, v30, v6, s6
	v_lshrrev_b32_e32 v6, 16, v6
	v_mov_b32_e32 v7, 0x7fc0
	v_cmp_o_f32_e64 s[6:7], v30, v30
	v_cndmask_b32_e64 v8, v7, v6, s[6:7]
	v_add_u32_e32 v6, v5, v0
	v_mov_b32_e32 v7, 0
	v_lshlrev_b64 v[6:7], 1, v[6:7]
	s_waitcnt lgkmcnt(0)
	v_mov_b32_e32 v9, s13
	v_add_co_u32_e64 v6, s[6:7], s12, v6
	v_addc_co_u32_e64 v7, s[6:7], v9, v7, s[6:7]
	global_store_short v[6:7], v8, off
	s_or_b64 exec, exec, s[8:9]
	s_and_saveexec_b64 s[8:9], s[0:1]
	s_cbranch_execz .LBB168_47
.LBB168_79:
	v_bfe_u32 v6, v28, 16, 1
	s_movk_i32 s6, 0x7fff
	v_add3_u32 v6, v28, v6, s6
	v_lshrrev_b32_e32 v6, 16, v6
	v_mov_b32_e32 v7, 0x7fc0
	v_cmp_o_f32_e64 s[6:7], v28, v28
	v_cndmask_b32_e64 v8, v7, v6, s[6:7]
	v_add_u32_e32 v6, v5, v2
	v_mov_b32_e32 v7, 0
	v_lshlrev_b64 v[6:7], 1, v[6:7]
	s_waitcnt lgkmcnt(0)
	v_mov_b32_e32 v9, s13
	v_add_co_u32_e64 v6, s[6:7], s12, v6
	v_addc_co_u32_e64 v7, s[6:7], v9, v7, s[6:7]
	global_store_short v[6:7], v8, off
	s_or_b64 exec, exec, s[8:9]
	s_and_saveexec_b64 s[8:9], s[2:3]
	s_cbranch_execz .LBB168_48
.LBB168_80:
	v_bfe_u32 v6, v26, 16, 1
	s_movk_i32 s6, 0x7fff
	v_add3_u32 v6, v26, v6, s6
	v_lshrrev_b32_e32 v6, 16, v6
	v_mov_b32_e32 v7, 0x7fc0
	v_cmp_o_f32_e64 s[6:7], v26, v26
	v_cndmask_b32_e64 v8, v7, v6, s[6:7]
	v_add_u32_e32 v6, v5, v3
	v_mov_b32_e32 v7, 0
	v_lshlrev_b64 v[6:7], 1, v[6:7]
	s_waitcnt lgkmcnt(0)
	v_mov_b32_e32 v9, s13
	v_add_co_u32_e64 v6, s[6:7], s12, v6
	v_addc_co_u32_e64 v7, s[6:7], v9, v7, s[6:7]
	global_store_short v[6:7], v8, off
	s_or_b64 exec, exec, s[8:9]
	s_and_saveexec_b64 s[8:9], s[4:5]
	s_cbranch_execnz .LBB168_49
	s_branch .LBB168_50
.LBB168_81:
	v_bfe_u32 v6, v31, 16, 1
	s_movk_i32 s6, 0x7fff
	v_add3_u32 v6, v31, v6, s6
	v_lshrrev_b32_e32 v6, 16, v6
	v_mov_b32_e32 v7, 0x7fc0
	v_cmp_o_f32_e64 s[6:7], v31, v31
	v_cndmask_b32_e64 v8, v7, v6, s[6:7]
	v_add_u32_e32 v6, v5, v0
	v_mov_b32_e32 v7, 0
	v_lshlrev_b64 v[6:7], 1, v[6:7]
	s_waitcnt lgkmcnt(0)
	v_mov_b32_e32 v9, s13
	v_add_co_u32_e64 v6, s[6:7], s12, v6
	v_addc_co_u32_e64 v7, s[6:7], v9, v7, s[6:7]
	global_store_short v[6:7], v8, off
	s_or_b64 exec, exec, s[8:9]
	s_and_saveexec_b64 s[8:9], s[0:1]
	s_cbranch_execz .LBB168_53
.LBB168_82:
	v_bfe_u32 v6, v29, 16, 1
	s_movk_i32 s6, 0x7fff
	v_add3_u32 v6, v29, v6, s6
	v_lshrrev_b32_e32 v6, 16, v6
	v_mov_b32_e32 v7, 0x7fc0
	v_cmp_o_f32_e64 s[6:7], v29, v29
	v_cndmask_b32_e64 v8, v7, v6, s[6:7]
	v_add_u32_e32 v6, v5, v2
	v_mov_b32_e32 v7, 0
	v_lshlrev_b64 v[6:7], 1, v[6:7]
	s_waitcnt lgkmcnt(0)
	v_mov_b32_e32 v9, s13
	v_add_co_u32_e64 v6, s[6:7], s12, v6
	v_addc_co_u32_e64 v7, s[6:7], v9, v7, s[6:7]
	global_store_short v[6:7], v8, off
	s_or_b64 exec, exec, s[8:9]
	s_and_saveexec_b64 s[8:9], s[2:3]
	s_cbranch_execz .LBB168_54
.LBB168_83:
	v_bfe_u32 v6, v27, 16, 1
	s_movk_i32 s6, 0x7fff
	v_add3_u32 v6, v27, v6, s6
	v_lshrrev_b32_e32 v6, 16, v6
	v_mov_b32_e32 v7, 0x7fc0
	v_cmp_o_f32_e64 s[6:7], v27, v27
	v_cndmask_b32_e64 v8, v7, v6, s[6:7]
	v_add_u32_e32 v6, v5, v3
	v_mov_b32_e32 v7, 0
	v_lshlrev_b64 v[6:7], 1, v[6:7]
	s_waitcnt lgkmcnt(0)
	v_mov_b32_e32 v9, s13
	v_add_co_u32_e64 v6, s[6:7], s12, v6
	v_addc_co_u32_e64 v7, s[6:7], v9, v7, s[6:7]
	global_store_short v[6:7], v8, off
	s_or_b64 exec, exec, s[8:9]
	s_and_saveexec_b64 s[8:9], s[4:5]
	s_cbranch_execnz .LBB168_55
	s_branch .LBB168_56
.LBB168_84:
	v_bfe_u32 v6, v22, 16, 1
	s_movk_i32 s6, 0x7fff
	v_add3_u32 v6, v22, v6, s6
	v_lshrrev_b32_e32 v6, 16, v6
	v_mov_b32_e32 v7, 0x7fc0
	v_cmp_o_f32_e64 s[6:7], v22, v22
	v_cndmask_b32_e64 v8, v7, v6, s[6:7]
	v_add_u32_e32 v6, v5, v0
	v_mov_b32_e32 v7, 0
	v_lshlrev_b64 v[6:7], 1, v[6:7]
	s_waitcnt lgkmcnt(0)
	v_mov_b32_e32 v9, s13
	v_add_co_u32_e64 v6, s[6:7], s12, v6
	v_addc_co_u32_e64 v7, s[6:7], v9, v7, s[6:7]
	global_store_short v[6:7], v8, off
	s_or_b64 exec, exec, s[8:9]
	s_and_saveexec_b64 s[8:9], s[0:1]
	s_cbranch_execz .LBB168_59
.LBB168_85:
	v_bfe_u32 v6, v20, 16, 1
	s_movk_i32 s6, 0x7fff
	v_add3_u32 v6, v20, v6, s6
	v_lshrrev_b32_e32 v6, 16, v6
	v_mov_b32_e32 v7, 0x7fc0
	v_cmp_o_f32_e64 s[6:7], v20, v20
	v_cndmask_b32_e64 v8, v7, v6, s[6:7]
	v_add_u32_e32 v6, v5, v2
	v_mov_b32_e32 v7, 0
	v_lshlrev_b64 v[6:7], 1, v[6:7]
	s_waitcnt lgkmcnt(0)
	v_mov_b32_e32 v9, s13
	v_add_co_u32_e64 v6, s[6:7], s12, v6
	v_addc_co_u32_e64 v7, s[6:7], v9, v7, s[6:7]
	global_store_short v[6:7], v8, off
	s_or_b64 exec, exec, s[8:9]
	s_and_saveexec_b64 s[8:9], s[2:3]
	s_cbranch_execz .LBB168_60
.LBB168_86:
	v_bfe_u32 v6, v18, 16, 1
	s_movk_i32 s6, 0x7fff
	v_add3_u32 v6, v18, v6, s6
	v_lshrrev_b32_e32 v6, 16, v6
	v_mov_b32_e32 v7, 0x7fc0
	v_cmp_o_f32_e64 s[6:7], v18, v18
	v_cndmask_b32_e64 v8, v7, v6, s[6:7]
	v_add_u32_e32 v6, v5, v3
	v_mov_b32_e32 v7, 0
	v_lshlrev_b64 v[6:7], 1, v[6:7]
	s_waitcnt lgkmcnt(0)
	v_mov_b32_e32 v9, s13
	v_add_co_u32_e64 v6, s[6:7], s12, v6
	v_addc_co_u32_e64 v7, s[6:7], v9, v7, s[6:7]
	global_store_short v[6:7], v8, off
	s_or_b64 exec, exec, s[8:9]
	s_and_saveexec_b64 s[8:9], s[4:5]
	s_cbranch_execnz .LBB168_61
	s_branch .LBB168_62
.LBB168_87:
	v_bfe_u32 v5, v23, 16, 1
	s_movk_i32 s8, 0x7fff
	v_add3_u32 v5, v23, v5, s8
	v_lshrrev_b32_e32 v5, 16, v5
	v_mov_b32_e32 v6, 0x7fc0
	v_cmp_o_f32_e32 vcc, v23, v23
	v_cndmask_b32_e32 v5, v6, v5, vcc
	v_add_u32_e32 v6, v1, v0
	v_mov_b32_e32 v7, 0
	v_lshlrev_b64 v[6:7], 1, v[6:7]
	s_waitcnt lgkmcnt(0)
	v_mov_b32_e32 v0, s13
	v_add_co_u32_e32 v6, vcc, s12, v6
	v_addc_co_u32_e32 v7, vcc, v0, v7, vcc
	global_store_short v[6:7], v5, off
	s_or_b64 exec, exec, s[6:7]
	s_and_saveexec_b64 s[6:7], s[0:1]
	s_cbranch_execz .LBB168_65
.LBB168_88:
	v_bfe_u32 v0, v21, 16, 1
	s_movk_i32 s0, 0x7fff
	v_add3_u32 v0, v21, v0, s0
	v_add_u32_e32 v6, v1, v2
	v_mov_b32_e32 v7, 0
	v_lshrrev_b32_e32 v0, 16, v0
	v_mov_b32_e32 v5, 0x7fc0
	v_cmp_o_f32_e32 vcc, v21, v21
	v_lshlrev_b64 v[6:7], 1, v[6:7]
	v_cndmask_b32_e32 v0, v5, v0, vcc
	s_waitcnt lgkmcnt(0)
	v_mov_b32_e32 v2, s13
	v_add_co_u32_e32 v6, vcc, s12, v6
	v_addc_co_u32_e32 v7, vcc, v2, v7, vcc
	global_store_short v[6:7], v0, off
	s_or_b64 exec, exec, s[6:7]
	s_and_saveexec_b64 s[0:1], s[2:3]
	s_cbranch_execz .LBB168_66
.LBB168_89:
	v_bfe_u32 v0, v19, 16, 1
	s_movk_i32 s2, 0x7fff
	v_add3_u32 v0, v19, v0, s2
	v_lshrrev_b32_e32 v0, 16, v0
	v_mov_b32_e32 v2, 0x7fc0
	v_cmp_o_f32_e32 vcc, v19, v19
	v_cndmask_b32_e32 v0, v2, v0, vcc
	v_add_u32_e32 v2, v1, v3
	v_mov_b32_e32 v3, 0
	v_lshlrev_b64 v[2:3], 1, v[2:3]
	s_waitcnt lgkmcnt(0)
	v_mov_b32_e32 v5, s13
	v_add_co_u32_e32 v2, vcc, s12, v2
	v_addc_co_u32_e32 v3, vcc, v5, v3, vcc
	global_store_short v[2:3], v0, off
	s_or_b64 exec, exec, s[0:1]
	s_and_b64 exec, exec, s[4:5]
	s_cbranch_execnz .LBB168_67
	s_branch .LBB168_68
	.section	.rodata,"a",@progbits
	.p2align	6, 0x0
	.amdhsa_kernel _ZL12mul_mat_q2_KIN3c108BFloat16ELb1EEvPKvS3_PT_iiiii
		.amdhsa_group_segment_fixed_size 31392
		.amdhsa_private_segment_fixed_size 0
		.amdhsa_kernarg_size 44
		.amdhsa_user_sgpr_count 6
		.amdhsa_user_sgpr_private_segment_buffer 1
		.amdhsa_user_sgpr_dispatch_ptr 0
		.amdhsa_user_sgpr_queue_ptr 0
		.amdhsa_user_sgpr_kernarg_segment_ptr 1
		.amdhsa_user_sgpr_dispatch_id 0
		.amdhsa_user_sgpr_flat_scratch_init 0
		.amdhsa_user_sgpr_kernarg_preload_length 0
		.amdhsa_user_sgpr_kernarg_preload_offset 0
		.amdhsa_user_sgpr_private_segment_size 0
		.amdhsa_uses_dynamic_stack 0
		.amdhsa_system_sgpr_private_segment_wavefront_offset 0
		.amdhsa_system_sgpr_workgroup_id_x 1
		.amdhsa_system_sgpr_workgroup_id_y 1
		.amdhsa_system_sgpr_workgroup_id_z 0
		.amdhsa_system_sgpr_workgroup_info 0
		.amdhsa_system_vgpr_workitem_id 1
		.amdhsa_next_free_vgpr 223
		.amdhsa_next_free_sgpr 22
		.amdhsa_accum_offset 224
		.amdhsa_reserve_vcc 1
		.amdhsa_reserve_flat_scratch 0
		.amdhsa_float_round_mode_32 0
		.amdhsa_float_round_mode_16_64 0
		.amdhsa_float_denorm_mode_32 3
		.amdhsa_float_denorm_mode_16_64 3
		.amdhsa_dx10_clamp 1
		.amdhsa_ieee_mode 1
		.amdhsa_fp16_overflow 0
		.amdhsa_tg_split 0
		.amdhsa_exception_fp_ieee_invalid_op 0
		.amdhsa_exception_fp_denorm_src 0
		.amdhsa_exception_fp_ieee_div_zero 0
		.amdhsa_exception_fp_ieee_overflow 0
		.amdhsa_exception_fp_ieee_underflow 0
		.amdhsa_exception_fp_ieee_inexact 0
		.amdhsa_exception_int_div_zero 0
	.end_amdhsa_kernel
	.section	.text._ZL12mul_mat_q2_KIN3c108BFloat16ELb1EEvPKvS3_PT_iiiii,"axG",@progbits,_ZL12mul_mat_q2_KIN3c108BFloat16ELb1EEvPKvS3_PT_iiiii,comdat
.Lfunc_end168:
	.size	_ZL12mul_mat_q2_KIN3c108BFloat16ELb1EEvPKvS3_PT_iiiii, .Lfunc_end168-_ZL12mul_mat_q2_KIN3c108BFloat16ELb1EEvPKvS3_PT_iiiii
                                        ; -- End function
	.section	.AMDGPU.csdata,"",@progbits
; Kernel info:
; codeLenInByte = 27312
; NumSgprs: 26
; NumVgprs: 223
; NumAgprs: 0
; TotalNumVgprs: 223
; ScratchSize: 0
; MemoryBound: 0
; FloatMode: 240
; IeeeMode: 1
; LDSByteSize: 31392 bytes/workgroup (compile time only)
; SGPRBlocks: 3
; VGPRBlocks: 27
; NumSGPRsForWavesPerEU: 26
; NumVGPRsForWavesPerEU: 223
; AccumOffset: 224
; Occupancy: 2
; WaveLimiterHint : 0
; COMPUTE_PGM_RSRC2:SCRATCH_EN: 0
; COMPUTE_PGM_RSRC2:USER_SGPR: 6
; COMPUTE_PGM_RSRC2:TRAP_HANDLER: 0
; COMPUTE_PGM_RSRC2:TGID_X_EN: 1
; COMPUTE_PGM_RSRC2:TGID_Y_EN: 1
; COMPUTE_PGM_RSRC2:TGID_Z_EN: 0
; COMPUTE_PGM_RSRC2:TIDIG_COMP_CNT: 1
; COMPUTE_PGM_RSRC3_GFX90A:ACCUM_OFFSET: 55
; COMPUTE_PGM_RSRC3_GFX90A:TG_SPLIT: 0
	.section	.text._ZL12mul_mat_q3_KIN3c108BFloat16ELb0EEvPKvS3_PT_iiiii,"axG",@progbits,_ZL12mul_mat_q3_KIN3c108BFloat16ELb0EEvPKvS3_PT_iiiii,comdat
	.globl	_ZL12mul_mat_q3_KIN3c108BFloat16ELb0EEvPKvS3_PT_iiiii ; -- Begin function _ZL12mul_mat_q3_KIN3c108BFloat16ELb0EEvPKvS3_PT_iiiii
	.p2align	8
	.type	_ZL12mul_mat_q3_KIN3c108BFloat16ELb0EEvPKvS3_PT_iiiii,@function
_ZL12mul_mat_q3_KIN3c108BFloat16ELb0EEvPKvS3_PT_iiiii: ; @_ZL12mul_mat_q3_KIN3c108BFloat16ELb0EEvPKvS3_PT_iiiii
; %bb.0:
	s_load_dword s14, s[4:5], 0x18
	s_load_dwordx4 s[8:11], s[4:5], 0x20
	s_waitcnt lgkmcnt(0)
	s_lshl_b32 s11, s7, 6
	v_bfe_u32 v51, v0, 10, 10
	s_cmpk_gt_i32 s14, 0xff
	s_cbranch_scc1 .LBB169_2
; %bb.1:
	v_bfe_u32 v1, v0, 10, 10
	v_and_b32_e32 v47, 0x3ff, v0
	v_add_u32_e32 v89, s11, v1
	s_mov_b64 s[0:1], 0
	s_mov_b32 s2, 0
	s_branch .LBB169_3
.LBB169_2:
	s_mov_b64 s[0:1], -1
                                        ; implicit-def: $sgpr2
                                        ; implicit-def: $vgpr1
                                        ; implicit-def: $vgpr47
                                        ; implicit-def: $vgpr89
.LBB169_3:
	s_load_dwordx2 s[12:13], s[4:5], 0x10
	s_lshl_b32 s6, s6, 7
	s_andn2_b64 vcc, exec, s[0:1]
	v_mov_b32_e32 v9, s2
	v_mov_b32_e32 v17, s2
	;; [unrolled: 1-line block ×32, first 2 shown]
	s_cbranch_vccnz .LBB169_17
; %bb.4:
	s_load_dwordx4 s[0:3], s[4:5], 0x0
	s_ashr_i32 s4, s14, 31
	s_lshr_b32 s4, s4, 24
	s_add_i32 s14, s14, s4
	s_ashr_i32 s5, s9, 31
	s_ashr_i32 s4, s14, 8
	s_lshr_b32 s5, s5, 27
	s_add_i32 s5, s9, s5
	s_mul_i32 s7, s4, s6
	s_ashr_i32 s15, s5, 5
	s_mul_hi_i32 s9, s7, 0x6e
	s_mulk_i32 s7, 0x6e
	s_waitcnt lgkmcnt(0)
	s_add_u32 s0, s0, s7
	s_addc_u32 s1, s1, s9
	v_and_b32_e32 v47, 0x3ff, v0
	s_lshl_b32 s9, s4, 3
	v_mov_b32_e32 v2, s9
	v_lshlrev_b32_e32 v96, 4, v51
	v_lshrrev_b32_e32 v4, 1, v47
	v_mad_i32_i24 v14, s4, v51, v2
	v_and_b32_e32 v44, 1, v47
	v_add_u32_e32 v2, v4, v96
	v_and_b32_e32 v3, 0x7f, v2
	v_lshlrev_b32_e32 v5, 2, v44
	v_lshrrev_b32_e32 v2, 2, v2
	v_mul_i32_i24_e32 v46, s4, v3
	v_lshl_or_b32 v3, v3, 3, v5
	v_and_b32_e32 v2, 28, v2
	s_mov_b32 s16, 0x9380
	v_lshrrev_b32_e32 v8, 4, v47
	v_add3_u32 v97, v3, v2, s16
	v_lshlrev_b32_e32 v2, 1, v51
	v_add_u32_e32 v3, v8, v2
	v_add_u16_e32 v2, v8, v2
	v_and_b32_e32 v0, 15, v47
	v_lshrrev_b16_e32 v2, 1, v2
	v_lshlrev_b32_e32 v10, 2, v0
	v_lshlrev_b32_e32 v2, 2, v2
	s_movk_i32 s17, 0x4200
	s_lshl_b32 s18, s4, 4
	v_add3_u32 v5, v2, v10, s17
	v_add_u32_e32 v2, 16, v3
	v_mov_b32_e32 v7, s18
	v_mad_i32_i24 v54, s4, v3, v7
	v_lshlrev_b32_e32 v7, 1, v2
	v_lshlrev_b32_e32 v9, 6, v2
	v_add_u32_e32 v2, 32, v3
	v_lshlrev_b32_e32 v11, 1, v2
	v_lshlrev_b32_e32 v13, 6, v2
	v_add_u32_e32 v2, 48, v3
	;; [unrolled: 3-line block ×6, first 2 shown]
	v_cmp_lt_u32_e32 vcc, 7, v0
	v_and_b32_e32 v0, 7, v47
	v_mul_i32_i24_e32 v52, s4, v3
	v_lshlrev_b32_e32 v6, 6, v3
	v_lshlrev_b32_e32 v3, 1, v2
	v_cndmask_b32_e64 v48, 0, 1, vcc
	v_lshlrev_b32_e32 v50, 2, v0
	v_add_u32_e32 v56, s18, v54
	v_and_b32_e32 v3, 0xffc, v3
	v_cmp_lt_u32_e32 vcc, 3, v0
	v_and_b32_e32 v0, 3, v47
	v_add_u32_e32 v58, s18, v56
	v_add3_u32 v31, v3, v10, s17
	v_cndmask_b32_e64 v68, 0, 1, vcc
	v_add_u16_e32 v3, -2, v0
	v_cmp_gt_u32_e32 vcc, 2, v0
	v_add_u32_e32 v60, s18, v58
	v_cndmask_b32_e32 v3, v3, v0, vcc
	v_cmp_lt_u32_e32 vcc, 1, v0
	v_add_u32_e32 v62, s18, v60
	v_lshrrev_b32_e32 v100, 3, v47
	v_cndmask_b32_e64 v35, 0, 1, vcc
	v_lshlrev_b32_e32 v1, 2, v47
	s_movk_i32 s14, 0x84
	v_and_b32_e32 v7, 0xffc, v7
	v_and_b32_e32 v11, 0xffc, v11
	;; [unrolled: 1-line block ×5, first 2 shown]
	v_add_u32_e32 v64, s18, v62
	v_and_b32_e32 v27, 0xffc, v27
	v_lshlrev_b32_e32 v33, 6, v2
	v_lshl_add_u32 v2, v51, 2, v100
	v_lshlrev_b32_e32 v101, 2, v35
	v_mov_b32_e32 v35, 2
	v_mad_u32_u24 v61, v51, s14, v1
	v_add3_u32 v7, v7, v10, s17
	v_add3_u32 v11, v11, v10, s17
	v_add3_u32 v15, v15, v10, s17
	v_add3_u32 v19, v19, v10, s17
	v_add3_u32 v23, v23, v10, s17
	v_add3_u32 v27, v27, v10, s17
	v_add_u32_e32 v66, s18, v64
	v_lshlrev_b32_sdwa v70, v35, v3 dst_sel:DWORD dst_unused:UNUSED_PAD src0_sel:DWORD src1_sel:BYTE_0
	v_and_b32_e32 v3, 0x7fc, v2
	s_mov_b32 s17, 0x8300
	s_lshl_b32 s18, s4, 5
	v_and_b32_e32 v1, 28, v1
	v_add3_u32 v35, v3, v50, s17
	v_add_u32_e32 v3, 32, v2
	v_mov_b32_e32 v39, s18
	v_add_co_u32_e32 v80, vcc, s2, v1
	v_lshrrev_b32_e32 v1, 2, v47
	v_mul_i32_i24_e32 v72, s4, v2
	v_lshlrev_b32_e32 v37, 5, v2
	v_mad_i32_i24 v74, s4, v2, v39
	v_and_b32_e32 v39, 0xffc, v3
	v_lshlrev_b32_e32 v41, 5, v3
	v_add_u32_e32 v3, 64, v2
	v_add_u32_e32 v2, 0x60, v2
	v_lshl_add_u32 v1, v51, 3, v1
	v_and_b32_e32 v43, 0xffc, v3
	v_lshlrev_b32_e32 v45, 5, v3
	v_and_b32_e32 v3, 0xffc, v2
	v_mov_b32_e32 v57, s3
	v_and_b32_e32 v1, 63, v1
	v_add3_u32 v39, v39, v50, s17
	v_add3_u32 v43, v43, v50, s17
	;; [unrolled: 1-line block ×3, first 2 shown]
	s_add_i32 s17, s8, -1
	v_addc_co_u32_e32 v81, vcc, 0, v57, vcc
	v_or_b32_e32 v57, s11, v1
	v_add_u32_e32 v76, s18, v74
	v_min_i32_e32 v57, s17, v57
	v_lshlrev_b32_e32 v103, 1, v0
	v_add_u32_e32 v78, s18, v76
	v_mad_u64_u32 v[82:83], s[18:19], v57, s15, v[0:1]
	v_lshlrev_b32_e32 v0, 2, v0
	v_add_u32_e32 v89, s11, v51
	v_lshl_or_b32 v0, v1, 4, v0
	v_lshlrev_b32_e32 v53, 5, v2
	v_cvt_f64_i32_e32 v[2:3], s17
	v_add_u32_e32 v105, 0x97a0, v0
	v_cvt_f64_u32_e32 v[0:1], v89
	v_min_f64 v[0:1], v[0:1], v[2:3]
	v_cvt_i32_f64_e32 v0, v[0:1]
	v_mul_lo_u32 v106, s15, v0
	v_add_u32_e32 v0, 8, v89
	v_cvt_f64_u32_e32 v[0:1], v0
	v_min_f64 v[0:1], v[0:1], v[2:3]
	v_cvt_i32_f64_e32 v0, v[0:1]
	v_mul_lo_u32 v110, s15, v0
	;; [unrolled: 5-line block ×7, first 2 shown]
	v_add_u32_e32 v0, 56, v89
	v_cvt_f64_u32_e32 v[0:1], v0
	v_add_u32_e32 v16, s9, v14
	v_min_f64 v[0:1], v[0:1], v[2:3]
	v_add_u32_e32 v18, s9, v16
	v_cvt_i32_f64_e32 v0, v[0:1]
	v_add_u32_e32 v20, s9, v18
	v_mul_lo_u32 v123, s15, v0
	v_add_u32_e32 v0, 32, v47
	v_add_u32_e32 v22, s9, v20
	v_lshrrev_b32_e32 v1, 1, v0
	v_add_u32_e32 v24, s9, v22
	v_lshl_add_u32 v129, v0, 4, v1
	v_mov_b32_e32 v1, 0x1080
	v_add_u32_e32 v26, s9, v24
	v_lshl_add_u32 v126, v47, 4, v4
	v_lshlrev_b32_e32 v4, 2, v8
	v_lshlrev_b32_e32 v59, 3, v47
	v_mad_u32_u24 v130, v47, s14, v1
	v_lshrrev_b32_e32 v1, 2, v0
	v_add_u32_e32 v28, s9, v26
	v_add3_u32 v128, v4, v59, s16
	v_and_b32_e32 v1, 0x7c, v1
	v_lshlrev_b32_e32 v4, 3, v0
	v_add_u32_e32 v30, s9, v28
	v_add_u32_e32 v2, 64, v47
	v_add3_u32 v131, v4, v1, s16
	v_mov_b32_e32 v1, 0x2100
	v_add_u32_e32 v32, s9, v30
	v_and_b32_e32 v55, 31, v47
	v_lshlrev_b32_e32 v107, 7, v51
	v_lshrrev_b32_e32 v3, 1, v2
	v_mad_u32_u24 v133, v47, s14, v1
	v_lshrrev_b32_e32 v1, 2, v2
	v_add_u32_e32 v34, s9, v32
	v_lshl_or_b32 v55, v55, 2, v107
	v_lshl_add_u32 v132, v2, 4, v3
	v_and_b32_e32 v1, 0x7c, v1
	v_lshlrev_b32_e32 v3, 3, v2
	v_add_u32_e32 v36, s9, v34
	v_add_u32_e32 v108, 0x6300, v55
	;; [unrolled: 1-line block ×10, first 2 shown]
	v_add3_u32 v134, v3, v1, s16
	v_mov_b32_e32 v1, 0x3180
	v_add_u32_e32 v38, s9, v36
	v_mad_u32_u24 v136, v47, s14, v1
	v_lshrrev_b32_e32 v1, 2, v55
	v_add_u32_e32 v40, s9, v38
	v_lshrrev_b32_e32 v57, 1, v55
	v_and_b32_e32 v1, 0x7c, v1
	v_lshlrev_b32_e32 v3, 3, v55
	v_and_b32_e32 v141, 0xfc, v47
	v_and_b32_e32 v143, 0x1fc, v0
	;; [unrolled: 1-line block ×4, first 2 shown]
	s_movk_i32 s5, 0x6e
	s_mov_b32 s7, 0
	v_mul_i32_i24_e32 v12, s4, v51
	v_add_u32_e32 v63, 0x420, v61
	v_add_u32_e32 v65, 0x840, v61
	;; [unrolled: 1-line block ×16, first 2 shown]
	s_movk_i32 s9, 0x60
	v_lshlrev_b32_e32 v125, 5, v47
	v_mul_u32_u24_e32 v127, 0x84, v47
	v_lshl_add_u32 v135, v55, 4, v57
	v_add3_u32 v137, v3, v1, s16
	v_lshrrev_b32_e32 v138, 3, v0
	v_lshrrev_b32_e32 v139, 3, v2
	;; [unrolled: 1-line block ×3, first 2 shown]
	v_or_b32_e32 v142, 0x6300, v141
	v_add_u32_e32 v144, 0x6300, v143
	v_add_u32_e32 v146, 0x6300, v145
	;; [unrolled: 1-line block ×13, first 2 shown]
	s_mov_b32 s14, 0x30303030
	s_movk_i32 s15, 0x3f00
	s_movk_i32 s16, 0xe000
	v_add_u32_e32 v159, v35, v37
	v_add_u32_e32 v160, v39, v41
	v_add_u32_e32 v161, v43, v45
	v_add_u32_e32 v162, v49, v53
	v_mov_b32_e32 v163, 8
	v_mov_b32_e32 v120, 0
	;; [unrolled: 1-line block ×33, first 2 shown]
	s_branch .LBB169_6
.LBB169_5:                              ;   in Loop: Header=BB169_6 Depth=1
	s_add_i32 s7, s7, 2
	s_cmp_ge_i32 s7, s4
	s_cbranch_scc1 .LBB169_16
.LBB169_6:                              ; =>This Loop Header: Depth=1
                                        ;     Child Loop BB169_7 Depth 2
                                        ;     Child Loop BB169_9 Depth 2
	;; [unrolled: 1-line block ×4, first 2 shown]
	s_mul_i32 s18, s7, 0x6e
	s_mul_hi_u32 s17, s7, 0x6e
	s_add_u32 s18, s0, s18
	s_addc_u32 s19, s1, s17
	v_pk_mov_b32 v[0:1], s[18:19], s[18:19] op_sel:[0,1]
	v_mad_u64_u32 v[2:3], s[18:19], v8, s5, v[0:1]
	v_add_co_u32_e32 v2, vcc, v2, v10
	v_addc_co_u32_e32 v3, vcc, 0, v3, vcc
	v_add_co_u32_e32 v2, vcc, 32, v2
	v_addc_co_u32_e32 v3, vcc, 0, v3, vcc
	v_mad_u64_u32 v[4:5], s[18:19], v12, s5, v[2:3]
	v_mad_u64_u32 v[6:7], s[18:19], v14, s5, v[2:3]
	v_mad_u64_u32 v[84:85], s[18:19], v16, s5, v[2:3]
	v_mad_u64_u32 v[86:87], s[18:19], v18, s5, v[2:3]
	v_mad_u64_u32 v[164:165], s[18:19], v20, s5, v[2:3]
	v_mad_u64_u32 v[166:167], s[18:19], v22, s5, v[2:3]
	v_mad_u64_u32 v[168:169], s[18:19], v24, s5, v[2:3]
	v_mad_u64_u32 v[170:171], s[18:19], v26, s5, v[2:3]
	global_load_dword v172, v[4:5], off
	global_load_dword v173, v[6:7], off
	;; [unrolled: 1-line block ×7, first 2 shown]
	s_nop 0
	global_load_dword v170, v[170:171], off
	v_mad_u64_u32 v[4:5], s[18:19], v28, s5, v[2:3]
	v_mad_u64_u32 v[6:7], s[18:19], v30, s5, v[2:3]
	;; [unrolled: 1-line block ×8, first 2 shown]
	global_load_dword v171, v[4:5], off
	global_load_dword v179, v[6:7], off
	;; [unrolled: 1-line block ×4, first 2 shown]
	s_nop 0
	global_load_dword v164, v[164:165], off
	s_nop 0
	global_load_dword v165, v[166:167], off
	;; [unrolled: 2-line block ×3, first 2 shown]
	global_load_dword v167, v[2:3], off
	v_mad_u64_u32 v[2:3], s[18:19], v46, s5, v[0:1]
	v_mad_u64_u32 v[2:3], s[18:19], v44, s5, v[2:3]
	global_load_ushort v168, v[2:3], off offset:108
	v_mad_u64_u32 v[4:5], s[18:19], v48, s5, v[0:1]
	v_add_co_u32_e32 v4, vcc, v4, v50
	v_addc_co_u32_e32 v5, vcc, 0, v5, vcc
	v_mad_u64_u32 v[6:7], s[18:19], v52, s5, v[4:5]
	v_mad_u64_u32 v[84:85], s[18:19], v54, s5, v[4:5]
	global_load_dword v169, v[6:7], off
	global_load_dword v182, v[84:85], off
	v_mad_u64_u32 v[2:3], s[18:19], v56, s5, v[4:5]
	v_mad_u64_u32 v[86:87], s[18:19], v58, s5, v[4:5]
	global_load_dword v183, v[2:3], off
	global_load_dword v184, v[86:87], off
	;; [unrolled: 4-line block ×3, first 2 shown]
	v_mad_u64_u32 v[0:1], s[18:19], v68, s5, v[0:1]
	v_mad_u64_u32 v[2:3], s[18:19], v64, s5, v[4:5]
	v_add_co_u32_e32 v0, vcc, s9, v0
	global_load_dword v187, v[2:3], off
	v_mad_u64_u32 v[2:3], s[18:19], v66, s5, v[4:5]
	v_addc_co_u32_e32 v1, vcc, 0, v1, vcc
	global_load_dword v188, v[2:3], off
	v_mad_u64_u32 v[2:3], s[18:19], v72, s5, v[0:1]
	v_add_co_u32_e32 v4, vcc, v2, v70
	v_addc_co_u32_e32 v5, vcc, 0, v3, vcc
	global_load_dword v189, v[4:5], off
	v_mad_u64_u32 v[4:5], s[18:19], v74, s5, v[0:1]
	v_add_co_u32_e32 v6, vcc, v4, v70
	v_addc_co_u32_e32 v7, vcc, 0, v5, vcc
	v_mad_u64_u32 v[84:85], s[18:19], v76, s5, v[0:1]
	v_add_co_u32_e32 v86, vcc, v84, v70
	v_mad_u64_u32 v[0:1], s[18:19], v78, s5, v[0:1]
	v_addc_co_u32_e32 v87, vcc, 0, v85, vcc
	global_load_dword v190, v[0:1], off offset:8
	global_load_dword v191, v[86:87], off
	global_load_dword v192, v[84:85], off offset:8
	global_load_dword v193, v[6:7], off
	global_load_dword v194, v[4:5], off offset:8
	global_load_dword v195, v[2:3], off offset:8
	v_add_co_u32_e32 v0, vcc, v0, v70
	s_waitcnt vmcnt(31)
	ds_write_b32 v61, v172
	s_waitcnt vmcnt(30)
	ds_write_b32 v63, v173
	;; [unrolled: 2-line block ×13, first 2 shown]
	v_addc_co_u32_e32 v1, vcc, 0, v1, vcc
	s_lshl_b32 s17, s7, 3
	v_add_u32_e32 v164, s17, v82
	v_mad_u64_u32 v[170:171], s[18:19], v164, 36, s[2:3]
	s_mov_b32 s21, -2
	s_waitcnt vmcnt(15)
	v_cvt_f32_f16_e32 v2, v168
	ds_write_b32 v93, v165
	ds_write_b32 v94, v166
	;; [unrolled: 1-line block ×4, first 2 shown]
	global_load_dword v172, v[0:1], off
	v_add_u32_e32 v168, s17, v100
	v_add_u32_e32 v0, v168, v106
	;; [unrolled: 1-line block ×5, first 2 shown]
	v_mad_i64_i32 v[0:1], s[18:19], v0, 36, v[80:81]
	s_waitcnt vmcnt(15)
	v_not_b32_e32 v2, v169
	ds_write_b32 v151, v2
	s_waitcnt vmcnt(14)
	v_not_b32_e32 v2, v182
	ds_write_b32 v152, v2
	v_mad_i64_i32 v[4:5], s[18:19], v4, 36, v[80:81]
	s_waitcnt vmcnt(13)
	v_not_b32_e32 v2, v183
	ds_write_b32 v153, v2
	s_waitcnt vmcnt(12)
	v_not_b32_e32 v2, v184
	ds_write_b32 v154, v2
	;; [unrolled: 3-line block ×4, first 2 shown]
	v_add_u32_e32 v2, v168, v110
	v_mad_i64_i32 v[2:3], s[18:19], v2, 36, v[80:81]
	v_mad_i64_i32 v[6:7], s[18:19], v6, 36, v[80:81]
	;; [unrolled: 1-line block ×3, first 2 shown]
	v_add_u32_e32 v86, v168, v118
	v_add_u32_e32 v166, v168, v121
	;; [unrolled: 1-line block ×3, first 2 shown]
	v_mad_i64_i32 v[86:87], s[18:19], v86, 36, v[80:81]
	v_mad_i64_i32 v[166:167], s[18:19], v166, 36, v[80:81]
	;; [unrolled: 1-line block ×3, first 2 shown]
	global_load_dword v0, v[0:1], off offset:4
	s_nop 0
	global_load_dword v1, v[2:3], off offset:4
	s_nop 0
	global_load_dword v2, v[4:5], off offset:4
	global_load_dword v3, v[6:7], off offset:4
	s_nop 0
	global_load_dword v4, v[84:85], off offset:4
	global_load_dword v5, v[170:171], off
	global_load_dword v6, v[86:87], off offset:4
	global_load_dword v7, v[166:167], off offset:4
	s_nop 0
	global_load_dword v84, v[168:169], off offset:4
	s_waitcnt vmcnt(18)
	v_not_b32_e32 v165, v187
	s_waitcnt vmcnt(17)
	v_not_b32_e32 v85, v188
	ds_write_b32 v157, v165
	ds_write_b32 v158, v85
	s_waitcnt vmcnt(16)
	v_ashrrev_i32_e32 v85, v101, v189
	v_and_b32_e32 v85, 0xf0f0f0f, v85
	v_mov_b32_e32 v165, v107
	v_mov_b32_e32 v166, v96
	s_mov_b32 s18, 0
	s_mov_b32 s19, 0
	s_waitcnt vmcnt(10)
	v_ashrrev_i32_e32 v86, v103, v195
	v_lshlrev_b32_e32 v86, 4, v86
	v_and_or_b32 v85, v86, s14, v85
	v_lshlrev_b16_e32 v87, 8, v85
	v_and_b32_e32 v86, 0x3f00, v85
	v_add_u16_e32 v87, 0xe000, v87
	v_or_b32_sdwa v86, v86, v87 dst_sel:DWORD dst_unused:UNUSED_PAD src0_sel:DWORD src1_sel:BYTE_1
	v_and_b32_sdwa v87, v85, s15 dst_sel:DWORD dst_unused:UNUSED_PAD src0_sel:WORD_1 src1_sel:DWORD
	v_lshlrev_b16_sdwa v85, v163, v85 dst_sel:DWORD dst_unused:UNUSED_PAD src0_sel:DWORD src1_sel:WORD_1
	v_add_u16_e32 v85, 0xe000, v85
	v_or_b32_sdwa v85, v87, v85 dst_sel:DWORD dst_unused:UNUSED_PAD src0_sel:DWORD src1_sel:BYTE_1
	v_add_u16_e32 v86, 0xe000, v86
	v_add_u16_sdwa v85, v85, s16 dst_sel:WORD_1 dst_unused:UNUSED_PAD src0_sel:DWORD src1_sel:DWORD
	v_or_b32_e32 v85, v86, v85
	ds_write_b32 v159, v85
	v_ashrrev_i32_e32 v85, v101, v193
	v_ashrrev_i32_e32 v86, v103, v194
	v_and_b32_e32 v85, 0xf0f0f0f, v85
	v_lshlrev_b32_e32 v86, 4, v86
	v_and_or_b32 v85, v86, s14, v85
	v_lshlrev_b16_e32 v87, 8, v85
	v_and_b32_e32 v86, 0x3f00, v85
	v_add_u16_e32 v87, 0xe000, v87
	v_or_b32_sdwa v86, v86, v87 dst_sel:DWORD dst_unused:UNUSED_PAD src0_sel:DWORD src1_sel:BYTE_1
	v_and_b32_sdwa v87, v85, s15 dst_sel:DWORD dst_unused:UNUSED_PAD src0_sel:WORD_1 src1_sel:DWORD
	v_lshlrev_b16_sdwa v85, v163, v85 dst_sel:DWORD dst_unused:UNUSED_PAD src0_sel:DWORD src1_sel:WORD_1
	v_add_u16_e32 v85, 0xe000, v85
	v_or_b32_sdwa v85, v87, v85 dst_sel:DWORD dst_unused:UNUSED_PAD src0_sel:DWORD src1_sel:BYTE_1
	v_add_u16_e32 v86, 0xe000, v86
	v_add_u16_sdwa v85, v85, s16 dst_sel:WORD_1 dst_unused:UNUSED_PAD src0_sel:DWORD src1_sel:DWORD
	v_or_b32_e32 v85, v86, v85
	ds_write_b32 v160, v85
	v_ashrrev_i32_e32 v85, v101, v191
	v_ashrrev_i32_e32 v86, v103, v192
	v_and_b32_e32 v85, 0xf0f0f0f, v85
	v_lshlrev_b32_e32 v86, 4, v86
	v_and_or_b32 v85, v86, s14, v85
	v_lshlrev_b16_e32 v87, 8, v85
	v_and_b32_e32 v86, 0x3f00, v85
	v_add_u16_e32 v87, 0xe000, v87
	v_or_b32_sdwa v86, v86, v87 dst_sel:DWORD dst_unused:UNUSED_PAD src0_sel:DWORD src1_sel:BYTE_1
	v_and_b32_sdwa v87, v85, s15 dst_sel:DWORD dst_unused:UNUSED_PAD src0_sel:WORD_1 src1_sel:DWORD
	v_lshlrev_b16_sdwa v85, v163, v85 dst_sel:DWORD dst_unused:UNUSED_PAD src0_sel:DWORD src1_sel:WORD_1
	v_add_u16_e32 v85, 0xe000, v85
	v_or_b32_sdwa v85, v87, v85 dst_sel:DWORD dst_unused:UNUSED_PAD src0_sel:DWORD src1_sel:BYTE_1
	v_add_u16_e32 v86, 0xe000, v86
	v_add_u16_sdwa v85, v85, s16 dst_sel:WORD_1 dst_unused:UNUSED_PAD src0_sel:DWORD src1_sel:DWORD
	v_or_b32_e32 v85, v86, v85
	ds_write_b32 v161, v85
	s_waitcnt vmcnt(9)
	v_ashrrev_i32_e32 v85, v101, v172
	v_ashrrev_i32_e32 v86, v103, v190
	v_and_b32_e32 v85, 0xf0f0f0f, v85
	v_lshlrev_b32_e32 v86, 4, v86
	v_and_or_b32 v85, v86, s14, v85
	v_lshlrev_b16_e32 v87, 8, v85
	v_and_b32_e32 v86, 0x3f00, v85
	v_add_u16_e32 v87, 0xe000, v87
	v_or_b32_sdwa v86, v86, v87 dst_sel:DWORD dst_unused:UNUSED_PAD src0_sel:DWORD src1_sel:BYTE_1
	v_and_b32_sdwa v87, v85, s15 dst_sel:DWORD dst_unused:UNUSED_PAD src0_sel:WORD_1 src1_sel:DWORD
	v_lshlrev_b16_sdwa v85, v163, v85 dst_sel:DWORD dst_unused:UNUSED_PAD src0_sel:DWORD src1_sel:WORD_1
	v_add_u16_e32 v85, 0xe000, v85
	v_or_b32_sdwa v85, v87, v85 dst_sel:DWORD dst_unused:UNUSED_PAD src0_sel:DWORD src1_sel:BYTE_1
	v_add_u16_e32 v86, 0xe000, v86
	v_add_u16_sdwa v85, v85, s16 dst_sel:WORD_1 dst_unused:UNUSED_PAD src0_sel:DWORD src1_sel:DWORD
	v_or_b32_e32 v85, v86, v85
	ds_write_b32 v162, v85
	s_waitcnt vmcnt(8)
	ds_write_b32 v108, v0
	s_waitcnt vmcnt(7)
	;; [unrolled: 2-line block ×6, first 2 shown]
	v_cvt_f32_f16_e32 v0, v5
	s_waitcnt vmcnt(2)
	ds_write_b32 v119, v6
	s_waitcnt vmcnt(1)
	ds_write_b32 v122, v7
	;; [unrolled: 2-line block ×3, first 2 shown]
	ds_write_b32 v105, v0
	s_waitcnt lgkmcnt(0)
	s_barrier
.LBB169_7:                              ;   Parent Loop BB169_6 Depth=1
                                        ; =>  This Inner Loop Header: Depth=2
	s_add_i32 s20, s21, 2
	s_and_b32 s22, s19, -16
	s_lshr_b32 s24, s20, 4
	v_add_u32_e32 v86, s22, v125
	s_and_b32 s23, s20, 0x3ffffff8
	s_lshl_b32 s22, s24, 3
	s_lshl_b32 s23, s23, 2
	v_add_lshl_u32 v176, v126, s22, 2
	v_add_u32_e32 v0, 0x9600, v166
	v_add_u32_e32 v87, s23, v127
	;; [unrolled: 1-line block ×3, first 2 shown]
	ds_read2_b32 v[84:85], v0 offset0:104 offset1:136
	ds_read_b128 v[4:7], v165 offset:25344
	ds_read_b128 v[0:3], v165 offset:25360
	ds_read2_b32 v[168:169], v87 offset1:1
	ds_read2_b32 v[170:171], v170 offset1:1
	s_lshl_b32 s24, s24, 2
	v_add_lshl_u32 v198, v132, s22, 2
	v_add_lshl_u32 v188, v129, s22, 2
	s_waitcnt lgkmcnt(1)
	v_ashrrev_i32_e32 v167, s20, v168
	s_waitcnt lgkmcnt(0)
	v_ashrrev_i32_e32 v170, s18, v170
	v_lshlrev_b32_e32 v170, 2, v170
	v_and_b32_e32 v168, 0x3030303, v167
	v_bfe_u32 v167, v167, 24, 2
	v_and_b32_e32 v170, 0x4040404, v170
	v_sub_u16_e32 v172, v168, v170
	v_sub_u16_sdwa v173, v168, v170 dst_sel:BYTE_1 dst_unused:UNUSED_PAD src0_sel:BYTE_1 src1_sel:BYTE_1
	v_sub_u16_sdwa v167, v167, v170 dst_sel:BYTE_1 dst_unused:UNUSED_PAD src0_sel:DWORD src1_sel:BYTE_3
	v_sub_u16_sdwa v168, v168, v170 dst_sel:DWORD dst_unused:UNUSED_PAD src0_sel:WORD_1 src1_sel:WORD_1
	v_ashrrev_i32_e32 v170, s18, v171
	v_or_b32_sdwa v167, v168, v167 dst_sel:WORD_1 dst_unused:UNUSED_PAD src0_sel:BYTE_0 src1_sel:DWORD
	v_ashrrev_i32_e32 v168, s20, v169
	v_lshlrev_b32_e32 v170, 2, v170
	v_or_b32_sdwa v172, v172, v173 dst_sel:DWORD dst_unused:UNUSED_PAD src0_sel:BYTE_0 src1_sel:DWORD
	v_and_b32_e32 v169, 0x3030303, v168
	v_bfe_u32 v168, v168, 24, 2
	v_and_b32_e32 v170, 0x4040404, v170
	v_or_b32_sdwa v167, v172, v167 dst_sel:DWORD dst_unused:UNUSED_PAD src0_sel:WORD_0 src1_sel:DWORD
	v_sub_u16_e32 v171, v169, v170
	v_sub_u16_sdwa v172, v169, v170 dst_sel:BYTE_1 dst_unused:UNUSED_PAD src0_sel:BYTE_1 src1_sel:BYTE_1
	v_sub_u16_sdwa v168, v168, v170 dst_sel:BYTE_1 dst_unused:UNUSED_PAD src0_sel:DWORD src1_sel:BYTE_3
	v_sub_u16_sdwa v169, v169, v170 dst_sel:DWORD dst_unused:UNUSED_PAD src0_sel:WORD_1 src1_sel:WORD_1
	v_or_b32_sdwa v171, v171, v172 dst_sel:DWORD dst_unused:UNUSED_PAD src0_sel:BYTE_0 src1_sel:DWORD
	v_or_b32_sdwa v168, v169, v168 dst_sel:WORD_1 dst_unused:UNUSED_PAD src0_sel:BYTE_0 src1_sel:DWORD
	v_add_u32_e32 v172, 0x4208, v176
	v_or_b32_sdwa v168, v171, v168 dst_sel:DWORD dst_unused:UNUSED_PAD src0_sel:WORD_0 src1_sel:DWORD
	ds_read2_b32 v[170:171], v87 offset0:2 offset1:3
	ds_read2_b32 v[172:173], v172 offset1:1
	v_add_u32_e32 v192, 0x4200, v198
	v_add_lshl_u32 v210, v135, s22, 2
	s_add_i32 s19, s19, 2
	s_waitcnt lgkmcnt(1)
	v_ashrrev_i32_e32 v169, s20, v170
	s_waitcnt lgkmcnt(0)
	v_ashrrev_i32_e32 v172, s18, v172
	v_lshlrev_b32_e32 v172, 2, v172
	v_and_b32_e32 v170, 0x3030303, v169
	v_bfe_u32 v169, v169, 24, 2
	v_and_b32_e32 v172, 0x4040404, v172
	v_sub_u16_e32 v174, v170, v172
	v_sub_u16_sdwa v175, v170, v172 dst_sel:BYTE_1 dst_unused:UNUSED_PAD src0_sel:BYTE_1 src1_sel:BYTE_1
	v_sub_u16_sdwa v169, v169, v172 dst_sel:BYTE_1 dst_unused:UNUSED_PAD src0_sel:DWORD src1_sel:BYTE_3
	v_sub_u16_sdwa v170, v170, v172 dst_sel:DWORD dst_unused:UNUSED_PAD src0_sel:WORD_1 src1_sel:WORD_1
	v_ashrrev_i32_e32 v172, s18, v173
	v_or_b32_sdwa v169, v170, v169 dst_sel:WORD_1 dst_unused:UNUSED_PAD src0_sel:BYTE_0 src1_sel:DWORD
	v_ashrrev_i32_e32 v170, s20, v171
	v_lshlrev_b32_e32 v172, 2, v172
	v_or_b32_sdwa v174, v174, v175 dst_sel:DWORD dst_unused:UNUSED_PAD src0_sel:BYTE_0 src1_sel:DWORD
	v_and_b32_e32 v171, 0x3030303, v170
	v_bfe_u32 v170, v170, 24, 2
	v_and_b32_e32 v172, 0x4040404, v172
	v_or_b32_sdwa v169, v174, v169 dst_sel:DWORD dst_unused:UNUSED_PAD src0_sel:WORD_0 src1_sel:DWORD
	v_sub_u16_e32 v173, v171, v172
	v_sub_u16_sdwa v174, v171, v172 dst_sel:BYTE_1 dst_unused:UNUSED_PAD src0_sel:BYTE_1 src1_sel:BYTE_1
	v_sub_u16_sdwa v170, v170, v172 dst_sel:BYTE_1 dst_unused:UNUSED_PAD src0_sel:DWORD src1_sel:BYTE_3
	v_sub_u16_sdwa v171, v171, v172 dst_sel:DWORD dst_unused:UNUSED_PAD src0_sel:WORD_1 src1_sel:WORD_1
	v_or_b32_sdwa v173, v173, v174 dst_sel:DWORD dst_unused:UNUSED_PAD src0_sel:BYTE_0 src1_sel:DWORD
	v_or_b32_sdwa v170, v171, v170 dst_sel:WORD_1 dst_unused:UNUSED_PAD src0_sel:BYTE_0 src1_sel:DWORD
	v_add_u32_e32 v174, 0x4210, v176
	v_or_b32_sdwa v170, v173, v170 dst_sel:DWORD dst_unused:UNUSED_PAD src0_sel:WORD_0 src1_sel:DWORD
	ds_read2_b32 v[172:173], v87 offset0:4 offset1:5
	ds_read2_b32 v[174:175], v174 offset1:1
	ds_read2_b32 v[192:193], v192 offset1:1
	s_waitcnt lgkmcnt(2)
	v_ashrrev_i32_e32 v171, s20, v172
	s_waitcnt lgkmcnt(1)
	v_ashrrev_i32_e32 v174, s18, v174
	v_lshlrev_b32_e32 v174, 2, v174
	v_and_b32_e32 v172, 0x3030303, v171
	v_bfe_u32 v171, v171, 24, 2
	v_and_b32_e32 v174, 0x4040404, v174
	v_sub_u16_e32 v177, v172, v174
	v_sub_u16_sdwa v178, v172, v174 dst_sel:BYTE_1 dst_unused:UNUSED_PAD src0_sel:BYTE_1 src1_sel:BYTE_1
	v_sub_u16_sdwa v171, v171, v174 dst_sel:BYTE_1 dst_unused:UNUSED_PAD src0_sel:DWORD src1_sel:BYTE_3
	v_sub_u16_sdwa v172, v172, v174 dst_sel:DWORD dst_unused:UNUSED_PAD src0_sel:WORD_1 src1_sel:WORD_1
	v_ashrrev_i32_e32 v174, s18, v175
	v_or_b32_sdwa v171, v172, v171 dst_sel:WORD_1 dst_unused:UNUSED_PAD src0_sel:BYTE_0 src1_sel:DWORD
	v_ashrrev_i32_e32 v172, s20, v173
	v_lshlrev_b32_e32 v174, 2, v174
	v_or_b32_sdwa v177, v177, v178 dst_sel:DWORD dst_unused:UNUSED_PAD src0_sel:BYTE_0 src1_sel:DWORD
	v_and_b32_e32 v173, 0x3030303, v172
	v_bfe_u32 v172, v172, 24, 2
	v_and_b32_e32 v174, 0x4040404, v174
	v_or_b32_sdwa v171, v177, v171 dst_sel:DWORD dst_unused:UNUSED_PAD src0_sel:WORD_0 src1_sel:DWORD
	v_sub_u16_e32 v175, v173, v174
	v_sub_u16_sdwa v177, v173, v174 dst_sel:BYTE_1 dst_unused:UNUSED_PAD src0_sel:BYTE_1 src1_sel:BYTE_1
	v_sub_u16_sdwa v172, v172, v174 dst_sel:BYTE_1 dst_unused:UNUSED_PAD src0_sel:DWORD src1_sel:BYTE_3
	v_sub_u16_sdwa v173, v173, v174 dst_sel:DWORD dst_unused:UNUSED_PAD src0_sel:WORD_1 src1_sel:WORD_1
	v_or_b32_sdwa v175, v175, v177 dst_sel:DWORD dst_unused:UNUSED_PAD src0_sel:BYTE_0 src1_sel:DWORD
	v_or_b32_sdwa v172, v173, v172 dst_sel:WORD_1 dst_unused:UNUSED_PAD src0_sel:BYTE_0 src1_sel:DWORD
	v_or_b32_sdwa v173, v175, v172 dst_sel:DWORD dst_unused:UNUSED_PAD src0_sel:WORD_0 src1_sel:DWORD
	ds_read2_b32 v[174:175], v87 offset0:6 offset1:7
	s_waitcnt lgkmcnt(1)
	v_ashrrev_i32_e32 v192, s18, v192
	v_lshlrev_b32_e32 v192, 2, v192
	v_and_b32_e32 v192, 0x4040404, v192
	s_waitcnt lgkmcnt(0)
	v_ashrrev_i32_e32 v87, s20, v174
	v_add_u32_e32 v174, 0x4218, v176
	ds_read2_b32 v[176:177], v174 offset1:1
	v_and_b32_e32 v172, 0x3030303, v87
	v_bfe_u32 v87, v87, 24, 2
	s_waitcnt lgkmcnt(0)
	v_ashrrev_i32_e32 v174, s18, v176
	v_lshlrev_b32_e32 v174, 2, v174
	v_and_b32_e32 v174, 0x4040404, v174
	v_sub_u16_e32 v176, v172, v174
	v_sub_u16_sdwa v178, v172, v174 dst_sel:BYTE_1 dst_unused:UNUSED_PAD src0_sel:BYTE_1 src1_sel:BYTE_1
	v_sub_u16_sdwa v87, v87, v174 dst_sel:BYTE_1 dst_unused:UNUSED_PAD src0_sel:DWORD src1_sel:BYTE_3
	v_sub_u16_sdwa v172, v172, v174 dst_sel:DWORD dst_unused:UNUSED_PAD src0_sel:WORD_1 src1_sel:WORD_1
	v_or_b32_sdwa v176, v176, v178 dst_sel:DWORD dst_unused:UNUSED_PAD src0_sel:BYTE_0 src1_sel:DWORD
	v_or_b32_sdwa v87, v172, v87 dst_sel:WORD_1 dst_unused:UNUSED_PAD src0_sel:BYTE_0 src1_sel:DWORD
	v_or_b32_sdwa v174, v176, v87 dst_sel:DWORD dst_unused:UNUSED_PAD src0_sel:WORD_0 src1_sel:DWORD
	v_ashrrev_i32_e32 v87, s20, v175
	v_ashrrev_i32_e32 v175, s18, v177
	v_lshlrev_b32_e32 v175, 2, v175
	v_and_b32_e32 v172, 0x3030303, v87
	v_bfe_u32 v87, v87, 24, 2
	v_and_b32_e32 v175, 0x4040404, v175
	v_sub_u16_e32 v176, v172, v175
	v_sub_u16_sdwa v177, v172, v175 dst_sel:BYTE_1 dst_unused:UNUSED_PAD src0_sel:BYTE_1 src1_sel:BYTE_1
	v_sub_u16_sdwa v87, v87, v175 dst_sel:BYTE_1 dst_unused:UNUSED_PAD src0_sel:DWORD src1_sel:BYTE_3
	v_sub_u16_sdwa v172, v172, v175 dst_sel:DWORD dst_unused:UNUSED_PAD src0_sel:WORD_1 src1_sel:WORD_1
	v_or_b32_sdwa v176, v176, v177 dst_sel:DWORD dst_unused:UNUSED_PAD src0_sel:BYTE_0 src1_sel:DWORD
	v_or_b32_sdwa v87, v172, v87 dst_sel:WORD_1 dst_unused:UNUSED_PAD src0_sel:BYTE_0 src1_sel:DWORD
	v_or_b32_sdwa v175, v176, v87 dst_sel:DWORD dst_unused:UNUSED_PAD src0_sel:WORD_0 src1_sel:DWORD
	v_add3_u32 v87, v142, s21, v86
	v_add_u32_e32 v172, s24, v128
	ds_read_b32 v172, v172
	ds_read_u16 v87, v87 offset:8194
	v_mov_b32_e32 v176, 0
	v_dot4c_i32_i8_e32 v176, v167, v4
	v_dot4c_i32_i8_e32 v176, v168, v5
	v_dot4c_i32_i8_e32 v176, v169, v6
	s_waitcnt lgkmcnt(0)
	v_lshrrev_b16_e32 v178, 8, v87
	v_bfe_i32 v177, v87, 0, 8
	v_mov_b32_e32 v87, 0
	v_dot4c_i32_i8_e32 v87, v171, v0
	v_dot4c_i32_i8_e32 v87, v173, v1
	;; [unrolled: 1-line block ×5, first 2 shown]
	v_bfe_i32 v179, v178, 0, 8
	v_mul_lo_u32 v176, v176, v177
	s_nop 0
	v_mad_u64_u32 v[180:181], s[26:27], v87, v179, v[176:177]
	v_cvt_f32_i32_e32 v176, v180
	v_mul_f32_e32 v87, v84, v172
	v_fmac_f32_e32 v120, v87, v176
	v_add_u32_e32 v87, s23, v130
	ds_read2_b32 v[180:181], v87 offset1:1
	s_waitcnt lgkmcnt(0)
	v_ashrrev_i32_e32 v176, s20, v180
	v_add_u32_e32 v180, 0x4200, v188
	ds_read2_b32 v[182:183], v180 offset1:1
	v_and_b32_e32 v178, 0x3030303, v176
	v_bfe_u32 v176, v176, 24, 2
	s_waitcnt lgkmcnt(0)
	v_ashrrev_i32_e32 v180, s18, v182
	v_lshlrev_b32_e32 v180, 2, v180
	v_and_b32_e32 v180, 0x4040404, v180
	v_sub_u16_e32 v182, v178, v180
	v_sub_u16_sdwa v184, v178, v180 dst_sel:BYTE_1 dst_unused:UNUSED_PAD src0_sel:BYTE_1 src1_sel:BYTE_1
	v_sub_u16_sdwa v176, v176, v180 dst_sel:BYTE_1 dst_unused:UNUSED_PAD src0_sel:DWORD src1_sel:BYTE_3
	v_sub_u16_sdwa v178, v178, v180 dst_sel:DWORD dst_unused:UNUSED_PAD src0_sel:WORD_1 src1_sel:WORD_1
	v_or_b32_sdwa v176, v178, v176 dst_sel:WORD_1 dst_unused:UNUSED_PAD src0_sel:BYTE_0 src1_sel:DWORD
	v_ashrrev_i32_e32 v178, s20, v181
	v_ashrrev_i32_e32 v181, s18, v183
	v_lshlrev_b32_e32 v181, 2, v181
	v_or_b32_sdwa v182, v182, v184 dst_sel:DWORD dst_unused:UNUSED_PAD src0_sel:BYTE_0 src1_sel:DWORD
	v_and_b32_e32 v180, 0x3030303, v178
	v_bfe_u32 v178, v178, 24, 2
	v_and_b32_e32 v181, 0x4040404, v181
	v_or_b32_sdwa v176, v182, v176 dst_sel:DWORD dst_unused:UNUSED_PAD src0_sel:WORD_0 src1_sel:DWORD
	v_sub_u16_e32 v182, v180, v181
	v_sub_u16_sdwa v183, v180, v181 dst_sel:BYTE_1 dst_unused:UNUSED_PAD src0_sel:BYTE_1 src1_sel:BYTE_1
	v_sub_u16_sdwa v178, v178, v181 dst_sel:BYTE_1 dst_unused:UNUSED_PAD src0_sel:DWORD src1_sel:BYTE_3
	v_sub_u16_sdwa v180, v180, v181 dst_sel:DWORD dst_unused:UNUSED_PAD src0_sel:WORD_1 src1_sel:WORD_1
	v_or_b32_sdwa v182, v182, v183 dst_sel:DWORD dst_unused:UNUSED_PAD src0_sel:BYTE_0 src1_sel:DWORD
	v_or_b32_sdwa v178, v180, v178 dst_sel:WORD_1 dst_unused:UNUSED_PAD src0_sel:BYTE_0 src1_sel:DWORD
	v_or_b32_sdwa v178, v182, v178 dst_sel:DWORD dst_unused:UNUSED_PAD src0_sel:WORD_0 src1_sel:DWORD
	v_add_u32_e32 v182, 0x4208, v188
	ds_read2_b32 v[180:181], v87 offset0:2 offset1:3
	ds_read2_b32 v[182:183], v182 offset1:1
	s_waitcnt lgkmcnt(1)
	v_ashrrev_i32_e32 v180, s20, v180
	s_waitcnt lgkmcnt(0)
	v_ashrrev_i32_e32 v182, s18, v182
	v_lshlrev_b32_e32 v182, 2, v182
	v_and_b32_e32 v184, 0x3030303, v180
	v_bfe_u32 v180, v180, 24, 2
	v_and_b32_e32 v182, 0x4040404, v182
	v_ashrrev_i32_e32 v183, s18, v183
	v_sub_u16_e32 v185, v184, v182
	v_sub_u16_sdwa v186, v184, v182 dst_sel:BYTE_1 dst_unused:UNUSED_PAD src0_sel:BYTE_1 src1_sel:BYTE_1
	v_sub_u16_sdwa v180, v180, v182 dst_sel:BYTE_1 dst_unused:UNUSED_PAD src0_sel:DWORD src1_sel:BYTE_3
	v_sub_u16_sdwa v182, v184, v182 dst_sel:DWORD dst_unused:UNUSED_PAD src0_sel:WORD_1 src1_sel:WORD_1
	v_ashrrev_i32_e32 v181, s20, v181
	v_lshlrev_b32_e32 v183, 2, v183
	v_or_b32_sdwa v185, v185, v186 dst_sel:DWORD dst_unused:UNUSED_PAD src0_sel:BYTE_0 src1_sel:DWORD
	v_or_b32_sdwa v180, v182, v180 dst_sel:WORD_1 dst_unused:UNUSED_PAD src0_sel:BYTE_0 src1_sel:DWORD
	v_and_b32_e32 v182, 0x3030303, v181
	v_bfe_u32 v181, v181, 24, 2
	v_and_b32_e32 v183, 0x4040404, v183
	v_or_b32_sdwa v180, v185, v180 dst_sel:DWORD dst_unused:UNUSED_PAD src0_sel:WORD_0 src1_sel:DWORD
	v_sub_u16_e32 v184, v182, v183
	v_sub_u16_sdwa v185, v182, v183 dst_sel:BYTE_1 dst_unused:UNUSED_PAD src0_sel:BYTE_1 src1_sel:BYTE_1
	v_sub_u16_sdwa v181, v181, v183 dst_sel:BYTE_1 dst_unused:UNUSED_PAD src0_sel:DWORD src1_sel:BYTE_3
	v_sub_u16_sdwa v182, v182, v183 dst_sel:DWORD dst_unused:UNUSED_PAD src0_sel:WORD_1 src1_sel:WORD_1
	v_or_b32_sdwa v184, v184, v185 dst_sel:DWORD dst_unused:UNUSED_PAD src0_sel:BYTE_0 src1_sel:DWORD
	v_or_b32_sdwa v181, v182, v181 dst_sel:WORD_1 dst_unused:UNUSED_PAD src0_sel:BYTE_0 src1_sel:DWORD
	v_or_b32_sdwa v181, v184, v181 dst_sel:DWORD dst_unused:UNUSED_PAD src0_sel:WORD_0 src1_sel:DWORD
	v_add_u32_e32 v184, 0x4210, v188
	ds_read2_b32 v[182:183], v87 offset0:4 offset1:5
	ds_read2_b32 v[184:185], v184 offset1:1
	s_waitcnt lgkmcnt(1)
	v_ashrrev_i32_e32 v182, s20, v182
	s_waitcnt lgkmcnt(0)
	v_ashrrev_i32_e32 v184, s18, v184
	v_lshlrev_b32_e32 v184, 2, v184
	v_and_b32_e32 v186, 0x3030303, v182
	v_bfe_u32 v182, v182, 24, 2
	v_and_b32_e32 v184, 0x4040404, v184
	v_ashrrev_i32_e32 v185, s18, v185
	v_sub_u16_e32 v187, v186, v184
	v_sub_u16_sdwa v189, v186, v184 dst_sel:BYTE_1 dst_unused:UNUSED_PAD src0_sel:BYTE_1 src1_sel:BYTE_1
	v_sub_u16_sdwa v182, v182, v184 dst_sel:BYTE_1 dst_unused:UNUSED_PAD src0_sel:DWORD src1_sel:BYTE_3
	v_sub_u16_sdwa v184, v186, v184 dst_sel:DWORD dst_unused:UNUSED_PAD src0_sel:WORD_1 src1_sel:WORD_1
	v_ashrrev_i32_e32 v183, s20, v183
	v_lshlrev_b32_e32 v185, 2, v185
	v_or_b32_sdwa v187, v187, v189 dst_sel:DWORD dst_unused:UNUSED_PAD src0_sel:BYTE_0 src1_sel:DWORD
	v_or_b32_sdwa v182, v184, v182 dst_sel:WORD_1 dst_unused:UNUSED_PAD src0_sel:BYTE_0 src1_sel:DWORD
	v_and_b32_e32 v184, 0x3030303, v183
	v_bfe_u32 v183, v183, 24, 2
	v_and_b32_e32 v185, 0x4040404, v185
	v_or_b32_sdwa v182, v187, v182 dst_sel:DWORD dst_unused:UNUSED_PAD src0_sel:WORD_0 src1_sel:DWORD
	v_sub_u16_e32 v186, v184, v185
	v_sub_u16_sdwa v187, v184, v185 dst_sel:BYTE_1 dst_unused:UNUSED_PAD src0_sel:BYTE_1 src1_sel:BYTE_1
	v_sub_u16_sdwa v183, v183, v185 dst_sel:BYTE_1 dst_unused:UNUSED_PAD src0_sel:DWORD src1_sel:BYTE_3
	v_sub_u16_sdwa v184, v184, v185 dst_sel:DWORD dst_unused:UNUSED_PAD src0_sel:WORD_1 src1_sel:WORD_1
	v_or_b32_sdwa v186, v186, v187 dst_sel:DWORD dst_unused:UNUSED_PAD src0_sel:BYTE_0 src1_sel:DWORD
	v_or_b32_sdwa v183, v184, v183 dst_sel:WORD_1 dst_unused:UNUSED_PAD src0_sel:BYTE_0 src1_sel:DWORD
	v_add_u32_e32 v185, 0x4218, v188
	v_or_b32_sdwa v184, v186, v183 dst_sel:DWORD dst_unused:UNUSED_PAD src0_sel:WORD_0 src1_sel:DWORD
	ds_read2_b32 v[186:187], v87 offset0:6 offset1:7
	ds_read2_b32 v[188:189], v185 offset1:1
	s_waitcnt lgkmcnt(1)
	v_ashrrev_i32_e32 v87, s20, v186
	s_waitcnt lgkmcnt(0)
	v_ashrrev_i32_e32 v185, s18, v188
	v_lshlrev_b32_e32 v185, 2, v185
	v_and_b32_e32 v183, 0x3030303, v87
	v_bfe_u32 v87, v87, 24, 2
	v_and_b32_e32 v185, 0x4040404, v185
	v_sub_u16_e32 v186, v183, v185
	v_sub_u16_sdwa v188, v183, v185 dst_sel:BYTE_1 dst_unused:UNUSED_PAD src0_sel:BYTE_1 src1_sel:BYTE_1
	v_sub_u16_sdwa v87, v87, v185 dst_sel:BYTE_1 dst_unused:UNUSED_PAD src0_sel:DWORD src1_sel:BYTE_3
	v_sub_u16_sdwa v183, v183, v185 dst_sel:DWORD dst_unused:UNUSED_PAD src0_sel:WORD_1 src1_sel:WORD_1
	v_or_b32_sdwa v186, v186, v188 dst_sel:DWORD dst_unused:UNUSED_PAD src0_sel:BYTE_0 src1_sel:DWORD
	v_or_b32_sdwa v87, v183, v87 dst_sel:WORD_1 dst_unused:UNUSED_PAD src0_sel:BYTE_0 src1_sel:DWORD
	v_or_b32_sdwa v185, v186, v87 dst_sel:DWORD dst_unused:UNUSED_PAD src0_sel:WORD_0 src1_sel:DWORD
	v_ashrrev_i32_e32 v186, s18, v189
	v_ashrrev_i32_e32 v87, s20, v187
	v_lshlrev_b32_e32 v186, 2, v186
	v_and_b32_e32 v183, 0x3030303, v87
	v_bfe_u32 v87, v87, 24, 2
	v_and_b32_e32 v186, 0x4040404, v186
	v_sub_u16_e32 v187, v183, v186
	v_sub_u16_sdwa v188, v183, v186 dst_sel:BYTE_1 dst_unused:UNUSED_PAD src0_sel:BYTE_1 src1_sel:BYTE_1
	v_sub_u16_sdwa v87, v87, v186 dst_sel:BYTE_1 dst_unused:UNUSED_PAD src0_sel:DWORD src1_sel:BYTE_3
	v_sub_u16_sdwa v183, v183, v186 dst_sel:DWORD dst_unused:UNUSED_PAD src0_sel:WORD_1 src1_sel:WORD_1
	v_or_b32_sdwa v187, v187, v188 dst_sel:DWORD dst_unused:UNUSED_PAD src0_sel:BYTE_0 src1_sel:DWORD
	v_or_b32_sdwa v87, v183, v87 dst_sel:WORD_1 dst_unused:UNUSED_PAD src0_sel:BYTE_0 src1_sel:DWORD
	v_or_b32_sdwa v186, v187, v87 dst_sel:DWORD dst_unused:UNUSED_PAD src0_sel:WORD_0 src1_sel:DWORD
	v_add3_u32 v87, v144, s21, v86
	v_add_u32_e32 v183, s24, v131
	ds_read_b32 v183, v183
	ds_read_u16 v87, v87 offset:9218
	v_mov_b32_e32 v188, 0
	v_dot4c_i32_i8_e32 v188, v176, v4
	v_dot4c_i32_i8_e32 v188, v178, v5
	;; [unrolled: 1-line block ×3, first 2 shown]
	s_waitcnt lgkmcnt(0)
	v_lshrrev_b16_e32 v189, 8, v87
	v_bfe_i32 v187, v87, 0, 8
	v_mov_b32_e32 v87, 0
	v_dot4c_i32_i8_e32 v87, v182, v0
	v_dot4c_i32_i8_e32 v87, v184, v1
	;; [unrolled: 1-line block ×5, first 2 shown]
	v_bfe_i32 v190, v189, 0, 8
	v_mul_lo_u32 v188, v188, v187
	s_nop 0
	v_mad_u64_u32 v[188:189], s[26:27], v87, v190, v[188:189]
	v_cvt_f32_i32_e32 v188, v188
	v_mul_f32_e32 v87, v84, v183
	v_fmac_f32_e32 v109, v87, v188
	v_add_u32_e32 v87, s23, v133
	ds_read2_b32 v[188:189], v87 offset1:1
	s_waitcnt lgkmcnt(0)
	v_ashrrev_i32_e32 v188, s20, v188
	v_and_b32_e32 v191, 0x3030303, v188
	v_bfe_u32 v188, v188, 24, 2
	v_sub_u16_e32 v194, v191, v192
	v_sub_u16_sdwa v195, v191, v192 dst_sel:BYTE_1 dst_unused:UNUSED_PAD src0_sel:BYTE_1 src1_sel:BYTE_1
	v_sub_u16_sdwa v188, v188, v192 dst_sel:BYTE_1 dst_unused:UNUSED_PAD src0_sel:DWORD src1_sel:BYTE_3
	v_sub_u16_sdwa v191, v191, v192 dst_sel:DWORD dst_unused:UNUSED_PAD src0_sel:WORD_1 src1_sel:WORD_1
	v_ashrrev_i32_e32 v192, s18, v193
	v_ashrrev_i32_e32 v189, s20, v189
	v_lshlrev_b32_e32 v192, 2, v192
	v_or_b32_sdwa v194, v194, v195 dst_sel:DWORD dst_unused:UNUSED_PAD src0_sel:BYTE_0 src1_sel:DWORD
	v_or_b32_sdwa v188, v191, v188 dst_sel:WORD_1 dst_unused:UNUSED_PAD src0_sel:BYTE_0 src1_sel:DWORD
	v_and_b32_e32 v191, 0x3030303, v189
	v_bfe_u32 v189, v189, 24, 2
	v_and_b32_e32 v192, 0x4040404, v192
	v_or_b32_sdwa v188, v194, v188 dst_sel:DWORD dst_unused:UNUSED_PAD src0_sel:WORD_0 src1_sel:DWORD
	v_sub_u16_e32 v193, v191, v192
	v_sub_u16_sdwa v194, v191, v192 dst_sel:BYTE_1 dst_unused:UNUSED_PAD src0_sel:BYTE_1 src1_sel:BYTE_1
	v_sub_u16_sdwa v189, v189, v192 dst_sel:BYTE_1 dst_unused:UNUSED_PAD src0_sel:DWORD src1_sel:BYTE_3
	v_sub_u16_sdwa v191, v191, v192 dst_sel:DWORD dst_unused:UNUSED_PAD src0_sel:WORD_1 src1_sel:WORD_1
	v_or_b32_sdwa v193, v193, v194 dst_sel:DWORD dst_unused:UNUSED_PAD src0_sel:BYTE_0 src1_sel:DWORD
	v_or_b32_sdwa v189, v191, v189 dst_sel:WORD_1 dst_unused:UNUSED_PAD src0_sel:BYTE_0 src1_sel:DWORD
	v_add_u32_e32 v194, 0x4208, v198
	v_or_b32_sdwa v189, v193, v189 dst_sel:DWORD dst_unused:UNUSED_PAD src0_sel:WORD_0 src1_sel:DWORD
	ds_read2_b32 v[192:193], v87 offset0:2 offset1:3
	ds_read2_b32 v[194:195], v194 offset1:1
	s_waitcnt lgkmcnt(1)
	v_ashrrev_i32_e32 v191, s20, v192
	s_waitcnt lgkmcnt(0)
	v_ashrrev_i32_e32 v194, s18, v194
	v_lshlrev_b32_e32 v194, 2, v194
	v_and_b32_e32 v192, 0x3030303, v191
	v_bfe_u32 v191, v191, 24, 2
	v_and_b32_e32 v194, 0x4040404, v194
	v_sub_u16_e32 v196, v192, v194
	v_sub_u16_sdwa v197, v192, v194 dst_sel:BYTE_1 dst_unused:UNUSED_PAD src0_sel:BYTE_1 src1_sel:BYTE_1
	v_sub_u16_sdwa v191, v191, v194 dst_sel:BYTE_1 dst_unused:UNUSED_PAD src0_sel:DWORD src1_sel:BYTE_3
	v_sub_u16_sdwa v192, v192, v194 dst_sel:DWORD dst_unused:UNUSED_PAD src0_sel:WORD_1 src1_sel:WORD_1
	v_ashrrev_i32_e32 v194, s18, v195
	v_or_b32_sdwa v191, v192, v191 dst_sel:WORD_1 dst_unused:UNUSED_PAD src0_sel:BYTE_0 src1_sel:DWORD
	v_ashrrev_i32_e32 v192, s20, v193
	v_lshlrev_b32_e32 v194, 2, v194
	v_or_b32_sdwa v196, v196, v197 dst_sel:DWORD dst_unused:UNUSED_PAD src0_sel:BYTE_0 src1_sel:DWORD
	v_and_b32_e32 v193, 0x3030303, v192
	v_bfe_u32 v192, v192, 24, 2
	v_and_b32_e32 v194, 0x4040404, v194
	v_or_b32_sdwa v191, v196, v191 dst_sel:DWORD dst_unused:UNUSED_PAD src0_sel:WORD_0 src1_sel:DWORD
	v_sub_u16_e32 v195, v193, v194
	v_sub_u16_sdwa v196, v193, v194 dst_sel:BYTE_1 dst_unused:UNUSED_PAD src0_sel:BYTE_1 src1_sel:BYTE_1
	v_sub_u16_sdwa v192, v192, v194 dst_sel:BYTE_1 dst_unused:UNUSED_PAD src0_sel:DWORD src1_sel:BYTE_3
	v_sub_u16_sdwa v193, v193, v194 dst_sel:DWORD dst_unused:UNUSED_PAD src0_sel:WORD_1 src1_sel:WORD_1
	v_or_b32_sdwa v195, v195, v196 dst_sel:DWORD dst_unused:UNUSED_PAD src0_sel:BYTE_0 src1_sel:DWORD
	v_or_b32_sdwa v192, v193, v192 dst_sel:WORD_1 dst_unused:UNUSED_PAD src0_sel:BYTE_0 src1_sel:DWORD
	v_add_u32_e32 v196, 0x4210, v198
	v_or_b32_sdwa v192, v195, v192 dst_sel:DWORD dst_unused:UNUSED_PAD src0_sel:WORD_0 src1_sel:DWORD
	ds_read2_b32 v[194:195], v87 offset0:4 offset1:5
	ds_read2_b32 v[196:197], v196 offset1:1
	s_waitcnt lgkmcnt(1)
	v_ashrrev_i32_e32 v193, s20, v194
	s_waitcnt lgkmcnt(0)
	v_ashrrev_i32_e32 v196, s18, v196
	v_lshlrev_b32_e32 v196, 2, v196
	v_and_b32_e32 v194, 0x3030303, v193
	v_bfe_u32 v193, v193, 24, 2
	v_and_b32_e32 v196, 0x4040404, v196
	v_sub_u16_e32 v199, v194, v196
	v_sub_u16_sdwa v200, v194, v196 dst_sel:BYTE_1 dst_unused:UNUSED_PAD src0_sel:BYTE_1 src1_sel:BYTE_1
	v_sub_u16_sdwa v193, v193, v196 dst_sel:BYTE_1 dst_unused:UNUSED_PAD src0_sel:DWORD src1_sel:BYTE_3
	v_sub_u16_sdwa v194, v194, v196 dst_sel:DWORD dst_unused:UNUSED_PAD src0_sel:WORD_1 src1_sel:WORD_1
	v_ashrrev_i32_e32 v196, s18, v197
	v_or_b32_sdwa v193, v194, v193 dst_sel:WORD_1 dst_unused:UNUSED_PAD src0_sel:BYTE_0 src1_sel:DWORD
	v_ashrrev_i32_e32 v194, s20, v195
	v_lshlrev_b32_e32 v196, 2, v196
	v_or_b32_sdwa v199, v199, v200 dst_sel:DWORD dst_unused:UNUSED_PAD src0_sel:BYTE_0 src1_sel:DWORD
	v_and_b32_e32 v195, 0x3030303, v194
	v_bfe_u32 v194, v194, 24, 2
	v_and_b32_e32 v196, 0x4040404, v196
	v_or_b32_sdwa v193, v199, v193 dst_sel:DWORD dst_unused:UNUSED_PAD src0_sel:WORD_0 src1_sel:DWORD
	v_sub_u16_e32 v197, v195, v196
	v_sub_u16_sdwa v199, v195, v196 dst_sel:BYTE_1 dst_unused:UNUSED_PAD src0_sel:BYTE_1 src1_sel:BYTE_1
	v_sub_u16_sdwa v194, v194, v196 dst_sel:BYTE_1 dst_unused:UNUSED_PAD src0_sel:DWORD src1_sel:BYTE_3
	v_sub_u16_sdwa v195, v195, v196 dst_sel:DWORD dst_unused:UNUSED_PAD src0_sel:WORD_1 src1_sel:WORD_1
	v_or_b32_sdwa v197, v197, v199 dst_sel:DWORD dst_unused:UNUSED_PAD src0_sel:BYTE_0 src1_sel:DWORD
	v_or_b32_sdwa v194, v195, v194 dst_sel:WORD_1 dst_unused:UNUSED_PAD src0_sel:BYTE_0 src1_sel:DWORD
	v_or_b32_sdwa v195, v197, v194 dst_sel:DWORD dst_unused:UNUSED_PAD src0_sel:WORD_0 src1_sel:DWORD
	ds_read2_b32 v[196:197], v87 offset0:6 offset1:7
	s_waitcnt lgkmcnt(0)
	v_ashrrev_i32_e32 v87, s20, v196
	v_add_u32_e32 v196, 0x4218, v198
	ds_read2_b32 v[198:199], v196 offset1:1
	v_and_b32_e32 v194, 0x3030303, v87
	v_bfe_u32 v87, v87, 24, 2
	s_waitcnt lgkmcnt(0)
	v_ashrrev_i32_e32 v196, s18, v198
	v_lshlrev_b32_e32 v196, 2, v196
	v_and_b32_e32 v196, 0x4040404, v196
	v_sub_u16_e32 v198, v194, v196
	v_sub_u16_sdwa v200, v194, v196 dst_sel:BYTE_1 dst_unused:UNUSED_PAD src0_sel:BYTE_1 src1_sel:BYTE_1
	v_sub_u16_sdwa v87, v87, v196 dst_sel:BYTE_1 dst_unused:UNUSED_PAD src0_sel:DWORD src1_sel:BYTE_3
	v_sub_u16_sdwa v194, v194, v196 dst_sel:DWORD dst_unused:UNUSED_PAD src0_sel:WORD_1 src1_sel:WORD_1
	v_or_b32_sdwa v198, v198, v200 dst_sel:DWORD dst_unused:UNUSED_PAD src0_sel:BYTE_0 src1_sel:DWORD
	v_or_b32_sdwa v87, v194, v87 dst_sel:WORD_1 dst_unused:UNUSED_PAD src0_sel:BYTE_0 src1_sel:DWORD
	v_or_b32_sdwa v196, v198, v87 dst_sel:DWORD dst_unused:UNUSED_PAD src0_sel:WORD_0 src1_sel:DWORD
	v_ashrrev_i32_e32 v87, s20, v197
	v_ashrrev_i32_e32 v197, s18, v199
	v_lshlrev_b32_e32 v197, 2, v197
	v_and_b32_e32 v194, 0x3030303, v87
	v_bfe_u32 v87, v87, 24, 2
	v_and_b32_e32 v197, 0x4040404, v197
	v_sub_u16_e32 v198, v194, v197
	v_sub_u16_sdwa v199, v194, v197 dst_sel:BYTE_1 dst_unused:UNUSED_PAD src0_sel:BYTE_1 src1_sel:BYTE_1
	v_sub_u16_sdwa v87, v87, v197 dst_sel:BYTE_1 dst_unused:UNUSED_PAD src0_sel:DWORD src1_sel:BYTE_3
	v_sub_u16_sdwa v194, v194, v197 dst_sel:DWORD dst_unused:UNUSED_PAD src0_sel:WORD_1 src1_sel:WORD_1
	v_or_b32_sdwa v198, v198, v199 dst_sel:DWORD dst_unused:UNUSED_PAD src0_sel:BYTE_0 src1_sel:DWORD
	v_or_b32_sdwa v87, v194, v87 dst_sel:WORD_1 dst_unused:UNUSED_PAD src0_sel:BYTE_0 src1_sel:DWORD
	v_or_b32_sdwa v197, v198, v87 dst_sel:DWORD dst_unused:UNUSED_PAD src0_sel:WORD_0 src1_sel:DWORD
	v_add3_u32 v87, v146, s21, v86
	v_add_u32_e32 v194, s24, v134
	ds_read_b32 v194, v194
	ds_read_u16 v87, v87 offset:10242
	v_mov_b32_e32 v199, 0
	v_dot4c_i32_i8_e32 v199, v188, v4
	v_dot4c_i32_i8_e32 v199, v189, v5
	;; [unrolled: 1-line block ×3, first 2 shown]
	s_waitcnt lgkmcnt(0)
	v_lshrrev_b16_e32 v201, 8, v87
	v_bfe_i32 v198, v87, 0, 8
	v_mov_b32_e32 v87, 0
	v_dot4c_i32_i8_e32 v87, v193, v0
	v_dot4c_i32_i8_e32 v87, v195, v1
	;; [unrolled: 1-line block ×5, first 2 shown]
	v_bfe_i32 v201, v201, 0, 8
	v_mul_lo_u32 v200, v199, v198
	v_add3_u32 v86, v148, s21, v86
	v_mad_u64_u32 v[202:203], s[26:27], v87, v201, v[200:201]
	v_cvt_f32_i32_e32 v199, v202
	v_mul_f32_e32 v87, v84, v194
	s_mov_b32 s21, s20
	v_fmac_f32_e32 v104, v87, v199
	v_add_u32_e32 v87, s23, v136
	ds_read2_b32 v[202:203], v87 offset1:1
	s_waitcnt lgkmcnt(0)
	v_ashrrev_i32_e32 v199, s20, v202
	v_add_u32_e32 v202, 0x4200, v210
	ds_read2_b32 v[204:205], v202 offset1:1
	v_and_b32_e32 v200, 0x3030303, v199
	v_bfe_u32 v199, v199, 24, 2
	s_waitcnt lgkmcnt(0)
	v_ashrrev_i32_e32 v202, s18, v204
	v_lshlrev_b32_e32 v202, 2, v202
	v_and_b32_e32 v202, 0x4040404, v202
	v_sub_u16_e32 v204, v200, v202
	v_sub_u16_sdwa v206, v200, v202 dst_sel:BYTE_1 dst_unused:UNUSED_PAD src0_sel:BYTE_1 src1_sel:BYTE_1
	v_sub_u16_sdwa v199, v199, v202 dst_sel:BYTE_1 dst_unused:UNUSED_PAD src0_sel:DWORD src1_sel:BYTE_3
	v_sub_u16_sdwa v200, v200, v202 dst_sel:DWORD dst_unused:UNUSED_PAD src0_sel:WORD_1 src1_sel:WORD_1
	v_or_b32_sdwa v199, v200, v199 dst_sel:WORD_1 dst_unused:UNUSED_PAD src0_sel:BYTE_0 src1_sel:DWORD
	v_ashrrev_i32_e32 v200, s20, v203
	v_ashrrev_i32_e32 v203, s18, v205
	v_lshlrev_b32_e32 v203, 2, v203
	v_or_b32_sdwa v204, v204, v206 dst_sel:DWORD dst_unused:UNUSED_PAD src0_sel:BYTE_0 src1_sel:DWORD
	v_and_b32_e32 v202, 0x3030303, v200
	v_bfe_u32 v200, v200, 24, 2
	v_and_b32_e32 v203, 0x4040404, v203
	v_or_b32_sdwa v199, v204, v199 dst_sel:DWORD dst_unused:UNUSED_PAD src0_sel:WORD_0 src1_sel:DWORD
	v_sub_u16_e32 v204, v202, v203
	v_sub_u16_sdwa v205, v202, v203 dst_sel:BYTE_1 dst_unused:UNUSED_PAD src0_sel:BYTE_1 src1_sel:BYTE_1
	v_sub_u16_sdwa v200, v200, v203 dst_sel:BYTE_1 dst_unused:UNUSED_PAD src0_sel:DWORD src1_sel:BYTE_3
	v_sub_u16_sdwa v202, v202, v203 dst_sel:DWORD dst_unused:UNUSED_PAD src0_sel:WORD_1 src1_sel:WORD_1
	v_or_b32_sdwa v204, v204, v205 dst_sel:DWORD dst_unused:UNUSED_PAD src0_sel:BYTE_0 src1_sel:DWORD
	v_or_b32_sdwa v200, v202, v200 dst_sel:WORD_1 dst_unused:UNUSED_PAD src0_sel:BYTE_0 src1_sel:DWORD
	v_or_b32_sdwa v200, v204, v200 dst_sel:DWORD dst_unused:UNUSED_PAD src0_sel:WORD_0 src1_sel:DWORD
	v_add_u32_e32 v204, 0x4208, v210
	ds_read2_b32 v[202:203], v87 offset0:2 offset1:3
	ds_read2_b32 v[204:205], v204 offset1:1
	s_waitcnt lgkmcnt(1)
	v_ashrrev_i32_e32 v202, s20, v202
	s_waitcnt lgkmcnt(0)
	v_ashrrev_i32_e32 v204, s18, v204
	v_lshlrev_b32_e32 v204, 2, v204
	v_and_b32_e32 v206, 0x3030303, v202
	v_bfe_u32 v202, v202, 24, 2
	v_and_b32_e32 v204, 0x4040404, v204
	v_ashrrev_i32_e32 v205, s18, v205
	v_sub_u16_e32 v207, v206, v204
	v_sub_u16_sdwa v208, v206, v204 dst_sel:BYTE_1 dst_unused:UNUSED_PAD src0_sel:BYTE_1 src1_sel:BYTE_1
	v_sub_u16_sdwa v202, v202, v204 dst_sel:BYTE_1 dst_unused:UNUSED_PAD src0_sel:DWORD src1_sel:BYTE_3
	v_sub_u16_sdwa v204, v206, v204 dst_sel:DWORD dst_unused:UNUSED_PAD src0_sel:WORD_1 src1_sel:WORD_1
	v_ashrrev_i32_e32 v203, s20, v203
	v_lshlrev_b32_e32 v205, 2, v205
	v_or_b32_sdwa v207, v207, v208 dst_sel:DWORD dst_unused:UNUSED_PAD src0_sel:BYTE_0 src1_sel:DWORD
	v_or_b32_sdwa v202, v204, v202 dst_sel:WORD_1 dst_unused:UNUSED_PAD src0_sel:BYTE_0 src1_sel:DWORD
	v_and_b32_e32 v204, 0x3030303, v203
	v_bfe_u32 v203, v203, 24, 2
	v_and_b32_e32 v205, 0x4040404, v205
	v_or_b32_sdwa v202, v207, v202 dst_sel:DWORD dst_unused:UNUSED_PAD src0_sel:WORD_0 src1_sel:DWORD
	v_sub_u16_e32 v206, v204, v205
	v_sub_u16_sdwa v207, v204, v205 dst_sel:BYTE_1 dst_unused:UNUSED_PAD src0_sel:BYTE_1 src1_sel:BYTE_1
	v_sub_u16_sdwa v203, v203, v205 dst_sel:BYTE_1 dst_unused:UNUSED_PAD src0_sel:DWORD src1_sel:BYTE_3
	v_sub_u16_sdwa v204, v204, v205 dst_sel:DWORD dst_unused:UNUSED_PAD src0_sel:WORD_1 src1_sel:WORD_1
	v_or_b32_sdwa v206, v206, v207 dst_sel:DWORD dst_unused:UNUSED_PAD src0_sel:BYTE_0 src1_sel:DWORD
	v_or_b32_sdwa v203, v204, v203 dst_sel:WORD_1 dst_unused:UNUSED_PAD src0_sel:BYTE_0 src1_sel:DWORD
	v_or_b32_sdwa v203, v206, v203 dst_sel:DWORD dst_unused:UNUSED_PAD src0_sel:WORD_0 src1_sel:DWORD
	v_add_u32_e32 v206, 0x4210, v210
	ds_read2_b32 v[204:205], v87 offset0:4 offset1:5
	ds_read2_b32 v[206:207], v206 offset1:1
	s_waitcnt lgkmcnt(1)
	v_ashrrev_i32_e32 v204, s20, v204
	s_waitcnt lgkmcnt(0)
	v_ashrrev_i32_e32 v206, s18, v206
	v_lshlrev_b32_e32 v206, 2, v206
	v_and_b32_e32 v208, 0x3030303, v204
	v_bfe_u32 v204, v204, 24, 2
	v_and_b32_e32 v206, 0x4040404, v206
	v_ashrrev_i32_e32 v207, s18, v207
	v_sub_u16_e32 v209, v208, v206
	v_sub_u16_sdwa v211, v208, v206 dst_sel:BYTE_1 dst_unused:UNUSED_PAD src0_sel:BYTE_1 src1_sel:BYTE_1
	v_sub_u16_sdwa v204, v204, v206 dst_sel:BYTE_1 dst_unused:UNUSED_PAD src0_sel:DWORD src1_sel:BYTE_3
	v_sub_u16_sdwa v206, v208, v206 dst_sel:DWORD dst_unused:UNUSED_PAD src0_sel:WORD_1 src1_sel:WORD_1
	v_ashrrev_i32_e32 v205, s20, v205
	v_lshlrev_b32_e32 v207, 2, v207
	v_or_b32_sdwa v209, v209, v211 dst_sel:DWORD dst_unused:UNUSED_PAD src0_sel:BYTE_0 src1_sel:DWORD
	v_or_b32_sdwa v204, v206, v204 dst_sel:WORD_1 dst_unused:UNUSED_PAD src0_sel:BYTE_0 src1_sel:DWORD
	v_and_b32_e32 v206, 0x3030303, v205
	v_bfe_u32 v205, v205, 24, 2
	v_and_b32_e32 v207, 0x4040404, v207
	v_or_b32_sdwa v204, v209, v204 dst_sel:DWORD dst_unused:UNUSED_PAD src0_sel:WORD_0 src1_sel:DWORD
	v_sub_u16_e32 v208, v206, v207
	v_sub_u16_sdwa v209, v206, v207 dst_sel:BYTE_1 dst_unused:UNUSED_PAD src0_sel:BYTE_1 src1_sel:BYTE_1
	v_sub_u16_sdwa v205, v205, v207 dst_sel:BYTE_1 dst_unused:UNUSED_PAD src0_sel:DWORD src1_sel:BYTE_3
	v_sub_u16_sdwa v206, v206, v207 dst_sel:DWORD dst_unused:UNUSED_PAD src0_sel:WORD_1 src1_sel:WORD_1
	v_or_b32_sdwa v208, v208, v209 dst_sel:DWORD dst_unused:UNUSED_PAD src0_sel:BYTE_0 src1_sel:DWORD
	v_or_b32_sdwa v205, v206, v205 dst_sel:WORD_1 dst_unused:UNUSED_PAD src0_sel:BYTE_0 src1_sel:DWORD
	v_add_u32_e32 v207, 0x4218, v210
	v_or_b32_sdwa v206, v208, v205 dst_sel:DWORD dst_unused:UNUSED_PAD src0_sel:WORD_0 src1_sel:DWORD
	ds_read2_b32 v[208:209], v87 offset0:6 offset1:7
	ds_read2_b32 v[210:211], v207 offset1:1
	s_waitcnt lgkmcnt(1)
	v_ashrrev_i32_e32 v87, s20, v208
	s_waitcnt lgkmcnt(0)
	v_ashrrev_i32_e32 v207, s18, v210
	v_lshlrev_b32_e32 v207, 2, v207
	v_and_b32_e32 v205, 0x3030303, v87
	v_bfe_u32 v87, v87, 24, 2
	v_and_b32_e32 v207, 0x4040404, v207
	v_sub_u16_e32 v208, v205, v207
	v_sub_u16_sdwa v210, v205, v207 dst_sel:BYTE_1 dst_unused:UNUSED_PAD src0_sel:BYTE_1 src1_sel:BYTE_1
	v_sub_u16_sdwa v87, v87, v207 dst_sel:BYTE_1 dst_unused:UNUSED_PAD src0_sel:DWORD src1_sel:BYTE_3
	v_sub_u16_sdwa v205, v205, v207 dst_sel:DWORD dst_unused:UNUSED_PAD src0_sel:WORD_1 src1_sel:WORD_1
	v_or_b32_sdwa v208, v208, v210 dst_sel:DWORD dst_unused:UNUSED_PAD src0_sel:BYTE_0 src1_sel:DWORD
	v_or_b32_sdwa v87, v205, v87 dst_sel:WORD_1 dst_unused:UNUSED_PAD src0_sel:BYTE_0 src1_sel:DWORD
	v_or_b32_sdwa v207, v208, v87 dst_sel:DWORD dst_unused:UNUSED_PAD src0_sel:WORD_0 src1_sel:DWORD
	v_ashrrev_i32_e32 v208, s18, v211
	v_ashrrev_i32_e32 v87, s20, v209
	v_lshlrev_b32_e32 v208, 2, v208
	v_and_b32_e32 v205, 0x3030303, v87
	v_bfe_u32 v87, v87, 24, 2
	v_and_b32_e32 v208, 0x4040404, v208
	v_sub_u16_e32 v209, v205, v208
	v_sub_u16_sdwa v210, v205, v208 dst_sel:BYTE_1 dst_unused:UNUSED_PAD src0_sel:BYTE_1 src1_sel:BYTE_1
	v_sub_u16_sdwa v87, v87, v208 dst_sel:BYTE_1 dst_unused:UNUSED_PAD src0_sel:DWORD src1_sel:BYTE_3
	v_sub_u16_sdwa v205, v205, v208 dst_sel:DWORD dst_unused:UNUSED_PAD src0_sel:WORD_1 src1_sel:WORD_1
	v_or_b32_sdwa v209, v209, v210 dst_sel:DWORD dst_unused:UNUSED_PAD src0_sel:BYTE_0 src1_sel:DWORD
	v_or_b32_sdwa v87, v205, v87 dst_sel:WORD_1 dst_unused:UNUSED_PAD src0_sel:BYTE_0 src1_sel:DWORD
	v_or_b32_sdwa v208, v209, v87 dst_sel:DWORD dst_unused:UNUSED_PAD src0_sel:WORD_0 src1_sel:DWORD
	v_add_u32_e32 v87, s24, v137
	ds_read_b32 v205, v87
	v_mov_b32_e32 v87, 0
	v_dot4c_i32_i8_e32 v87, v199, v4
	ds_read_u16 v4, v86 offset:11266
	v_dot4c_i32_i8_e32 v87, v200, v5
	v_dot4c_i32_i8_e32 v87, v202, v6
	v_mov_b32_e32 v6, 0
	v_dot4c_i32_i8_e32 v6, v204, v0
	v_dot4c_i32_i8_e32 v6, v206, v1
	;; [unrolled: 1-line block ×3, first 2 shown]
	s_waitcnt lgkmcnt(0)
	v_lshrrev_b16_e32 v5, 8, v4
	v_bfe_i32 v209, v4, 0, 8
	v_dot4c_i32_i8_e32 v6, v207, v2
	v_mul_lo_u32 v4, v87, v209
	v_dot4c_i32_i8_e32 v6, v208, v3
	v_bfe_i32 v210, v5, 0, 8
	v_mov_b32_e32 v86, 0
	s_add_i32 s18, s18, 1
	v_mad_u64_u32 v[0:1], s[22:23], v6, v210, v[4:5]
	v_cvt_f32_i32_e32 v0, v0
	v_mul_f32_e32 v1, v84, v205
	v_mov_b32_e32 v84, 0
	s_cmp_lt_u32 s20, 6
	v_fmac_f32_e32 v102, v1, v0
	ds_read_b128 v[0:3], v165 offset:26368
	ds_read_b128 v[4:7], v165 offset:26384
	s_waitcnt lgkmcnt(1)
	v_dot4c_i32_i8_e32 v84, v167, v0
	v_dot4c_i32_i8_e32 v84, v168, v1
	s_waitcnt lgkmcnt(0)
	v_dot4c_i32_i8_e32 v86, v171, v4
	v_dot4c_i32_i8_e32 v84, v169, v2
	;; [unrolled: 1-line block ×6, first 2 shown]
	s_nop 0
	v_mul_lo_u32 v84, v84, v177
	s_nop 0
	v_mad_u64_u32 v[86:87], s[22:23], v86, v179, v[84:85]
	v_cvt_f32_i32_e32 v86, v86
	v_mul_f32_e32 v84, v172, v85
	v_fmac_f32_e32 v99, v84, v86
	v_mov_b32_e32 v84, 0
	v_dot4c_i32_i8_e32 v84, v176, v0
	v_mov_b32_e32 v86, 0
	v_dot4c_i32_i8_e32 v84, v178, v1
	v_dot4c_i32_i8_e32 v86, v182, v4
	;; [unrolled: 1-line block ×7, first 2 shown]
	s_nop 0
	v_mul_lo_u32 v84, v84, v187
	s_nop 0
	v_mad_u64_u32 v[86:87], s[22:23], v86, v190, v[84:85]
	v_cvt_f32_i32_e32 v86, v86
	v_mul_f32_e32 v84, v183, v85
	v_fmac_f32_e32 v98, v84, v86
	v_mov_b32_e32 v84, 0
	v_dot4c_i32_i8_e32 v84, v188, v0
	v_mov_b32_e32 v86, 0
	v_dot4c_i32_i8_e32 v84, v189, v1
	v_dot4c_i32_i8_e32 v86, v193, v4
	;; [unrolled: 1-line block ×7, first 2 shown]
	s_nop 0
	v_mul_lo_u32 v84, v84, v198
	s_nop 0
	v_mad_u64_u32 v[86:87], s[22:23], v86, v201, v[84:85]
	v_cvt_f32_i32_e32 v86, v86
	v_mul_f32_e32 v84, v194, v85
	v_fmac_f32_e32 v83, v84, v86
	v_mov_b32_e32 v84, 0
	v_dot4c_i32_i8_e32 v84, v199, v0
	v_dot4c_i32_i8_e32 v84, v200, v1
	v_mov_b32_e32 v1, 0
	v_dot4c_i32_i8_e32 v1, v204, v4
	v_dot4c_i32_i8_e32 v84, v202, v2
	;; [unrolled: 1-line block ×6, first 2 shown]
	s_nop 0
	v_mul_lo_u32 v0, v84, v209
	s_nop 0
	v_mad_u64_u32 v[0:1], s[22:23], v1, v210, v[0:1]
	v_cvt_f32_i32_e32 v0, v0
	v_mul_f32_e32 v1, v205, v85
	v_fmac_f32_e32 v75, v1, v0
	v_add_u32_e32 v0, 0x9800, v166
	ds_read2_b32 v[6:7], v0 offset0:40 offset1:72
	ds_read_b128 v[2:5], v165 offset:27392
	ds_read_b128 v[84:87], v165 offset:27408
	v_mov_b32_e32 v1, 0
	v_add_u32_e32 v166, 4, v166
	s_waitcnt lgkmcnt(1)
	v_dot4c_i32_i8_e32 v1, v167, v2
	v_dot4c_i32_i8_e32 v1, v168, v3
	;; [unrolled: 1-line block ×4, first 2 shown]
	s_nop 2
	v_mul_lo_u32 v212, v1, v177
	v_mov_b32_e32 v1, 0
	s_waitcnt lgkmcnt(0)
	v_dot4c_i32_i8_e32 v1, v171, v84
	v_dot4c_i32_i8_e32 v1, v173, v85
	v_dot4c_i32_i8_e32 v1, v174, v86
	v_dot4c_i32_i8_e32 v1, v175, v87
	s_nop 2
	v_mad_u64_u32 v[212:213], s[22:23], v1, v179, v[212:213]
	v_cvt_f32_i32_e32 v211, v212
	v_mul_f32_e32 v1, v172, v6
	v_fmac_f32_e32 v59, v1, v211
	v_mov_b32_e32 v1, 0
	v_dot4c_i32_i8_e32 v1, v176, v2
	v_dot4c_i32_i8_e32 v1, v178, v3
	v_dot4c_i32_i8_e32 v1, v180, v4
	v_dot4c_i32_i8_e32 v1, v181, v5
	s_nop 2
	v_mul_lo_u32 v212, v1, v187
	v_mov_b32_e32 v1, 0
	v_dot4c_i32_i8_e32 v1, v182, v84
	v_dot4c_i32_i8_e32 v1, v184, v85
	v_dot4c_i32_i8_e32 v1, v185, v86
	v_dot4c_i32_i8_e32 v1, v186, v87
	s_nop 2
	v_mad_u64_u32 v[212:213], s[22:23], v1, v190, v[212:213]
	v_cvt_f32_i32_e32 v211, v212
	v_mul_f32_e32 v1, v183, v6
	v_fmac_f32_e32 v57, v1, v211
	v_mov_b32_e32 v1, 0
	v_dot4c_i32_i8_e32 v1, v188, v2
	v_dot4c_i32_i8_e32 v1, v189, v3
	v_dot4c_i32_i8_e32 v1, v191, v4
	v_dot4c_i32_i8_e32 v1, v192, v5
	s_nop 2
	v_mul_lo_u32 v212, v1, v198
	v_mov_b32_e32 v1, 0
	;; [unrolled: 17-line block ×3, first 2 shown]
	v_dot4c_i32_i8_e32 v1, v204, v84
	v_dot4c_i32_i8_e32 v1, v206, v85
	;; [unrolled: 1-line block ×4, first 2 shown]
	s_nop 2
	v_mad_u64_u32 v[2:3], s[22:23], v1, v210, v[2:3]
	v_cvt_f32_i32_e32 v2, v2
	v_mul_f32_e32 v1, v205, v6
	v_fmac_f32_e32 v53, v1, v2
	ds_read_b128 v[2:5], v165 offset:28416
	ds_read_b128 v[84:87], v165 offset:28432
	v_mov_b32_e32 v1, 0
	s_waitcnt lgkmcnt(1)
	v_dot4c_i32_i8_e32 v1, v167, v2
	v_dot4c_i32_i8_e32 v1, v168, v3
	;; [unrolled: 1-line block ×4, first 2 shown]
	s_nop 2
	v_mul_lo_u32 v6, v1, v177
	v_mov_b32_e32 v1, 0
	s_waitcnt lgkmcnt(0)
	v_dot4c_i32_i8_e32 v1, v171, v84
	v_dot4c_i32_i8_e32 v1, v173, v85
	v_dot4c_i32_i8_e32 v1, v174, v86
	v_dot4c_i32_i8_e32 v1, v175, v87
	s_nop 2
	v_mad_u64_u32 v[212:213], s[22:23], v1, v179, v[6:7]
	v_cvt_f32_i32_e32 v6, v212
	v_mul_f32_e32 v1, v172, v7
	v_fmac_f32_e32 v49, v1, v6
	v_mov_b32_e32 v1, 0
	v_dot4c_i32_i8_e32 v1, v176, v2
	v_dot4c_i32_i8_e32 v1, v178, v3
	v_dot4c_i32_i8_e32 v1, v180, v4
	v_dot4c_i32_i8_e32 v1, v181, v5
	s_nop 2
	v_mul_lo_u32 v6, v1, v187
	v_mov_b32_e32 v1, 0
	v_dot4c_i32_i8_e32 v1, v182, v84
	v_dot4c_i32_i8_e32 v1, v184, v85
	v_dot4c_i32_i8_e32 v1, v185, v86
	v_dot4c_i32_i8_e32 v1, v186, v87
	s_nop 2
	v_mad_u64_u32 v[212:213], s[22:23], v1, v190, v[6:7]
	v_cvt_f32_i32_e32 v6, v212
	v_mul_f32_e32 v1, v183, v7
	v_fmac_f32_e32 v45, v1, v6
	v_mov_b32_e32 v1, 0
	v_dot4c_i32_i8_e32 v1, v188, v2
	v_dot4c_i32_i8_e32 v1, v189, v3
	v_dot4c_i32_i8_e32 v1, v191, v4
	v_dot4c_i32_i8_e32 v1, v192, v5
	s_nop 2
	v_mul_lo_u32 v6, v1, v198
	v_mov_b32_e32 v1, 0
	;; [unrolled: 17-line block ×3, first 2 shown]
	v_dot4c_i32_i8_e32 v1, v204, v84
	v_dot4c_i32_i8_e32 v1, v206, v85
	;; [unrolled: 1-line block ×4, first 2 shown]
	s_nop 2
	v_mad_u64_u32 v[2:3], s[22:23], v1, v210, v[2:3]
	v_cvt_f32_i32_e32 v2, v2
	v_mul_f32_e32 v1, v205, v7
	v_fmac_f32_e32 v41, v1, v2
	ds_read2_b32 v[6:7], v0 offset0:104 offset1:136
	ds_read_b128 v[2:5], v165 offset:29440
	ds_read_b128 v[84:87], v165 offset:29456
	v_mov_b32_e32 v1, 0
	s_waitcnt lgkmcnt(1)
	v_dot4c_i32_i8_e32 v1, v167, v2
	v_dot4c_i32_i8_e32 v1, v168, v3
	;; [unrolled: 1-line block ×4, first 2 shown]
	s_nop 2
	v_mul_lo_u32 v212, v1, v177
	v_mov_b32_e32 v1, 0
	s_waitcnt lgkmcnt(0)
	v_dot4c_i32_i8_e32 v1, v171, v84
	v_dot4c_i32_i8_e32 v1, v173, v85
	v_dot4c_i32_i8_e32 v1, v174, v86
	v_dot4c_i32_i8_e32 v1, v175, v87
	s_nop 2
	v_mad_u64_u32 v[212:213], s[22:23], v1, v179, v[212:213]
	v_cvt_f32_i32_e32 v211, v212
	v_mul_f32_e32 v1, v172, v6
	v_fmac_f32_e32 v39, v1, v211
	v_mov_b32_e32 v1, 0
	v_dot4c_i32_i8_e32 v1, v176, v2
	v_dot4c_i32_i8_e32 v1, v178, v3
	v_dot4c_i32_i8_e32 v1, v180, v4
	v_dot4c_i32_i8_e32 v1, v181, v5
	s_nop 2
	v_mul_lo_u32 v212, v1, v187
	v_mov_b32_e32 v1, 0
	v_dot4c_i32_i8_e32 v1, v182, v84
	v_dot4c_i32_i8_e32 v1, v184, v85
	v_dot4c_i32_i8_e32 v1, v185, v86
	v_dot4c_i32_i8_e32 v1, v186, v87
	s_nop 2
	v_mad_u64_u32 v[212:213], s[22:23], v1, v190, v[212:213]
	v_cvt_f32_i32_e32 v211, v212
	v_mul_f32_e32 v1, v183, v6
	v_fmac_f32_e32 v37, v1, v211
	v_mov_b32_e32 v1, 0
	v_dot4c_i32_i8_e32 v1, v188, v2
	v_dot4c_i32_i8_e32 v1, v189, v3
	v_dot4c_i32_i8_e32 v1, v191, v4
	v_dot4c_i32_i8_e32 v1, v192, v5
	s_nop 2
	v_mul_lo_u32 v212, v1, v198
	v_mov_b32_e32 v1, 0
	;; [unrolled: 17-line block ×3, first 2 shown]
	v_dot4c_i32_i8_e32 v1, v204, v84
	v_dot4c_i32_i8_e32 v1, v206, v85
	;; [unrolled: 1-line block ×4, first 2 shown]
	s_nop 2
	v_mad_u64_u32 v[2:3], s[22:23], v1, v210, v[2:3]
	v_cvt_f32_i32_e32 v2, v2
	v_mul_f32_e32 v1, v205, v6
	v_fmac_f32_e32 v33, v1, v2
	ds_read_b128 v[2:5], v165 offset:30464
	ds_read_b128 v[84:87], v165 offset:30480
	v_mov_b32_e32 v1, 0
	s_waitcnt lgkmcnt(1)
	v_dot4c_i32_i8_e32 v1, v167, v2
	v_dot4c_i32_i8_e32 v1, v168, v3
	;; [unrolled: 1-line block ×4, first 2 shown]
	s_nop 2
	v_mul_lo_u32 v6, v1, v177
	v_mov_b32_e32 v1, 0
	s_waitcnt lgkmcnt(0)
	v_dot4c_i32_i8_e32 v1, v171, v84
	v_dot4c_i32_i8_e32 v1, v173, v85
	v_dot4c_i32_i8_e32 v1, v174, v86
	v_dot4c_i32_i8_e32 v1, v175, v87
	s_nop 2
	v_mad_u64_u32 v[212:213], s[22:23], v1, v179, v[6:7]
	v_cvt_f32_i32_e32 v6, v212
	v_mul_f32_e32 v1, v172, v7
	v_fmac_f32_e32 v31, v1, v6
	v_mov_b32_e32 v1, 0
	v_dot4c_i32_i8_e32 v1, v176, v2
	v_dot4c_i32_i8_e32 v1, v178, v3
	v_dot4c_i32_i8_e32 v1, v180, v4
	v_dot4c_i32_i8_e32 v1, v181, v5
	s_nop 2
	v_mul_lo_u32 v6, v1, v187
	v_mov_b32_e32 v1, 0
	v_dot4c_i32_i8_e32 v1, v182, v84
	v_dot4c_i32_i8_e32 v1, v184, v85
	v_dot4c_i32_i8_e32 v1, v185, v86
	v_dot4c_i32_i8_e32 v1, v186, v87
	s_nop 2
	v_mad_u64_u32 v[212:213], s[22:23], v1, v190, v[6:7]
	v_cvt_f32_i32_e32 v6, v212
	v_mul_f32_e32 v1, v183, v7
	v_fmac_f32_e32 v29, v1, v6
	v_mov_b32_e32 v1, 0
	v_dot4c_i32_i8_e32 v1, v188, v2
	v_dot4c_i32_i8_e32 v1, v189, v3
	v_dot4c_i32_i8_e32 v1, v191, v4
	v_dot4c_i32_i8_e32 v1, v192, v5
	s_nop 2
	v_mul_lo_u32 v6, v1, v198
	v_mov_b32_e32 v1, 0
	v_dot4c_i32_i8_e32 v1, v193, v84
	v_dot4c_i32_i8_e32 v1, v195, v85
	v_dot4c_i32_i8_e32 v1, v196, v86
	v_dot4c_i32_i8_e32 v1, v197, v87
	s_nop 2
	v_mad_u64_u32 v[212:213], s[22:23], v1, v201, v[6:7]
	v_cvt_f32_i32_e32 v6, v212
	v_mul_f32_e32 v1, v194, v7
	v_fmac_f32_e32 v27, v1, v6
	v_mov_b32_e32 v1, 0
	v_dot4c_i32_i8_e32 v1, v199, v2
	v_dot4c_i32_i8_e32 v1, v200, v3
	v_dot4c_i32_i8_e32 v1, v202, v4
	v_dot4c_i32_i8_e32 v1, v203, v5
	s_nop 2
	v_mul_lo_u32 v2, v1, v209
	v_mov_b32_e32 v1, 0
	v_dot4c_i32_i8_e32 v1, v204, v84
	v_dot4c_i32_i8_e32 v1, v206, v85
	;; [unrolled: 1-line block ×4, first 2 shown]
	v_mov_b32_e32 v86, 0
	v_mov_b32_e32 v87, 0
	s_nop 0
	v_mad_u64_u32 v[2:3], s[22:23], v1, v210, v[2:3]
	v_cvt_f32_i32_e32 v2, v2
	v_mul_f32_e32 v1, v205, v7
	v_fmac_f32_e32 v25, v1, v2
	ds_read2_b32 v[84:85], v0 offset0:168 offset1:200
	ds_read_b128 v[4:7], v165 offset:31488
	ds_read_b128 v[0:3], v165 offset:31504
	s_waitcnt lgkmcnt(1)
	v_dot4c_i32_i8_e32 v86, v167, v4
	v_dot4c_i32_i8_e32 v86, v168, v5
	s_waitcnt lgkmcnt(0)
	v_dot4c_i32_i8_e32 v87, v171, v0
	v_dot4c_i32_i8_e32 v86, v169, v6
	v_dot4c_i32_i8_e32 v87, v173, v1
	v_dot4c_i32_i8_e32 v86, v170, v7
	v_dot4c_i32_i8_e32 v87, v174, v2
	v_dot4c_i32_i8_e32 v87, v175, v3
	s_nop 0
	v_mul_lo_u32 v86, v86, v177
	s_nop 0
	v_mad_u64_u32 v[86:87], s[22:23], v87, v179, v[86:87]
	v_cvt_f32_i32_e32 v86, v86
	v_mul_f32_e32 v87, v172, v84
	v_fmac_f32_e32 v23, v87, v86
	v_mov_b32_e32 v86, 0
	v_dot4c_i32_i8_e32 v86, v176, v4
	v_mov_b32_e32 v87, 0
	v_dot4c_i32_i8_e32 v86, v178, v5
	v_dot4c_i32_i8_e32 v87, v182, v0
	;; [unrolled: 1-line block ×7, first 2 shown]
	s_nop 0
	v_mul_lo_u32 v86, v86, v187
	s_nop 0
	v_mad_u64_u32 v[86:87], s[22:23], v87, v190, v[86:87]
	v_cvt_f32_i32_e32 v86, v86
	v_mul_f32_e32 v87, v183, v84
	v_fmac_f32_e32 v21, v87, v86
	v_mov_b32_e32 v86, 0
	v_dot4c_i32_i8_e32 v86, v188, v4
	v_mov_b32_e32 v87, 0
	v_dot4c_i32_i8_e32 v86, v189, v5
	v_dot4c_i32_i8_e32 v87, v193, v0
	;; [unrolled: 1-line block ×7, first 2 shown]
	s_nop 0
	v_mul_lo_u32 v86, v86, v198
	s_nop 0
	v_mad_u64_u32 v[86:87], s[22:23], v87, v201, v[86:87]
	v_cvt_f32_i32_e32 v86, v86
	v_mul_f32_e32 v87, v194, v84
	v_fmac_f32_e32 v19, v87, v86
	v_mov_b32_e32 v86, 0
	v_dot4c_i32_i8_e32 v86, v199, v4
	v_dot4c_i32_i8_e32 v86, v200, v5
	v_mov_b32_e32 v5, 0
	v_dot4c_i32_i8_e32 v5, v204, v0
	v_dot4c_i32_i8_e32 v86, v202, v6
	;; [unrolled: 1-line block ×6, first 2 shown]
	s_nop 0
	v_mul_lo_u32 v4, v86, v209
	v_mov_b32_e32 v86, 0
	v_mad_u64_u32 v[0:1], s[22:23], v5, v210, v[4:5]
	v_cvt_f32_i32_e32 v0, v0
	v_mul_f32_e32 v1, v205, v84
	v_mov_b32_e32 v84, 0
	v_fmac_f32_e32 v17, v1, v0
	ds_read_b128 v[0:3], v165 offset:32512
	ds_read_b128 v[4:7], v165 offset:32528
	v_add_u32_e32 v165, 32, v165
	s_waitcnt lgkmcnt(1)
	v_dot4c_i32_i8_e32 v84, v167, v0
	v_dot4c_i32_i8_e32 v84, v168, v1
	s_waitcnt lgkmcnt(0)
	v_dot4c_i32_i8_e32 v86, v171, v4
	v_dot4c_i32_i8_e32 v84, v169, v2
	;; [unrolled: 1-line block ×6, first 2 shown]
	s_nop 0
	v_mul_lo_u32 v84, v84, v177
	s_nop 0
	v_mad_u64_u32 v[86:87], s[22:23], v86, v179, v[84:85]
	v_cvt_f32_i32_e32 v86, v86
	v_mul_f32_e32 v84, v172, v85
	v_fmac_f32_e32 v15, v84, v86
	v_mov_b32_e32 v84, 0
	v_dot4c_i32_i8_e32 v84, v176, v0
	v_mov_b32_e32 v86, 0
	v_dot4c_i32_i8_e32 v84, v178, v1
	v_dot4c_i32_i8_e32 v86, v182, v4
	;; [unrolled: 1-line block ×7, first 2 shown]
	s_nop 0
	v_mul_lo_u32 v84, v84, v187
	s_nop 0
	v_mad_u64_u32 v[86:87], s[22:23], v86, v190, v[84:85]
	v_cvt_f32_i32_e32 v86, v86
	v_mul_f32_e32 v84, v183, v85
	v_fmac_f32_e32 v13, v84, v86
	v_mov_b32_e32 v84, 0
	v_dot4c_i32_i8_e32 v84, v188, v0
	v_mov_b32_e32 v86, 0
	v_dot4c_i32_i8_e32 v84, v189, v1
	v_dot4c_i32_i8_e32 v86, v193, v4
	;; [unrolled: 1-line block ×7, first 2 shown]
	s_nop 0
	v_mul_lo_u32 v84, v84, v198
	s_nop 0
	v_mad_u64_u32 v[86:87], s[22:23], v86, v201, v[84:85]
	v_cvt_f32_i32_e32 v86, v86
	v_mul_f32_e32 v84, v194, v85
	v_fmac_f32_e32 v11, v84, v86
	v_mov_b32_e32 v84, 0
	v_dot4c_i32_i8_e32 v84, v199, v0
	v_dot4c_i32_i8_e32 v84, v200, v1
	v_mov_b32_e32 v1, 0
	v_dot4c_i32_i8_e32 v1, v204, v4
	v_dot4c_i32_i8_e32 v84, v202, v2
	;; [unrolled: 1-line block ×6, first 2 shown]
	s_nop 0
	v_mul_lo_u32 v0, v84, v209
	s_nop 0
	v_mad_u64_u32 v[0:1], s[22:23], v1, v210, v[0:1]
	v_cvt_f32_i32_e32 v0, v0
	v_mul_f32_e32 v1, v205, v85
	v_fmac_f32_e32 v9, v1, v0
	s_cbranch_scc1 .LBB169_7
; %bb.8:                                ;   in Loop: Header=BB169_6 Depth=1
	v_add_u32_e32 v165, s17, v138
	v_add_u32_e32 v0, v165, v106
	;; [unrolled: 1-line block ×9, first 2 shown]
	v_mad_i64_i32 v[168:169], s[18:19], v165, 36, v[80:81]
	v_add_u32_e32 v165, 4, v164
	v_mad_i64_i32 v[0:1], s[18:19], v0, 36, v[80:81]
	v_mad_i64_i32 v[2:3], s[18:19], v2, 36, v[80:81]
	v_mad_i64_i32 v[4:5], s[18:19], v4, 36, v[80:81]
	v_mad_i64_i32 v[6:7], s[18:19], v6, 36, v[80:81]
	v_mad_u64_u32 v[170:171], s[18:19], v165, 36, s[2:3]
	s_barrier
	v_mad_i64_i32 v[84:85], s[18:19], v84, 36, v[80:81]
	v_mad_i64_i32 v[86:87], s[18:19], v86, 36, v[80:81]
	;; [unrolled: 1-line block ×3, first 2 shown]
	global_load_dword v170, v[170:171], off
	s_nop 0
	global_load_dword v0, v[0:1], off offset:4
	s_nop 0
	global_load_dword v1, v[2:3], off offset:4
	s_nop 0
	global_load_dword v2, v[4:5], off offset:4
	global_load_dword v3, v[6:7], off offset:4
	s_nop 0
	global_load_dword v4, v[84:85], off offset:4
	global_load_dword v5, v[86:87], off offset:4
	;; [unrolled: 1-line block ×4, first 2 shown]
	s_mov_b32 s18, 4
	s_mov_b32 s19, 8
	;; [unrolled: 1-line block ×3, first 2 shown]
	v_mov_b32_e32 v165, v107
	v_mov_b32_e32 v166, v96
	s_waitcnt vmcnt(8)
	v_cvt_f32_f16_e32 v84, v170
	s_waitcnt vmcnt(7)
	ds_write_b32 v108, v0
	s_waitcnt vmcnt(6)
	ds_write_b32 v111, v1
	;; [unrolled: 2-line block ×8, first 2 shown]
	ds_write_b32 v105, v84
	s_waitcnt lgkmcnt(0)
	s_barrier
.LBB169_9:                              ;   Parent Loop BB169_6 Depth=1
                                        ; =>  This Inner Loop Header: Depth=2
	s_and_b32 s20, s19, -16
	v_add_u32_e32 v86, s20, v125
	s_add_i32 s20, s21, 2
	s_lshr_b32 s25, s20, 4
	s_and_b32 s24, s20, 0x3ffffff8
	s_lshl_b32 s23, s25, 3
	s_lshl_b32 s24, s24, 2
	v_add_lshl_u32 v176, v126, s23, 2
	v_add_u32_e32 v0, 0x9600, v166
	v_add_u32_e32 v87, s24, v127
	;; [unrolled: 1-line block ×3, first 2 shown]
	ds_read2_b32 v[84:85], v0 offset0:104 offset1:136
	ds_read_b128 v[4:7], v165 offset:25344
	ds_read_b128 v[0:3], v165 offset:25360
	ds_read2_b32 v[168:169], v87 offset1:1
	ds_read2_b32 v[170:171], v170 offset1:1
	s_add_i32 s22, s21, -6
	s_lshl_b32 s25, s25, 2
	v_add_lshl_u32 v198, v132, s23, 2
	s_waitcnt lgkmcnt(1)
	v_ashrrev_i32_e32 v167, s22, v168
	s_waitcnt lgkmcnt(0)
	v_ashrrev_i32_e32 v170, s18, v170
	v_lshlrev_b32_e32 v170, 2, v170
	v_and_b32_e32 v168, 0x3030303, v167
	v_bfe_u32 v167, v167, 24, 2
	v_and_b32_e32 v170, 0x4040404, v170
	v_sub_u16_e32 v172, v168, v170
	v_sub_u16_sdwa v173, v168, v170 dst_sel:BYTE_1 dst_unused:UNUSED_PAD src0_sel:BYTE_1 src1_sel:BYTE_1
	v_sub_u16_sdwa v167, v167, v170 dst_sel:BYTE_1 dst_unused:UNUSED_PAD src0_sel:DWORD src1_sel:BYTE_3
	v_sub_u16_sdwa v168, v168, v170 dst_sel:DWORD dst_unused:UNUSED_PAD src0_sel:WORD_1 src1_sel:WORD_1
	v_ashrrev_i32_e32 v170, s18, v171
	v_or_b32_sdwa v167, v168, v167 dst_sel:WORD_1 dst_unused:UNUSED_PAD src0_sel:BYTE_0 src1_sel:DWORD
	v_ashrrev_i32_e32 v168, s22, v169
	v_lshlrev_b32_e32 v170, 2, v170
	v_or_b32_sdwa v172, v172, v173 dst_sel:DWORD dst_unused:UNUSED_PAD src0_sel:BYTE_0 src1_sel:DWORD
	v_and_b32_e32 v169, 0x3030303, v168
	v_bfe_u32 v168, v168, 24, 2
	v_and_b32_e32 v170, 0x4040404, v170
	v_or_b32_sdwa v167, v172, v167 dst_sel:DWORD dst_unused:UNUSED_PAD src0_sel:WORD_0 src1_sel:DWORD
	v_sub_u16_e32 v171, v169, v170
	v_sub_u16_sdwa v172, v169, v170 dst_sel:BYTE_1 dst_unused:UNUSED_PAD src0_sel:BYTE_1 src1_sel:BYTE_1
	v_sub_u16_sdwa v168, v168, v170 dst_sel:BYTE_1 dst_unused:UNUSED_PAD src0_sel:DWORD src1_sel:BYTE_3
	v_sub_u16_sdwa v169, v169, v170 dst_sel:DWORD dst_unused:UNUSED_PAD src0_sel:WORD_1 src1_sel:WORD_1
	v_or_b32_sdwa v171, v171, v172 dst_sel:DWORD dst_unused:UNUSED_PAD src0_sel:BYTE_0 src1_sel:DWORD
	v_or_b32_sdwa v168, v169, v168 dst_sel:WORD_1 dst_unused:UNUSED_PAD src0_sel:BYTE_0 src1_sel:DWORD
	v_add_u32_e32 v172, 0x4208, v176
	v_or_b32_sdwa v168, v171, v168 dst_sel:DWORD dst_unused:UNUSED_PAD src0_sel:WORD_0 src1_sel:DWORD
	ds_read2_b32 v[170:171], v87 offset0:2 offset1:3
	ds_read2_b32 v[172:173], v172 offset1:1
	v_add_lshl_u32 v188, v129, s23, 2
	v_add_u32_e32 v192, 0x4200, v198
	v_add_lshl_u32 v210, v135, s23, 2
	s_waitcnt lgkmcnt(1)
	v_ashrrev_i32_e32 v169, s22, v170
	s_waitcnt lgkmcnt(0)
	v_ashrrev_i32_e32 v172, s18, v172
	v_lshlrev_b32_e32 v172, 2, v172
	v_and_b32_e32 v170, 0x3030303, v169
	v_bfe_u32 v169, v169, 24, 2
	v_and_b32_e32 v172, 0x4040404, v172
	v_sub_u16_e32 v174, v170, v172
	v_sub_u16_sdwa v175, v170, v172 dst_sel:BYTE_1 dst_unused:UNUSED_PAD src0_sel:BYTE_1 src1_sel:BYTE_1
	v_sub_u16_sdwa v169, v169, v172 dst_sel:BYTE_1 dst_unused:UNUSED_PAD src0_sel:DWORD src1_sel:BYTE_3
	v_sub_u16_sdwa v170, v170, v172 dst_sel:DWORD dst_unused:UNUSED_PAD src0_sel:WORD_1 src1_sel:WORD_1
	v_ashrrev_i32_e32 v172, s18, v173
	v_or_b32_sdwa v169, v170, v169 dst_sel:WORD_1 dst_unused:UNUSED_PAD src0_sel:BYTE_0 src1_sel:DWORD
	v_ashrrev_i32_e32 v170, s22, v171
	v_lshlrev_b32_e32 v172, 2, v172
	v_or_b32_sdwa v174, v174, v175 dst_sel:DWORD dst_unused:UNUSED_PAD src0_sel:BYTE_0 src1_sel:DWORD
	v_and_b32_e32 v171, 0x3030303, v170
	v_bfe_u32 v170, v170, 24, 2
	v_and_b32_e32 v172, 0x4040404, v172
	v_or_b32_sdwa v169, v174, v169 dst_sel:DWORD dst_unused:UNUSED_PAD src0_sel:WORD_0 src1_sel:DWORD
	v_sub_u16_e32 v173, v171, v172
	v_sub_u16_sdwa v174, v171, v172 dst_sel:BYTE_1 dst_unused:UNUSED_PAD src0_sel:BYTE_1 src1_sel:BYTE_1
	v_sub_u16_sdwa v170, v170, v172 dst_sel:BYTE_1 dst_unused:UNUSED_PAD src0_sel:DWORD src1_sel:BYTE_3
	v_sub_u16_sdwa v171, v171, v172 dst_sel:DWORD dst_unused:UNUSED_PAD src0_sel:WORD_1 src1_sel:WORD_1
	v_or_b32_sdwa v173, v173, v174 dst_sel:DWORD dst_unused:UNUSED_PAD src0_sel:BYTE_0 src1_sel:DWORD
	v_or_b32_sdwa v170, v171, v170 dst_sel:WORD_1 dst_unused:UNUSED_PAD src0_sel:BYTE_0 src1_sel:DWORD
	v_add_u32_e32 v174, 0x4210, v176
	v_or_b32_sdwa v170, v173, v170 dst_sel:DWORD dst_unused:UNUSED_PAD src0_sel:WORD_0 src1_sel:DWORD
	ds_read2_b32 v[172:173], v87 offset0:4 offset1:5
	ds_read2_b32 v[174:175], v174 offset1:1
	s_add_i32 s19, s19, 2
	ds_read2_b32 v[192:193], v192 offset1:1
	s_waitcnt lgkmcnt(2)
	v_ashrrev_i32_e32 v171, s22, v172
	s_waitcnt lgkmcnt(1)
	v_ashrrev_i32_e32 v174, s18, v174
	v_lshlrev_b32_e32 v174, 2, v174
	v_and_b32_e32 v172, 0x3030303, v171
	v_bfe_u32 v171, v171, 24, 2
	v_and_b32_e32 v174, 0x4040404, v174
	v_sub_u16_e32 v177, v172, v174
	v_sub_u16_sdwa v178, v172, v174 dst_sel:BYTE_1 dst_unused:UNUSED_PAD src0_sel:BYTE_1 src1_sel:BYTE_1
	v_sub_u16_sdwa v171, v171, v174 dst_sel:BYTE_1 dst_unused:UNUSED_PAD src0_sel:DWORD src1_sel:BYTE_3
	v_sub_u16_sdwa v172, v172, v174 dst_sel:DWORD dst_unused:UNUSED_PAD src0_sel:WORD_1 src1_sel:WORD_1
	v_or_b32_sdwa v177, v177, v178 dst_sel:DWORD dst_unused:UNUSED_PAD src0_sel:BYTE_0 src1_sel:DWORD
	v_or_b32_sdwa v171, v172, v171 dst_sel:WORD_1 dst_unused:UNUSED_PAD src0_sel:BYTE_0 src1_sel:DWORD
	v_ashrrev_i32_e32 v174, s18, v175
	v_or_b32_sdwa v172, v177, v171 dst_sel:DWORD dst_unused:UNUSED_PAD src0_sel:WORD_0 src1_sel:DWORD
	v_ashrrev_i32_e32 v171, s22, v173
	v_lshlrev_b32_e32 v174, 2, v174
	v_and_b32_e32 v173, 0x3030303, v171
	v_bfe_u32 v171, v171, 24, 2
	v_and_b32_e32 v174, 0x4040404, v174
	v_sub_u16_e32 v175, v173, v174
	v_sub_u16_sdwa v177, v173, v174 dst_sel:BYTE_1 dst_unused:UNUSED_PAD src0_sel:BYTE_1 src1_sel:BYTE_1
	v_sub_u16_sdwa v171, v171, v174 dst_sel:BYTE_1 dst_unused:UNUSED_PAD src0_sel:DWORD src1_sel:BYTE_3
	v_sub_u16_sdwa v173, v173, v174 dst_sel:DWORD dst_unused:UNUSED_PAD src0_sel:WORD_1 src1_sel:WORD_1
	v_or_b32_sdwa v175, v175, v177 dst_sel:DWORD dst_unused:UNUSED_PAD src0_sel:BYTE_0 src1_sel:DWORD
	v_or_b32_sdwa v171, v173, v171 dst_sel:WORD_1 dst_unused:UNUSED_PAD src0_sel:BYTE_0 src1_sel:DWORD
	v_or_b32_sdwa v173, v175, v171 dst_sel:DWORD dst_unused:UNUSED_PAD src0_sel:WORD_0 src1_sel:DWORD
	ds_read2_b32 v[174:175], v87 offset0:6 offset1:7
	s_waitcnt lgkmcnt(1)
	v_ashrrev_i32_e32 v192, s18, v192
	v_lshlrev_b32_e32 v192, 2, v192
	v_and_b32_e32 v192, 0x4040404, v192
	s_waitcnt lgkmcnt(0)
	v_ashrrev_i32_e32 v87, s22, v174
	v_add_u32_e32 v174, 0x4218, v176
	ds_read2_b32 v[176:177], v174 offset1:1
	v_and_b32_e32 v171, 0x3030303, v87
	v_bfe_u32 v87, v87, 24, 2
	s_waitcnt lgkmcnt(0)
	v_ashrrev_i32_e32 v174, s18, v176
	v_lshlrev_b32_e32 v174, 2, v174
	v_and_b32_e32 v174, 0x4040404, v174
	v_sub_u16_e32 v176, v171, v174
	v_sub_u16_sdwa v178, v171, v174 dst_sel:BYTE_1 dst_unused:UNUSED_PAD src0_sel:BYTE_1 src1_sel:BYTE_1
	v_sub_u16_sdwa v87, v87, v174 dst_sel:BYTE_1 dst_unused:UNUSED_PAD src0_sel:DWORD src1_sel:BYTE_3
	v_sub_u16_sdwa v171, v171, v174 dst_sel:DWORD dst_unused:UNUSED_PAD src0_sel:WORD_1 src1_sel:WORD_1
	v_or_b32_sdwa v176, v176, v178 dst_sel:DWORD dst_unused:UNUSED_PAD src0_sel:BYTE_0 src1_sel:DWORD
	v_or_b32_sdwa v87, v171, v87 dst_sel:WORD_1 dst_unused:UNUSED_PAD src0_sel:BYTE_0 src1_sel:DWORD
	v_or_b32_sdwa v174, v176, v87 dst_sel:DWORD dst_unused:UNUSED_PAD src0_sel:WORD_0 src1_sel:DWORD
	v_ashrrev_i32_e32 v87, s22, v175
	v_ashrrev_i32_e32 v175, s18, v177
	v_lshlrev_b32_e32 v175, 2, v175
	v_and_b32_e32 v171, 0x3030303, v87
	v_bfe_u32 v87, v87, 24, 2
	v_and_b32_e32 v175, 0x4040404, v175
	v_sub_u16_e32 v176, v171, v175
	v_sub_u16_sdwa v177, v171, v175 dst_sel:BYTE_1 dst_unused:UNUSED_PAD src0_sel:BYTE_1 src1_sel:BYTE_1
	v_sub_u16_sdwa v87, v87, v175 dst_sel:BYTE_1 dst_unused:UNUSED_PAD src0_sel:DWORD src1_sel:BYTE_3
	v_sub_u16_sdwa v171, v171, v175 dst_sel:DWORD dst_unused:UNUSED_PAD src0_sel:WORD_1 src1_sel:WORD_1
	v_or_b32_sdwa v176, v176, v177 dst_sel:DWORD dst_unused:UNUSED_PAD src0_sel:BYTE_0 src1_sel:DWORD
	v_or_b32_sdwa v87, v171, v87 dst_sel:WORD_1 dst_unused:UNUSED_PAD src0_sel:BYTE_0 src1_sel:DWORD
	v_or_b32_sdwa v175, v176, v87 dst_sel:DWORD dst_unused:UNUSED_PAD src0_sel:WORD_0 src1_sel:DWORD
	v_add3_u32 v87, v142, s21, v86
	v_add_u32_e32 v171, s25, v128
	ds_read_b32 v171, v171
	ds_read_u16 v87, v87 offset:8194
	v_mov_b32_e32 v177, 0
	v_dot4c_i32_i8_e32 v177, v167, v4
	v_dot4c_i32_i8_e32 v177, v168, v5
	;; [unrolled: 1-line block ×3, first 2 shown]
	s_waitcnt lgkmcnt(0)
	v_lshrrev_b16_e32 v178, 8, v87
	v_bfe_i32 v176, v87, 0, 8
	v_mov_b32_e32 v87, 0
	v_dot4c_i32_i8_e32 v87, v172, v0
	v_dot4c_i32_i8_e32 v87, v173, v1
	;; [unrolled: 1-line block ×5, first 2 shown]
	v_bfe_i32 v178, v178, 0, 8
	v_mul_lo_u32 v180, v177, v176
	s_nop 0
	v_mad_u64_u32 v[180:181], s[26:27], v87, v178, v[180:181]
	v_cvt_f32_i32_e32 v177, v180
	v_mul_f32_e32 v87, v84, v171
	v_fmac_f32_e32 v120, v87, v177
	v_add_u32_e32 v87, s24, v130
	ds_read2_b32 v[180:181], v87 offset1:1
	s_waitcnt lgkmcnt(0)
	v_ashrrev_i32_e32 v177, s22, v180
	v_add_u32_e32 v180, 0x4200, v188
	ds_read2_b32 v[182:183], v180 offset1:1
	v_and_b32_e32 v179, 0x3030303, v177
	v_bfe_u32 v177, v177, 24, 2
	s_waitcnt lgkmcnt(0)
	v_ashrrev_i32_e32 v180, s18, v182
	v_lshlrev_b32_e32 v180, 2, v180
	v_and_b32_e32 v180, 0x4040404, v180
	v_sub_u16_e32 v182, v179, v180
	v_sub_u16_sdwa v184, v179, v180 dst_sel:BYTE_1 dst_unused:UNUSED_PAD src0_sel:BYTE_1 src1_sel:BYTE_1
	v_sub_u16_sdwa v177, v177, v180 dst_sel:BYTE_1 dst_unused:UNUSED_PAD src0_sel:DWORD src1_sel:BYTE_3
	v_sub_u16_sdwa v179, v179, v180 dst_sel:DWORD dst_unused:UNUSED_PAD src0_sel:WORD_1 src1_sel:WORD_1
	v_or_b32_sdwa v177, v179, v177 dst_sel:WORD_1 dst_unused:UNUSED_PAD src0_sel:BYTE_0 src1_sel:DWORD
	v_ashrrev_i32_e32 v179, s22, v181
	v_ashrrev_i32_e32 v181, s18, v183
	v_lshlrev_b32_e32 v181, 2, v181
	v_or_b32_sdwa v182, v182, v184 dst_sel:DWORD dst_unused:UNUSED_PAD src0_sel:BYTE_0 src1_sel:DWORD
	v_and_b32_e32 v180, 0x3030303, v179
	v_bfe_u32 v179, v179, 24, 2
	v_and_b32_e32 v181, 0x4040404, v181
	v_or_b32_sdwa v177, v182, v177 dst_sel:DWORD dst_unused:UNUSED_PAD src0_sel:WORD_0 src1_sel:DWORD
	v_sub_u16_e32 v182, v180, v181
	v_sub_u16_sdwa v183, v180, v181 dst_sel:BYTE_1 dst_unused:UNUSED_PAD src0_sel:BYTE_1 src1_sel:BYTE_1
	v_sub_u16_sdwa v179, v179, v181 dst_sel:BYTE_1 dst_unused:UNUSED_PAD src0_sel:DWORD src1_sel:BYTE_3
	v_sub_u16_sdwa v180, v180, v181 dst_sel:DWORD dst_unused:UNUSED_PAD src0_sel:WORD_1 src1_sel:WORD_1
	v_or_b32_sdwa v182, v182, v183 dst_sel:DWORD dst_unused:UNUSED_PAD src0_sel:BYTE_0 src1_sel:DWORD
	v_or_b32_sdwa v179, v180, v179 dst_sel:WORD_1 dst_unused:UNUSED_PAD src0_sel:BYTE_0 src1_sel:DWORD
	v_or_b32_sdwa v179, v182, v179 dst_sel:DWORD dst_unused:UNUSED_PAD src0_sel:WORD_0 src1_sel:DWORD
	v_add_u32_e32 v182, 0x4208, v188
	ds_read2_b32 v[180:181], v87 offset0:2 offset1:3
	ds_read2_b32 v[182:183], v182 offset1:1
	s_waitcnt lgkmcnt(1)
	v_ashrrev_i32_e32 v180, s22, v180
	s_waitcnt lgkmcnt(0)
	v_ashrrev_i32_e32 v182, s18, v182
	v_lshlrev_b32_e32 v182, 2, v182
	v_and_b32_e32 v184, 0x3030303, v180
	v_bfe_u32 v180, v180, 24, 2
	v_and_b32_e32 v182, 0x4040404, v182
	v_ashrrev_i32_e32 v183, s18, v183
	v_sub_u16_e32 v185, v184, v182
	v_sub_u16_sdwa v186, v184, v182 dst_sel:BYTE_1 dst_unused:UNUSED_PAD src0_sel:BYTE_1 src1_sel:BYTE_1
	v_sub_u16_sdwa v180, v180, v182 dst_sel:BYTE_1 dst_unused:UNUSED_PAD src0_sel:DWORD src1_sel:BYTE_3
	v_sub_u16_sdwa v182, v184, v182 dst_sel:DWORD dst_unused:UNUSED_PAD src0_sel:WORD_1 src1_sel:WORD_1
	v_ashrrev_i32_e32 v181, s22, v181
	v_lshlrev_b32_e32 v183, 2, v183
	v_or_b32_sdwa v185, v185, v186 dst_sel:DWORD dst_unused:UNUSED_PAD src0_sel:BYTE_0 src1_sel:DWORD
	v_or_b32_sdwa v180, v182, v180 dst_sel:WORD_1 dst_unused:UNUSED_PAD src0_sel:BYTE_0 src1_sel:DWORD
	v_and_b32_e32 v182, 0x3030303, v181
	v_bfe_u32 v181, v181, 24, 2
	v_and_b32_e32 v183, 0x4040404, v183
	v_or_b32_sdwa v180, v185, v180 dst_sel:DWORD dst_unused:UNUSED_PAD src0_sel:WORD_0 src1_sel:DWORD
	v_sub_u16_e32 v184, v182, v183
	v_sub_u16_sdwa v185, v182, v183 dst_sel:BYTE_1 dst_unused:UNUSED_PAD src0_sel:BYTE_1 src1_sel:BYTE_1
	v_sub_u16_sdwa v181, v181, v183 dst_sel:BYTE_1 dst_unused:UNUSED_PAD src0_sel:DWORD src1_sel:BYTE_3
	v_sub_u16_sdwa v182, v182, v183 dst_sel:DWORD dst_unused:UNUSED_PAD src0_sel:WORD_1 src1_sel:WORD_1
	v_or_b32_sdwa v184, v184, v185 dst_sel:DWORD dst_unused:UNUSED_PAD src0_sel:BYTE_0 src1_sel:DWORD
	v_or_b32_sdwa v181, v182, v181 dst_sel:WORD_1 dst_unused:UNUSED_PAD src0_sel:BYTE_0 src1_sel:DWORD
	v_or_b32_sdwa v181, v184, v181 dst_sel:DWORD dst_unused:UNUSED_PAD src0_sel:WORD_0 src1_sel:DWORD
	v_add_u32_e32 v184, 0x4210, v188
	ds_read2_b32 v[182:183], v87 offset0:4 offset1:5
	ds_read2_b32 v[184:185], v184 offset1:1
	s_waitcnt lgkmcnt(1)
	v_ashrrev_i32_e32 v182, s22, v182
	s_waitcnt lgkmcnt(0)
	v_ashrrev_i32_e32 v184, s18, v184
	v_lshlrev_b32_e32 v184, 2, v184
	v_and_b32_e32 v186, 0x3030303, v182
	v_bfe_u32 v182, v182, 24, 2
	v_and_b32_e32 v184, 0x4040404, v184
	v_ashrrev_i32_e32 v185, s18, v185
	v_sub_u16_e32 v187, v186, v184
	v_sub_u16_sdwa v189, v186, v184 dst_sel:BYTE_1 dst_unused:UNUSED_PAD src0_sel:BYTE_1 src1_sel:BYTE_1
	v_sub_u16_sdwa v182, v182, v184 dst_sel:BYTE_1 dst_unused:UNUSED_PAD src0_sel:DWORD src1_sel:BYTE_3
	v_sub_u16_sdwa v184, v186, v184 dst_sel:DWORD dst_unused:UNUSED_PAD src0_sel:WORD_1 src1_sel:WORD_1
	v_ashrrev_i32_e32 v183, s22, v183
	v_lshlrev_b32_e32 v185, 2, v185
	v_or_b32_sdwa v187, v187, v189 dst_sel:DWORD dst_unused:UNUSED_PAD src0_sel:BYTE_0 src1_sel:DWORD
	v_or_b32_sdwa v182, v184, v182 dst_sel:WORD_1 dst_unused:UNUSED_PAD src0_sel:BYTE_0 src1_sel:DWORD
	v_and_b32_e32 v184, 0x3030303, v183
	v_bfe_u32 v183, v183, 24, 2
	v_and_b32_e32 v185, 0x4040404, v185
	v_or_b32_sdwa v182, v187, v182 dst_sel:DWORD dst_unused:UNUSED_PAD src0_sel:WORD_0 src1_sel:DWORD
	v_sub_u16_e32 v186, v184, v185
	v_sub_u16_sdwa v187, v184, v185 dst_sel:BYTE_1 dst_unused:UNUSED_PAD src0_sel:BYTE_1 src1_sel:BYTE_1
	v_sub_u16_sdwa v183, v183, v185 dst_sel:BYTE_1 dst_unused:UNUSED_PAD src0_sel:DWORD src1_sel:BYTE_3
	v_sub_u16_sdwa v184, v184, v185 dst_sel:DWORD dst_unused:UNUSED_PAD src0_sel:WORD_1 src1_sel:WORD_1
	v_or_b32_sdwa v186, v186, v187 dst_sel:DWORD dst_unused:UNUSED_PAD src0_sel:BYTE_0 src1_sel:DWORD
	v_or_b32_sdwa v183, v184, v183 dst_sel:WORD_1 dst_unused:UNUSED_PAD src0_sel:BYTE_0 src1_sel:DWORD
	v_add_u32_e32 v185, 0x4218, v188
	v_or_b32_sdwa v184, v186, v183 dst_sel:DWORD dst_unused:UNUSED_PAD src0_sel:WORD_0 src1_sel:DWORD
	ds_read2_b32 v[186:187], v87 offset0:6 offset1:7
	ds_read2_b32 v[188:189], v185 offset1:1
	s_waitcnt lgkmcnt(1)
	v_ashrrev_i32_e32 v87, s22, v186
	s_waitcnt lgkmcnt(0)
	v_ashrrev_i32_e32 v185, s18, v188
	v_lshlrev_b32_e32 v185, 2, v185
	v_and_b32_e32 v183, 0x3030303, v87
	v_bfe_u32 v87, v87, 24, 2
	v_and_b32_e32 v185, 0x4040404, v185
	v_sub_u16_e32 v186, v183, v185
	v_sub_u16_sdwa v188, v183, v185 dst_sel:BYTE_1 dst_unused:UNUSED_PAD src0_sel:BYTE_1 src1_sel:BYTE_1
	v_sub_u16_sdwa v87, v87, v185 dst_sel:BYTE_1 dst_unused:UNUSED_PAD src0_sel:DWORD src1_sel:BYTE_3
	v_sub_u16_sdwa v183, v183, v185 dst_sel:DWORD dst_unused:UNUSED_PAD src0_sel:WORD_1 src1_sel:WORD_1
	v_or_b32_sdwa v186, v186, v188 dst_sel:DWORD dst_unused:UNUSED_PAD src0_sel:BYTE_0 src1_sel:DWORD
	v_or_b32_sdwa v87, v183, v87 dst_sel:WORD_1 dst_unused:UNUSED_PAD src0_sel:BYTE_0 src1_sel:DWORD
	v_or_b32_sdwa v185, v186, v87 dst_sel:DWORD dst_unused:UNUSED_PAD src0_sel:WORD_0 src1_sel:DWORD
	v_ashrrev_i32_e32 v186, s18, v189
	v_ashrrev_i32_e32 v87, s22, v187
	v_lshlrev_b32_e32 v186, 2, v186
	v_and_b32_e32 v183, 0x3030303, v87
	v_bfe_u32 v87, v87, 24, 2
	v_and_b32_e32 v186, 0x4040404, v186
	v_sub_u16_e32 v187, v183, v186
	v_sub_u16_sdwa v188, v183, v186 dst_sel:BYTE_1 dst_unused:UNUSED_PAD src0_sel:BYTE_1 src1_sel:BYTE_1
	v_sub_u16_sdwa v87, v87, v186 dst_sel:BYTE_1 dst_unused:UNUSED_PAD src0_sel:DWORD src1_sel:BYTE_3
	v_sub_u16_sdwa v183, v183, v186 dst_sel:DWORD dst_unused:UNUSED_PAD src0_sel:WORD_1 src1_sel:WORD_1
	v_or_b32_sdwa v187, v187, v188 dst_sel:DWORD dst_unused:UNUSED_PAD src0_sel:BYTE_0 src1_sel:DWORD
	v_or_b32_sdwa v87, v183, v87 dst_sel:WORD_1 dst_unused:UNUSED_PAD src0_sel:BYTE_0 src1_sel:DWORD
	v_or_b32_sdwa v186, v187, v87 dst_sel:DWORD dst_unused:UNUSED_PAD src0_sel:WORD_0 src1_sel:DWORD
	v_add3_u32 v87, v144, s21, v86
	v_add_u32_e32 v183, s25, v131
	ds_read_b32 v183, v183
	ds_read_u16 v87, v87 offset:9218
	v_mov_b32_e32 v188, 0
	v_dot4c_i32_i8_e32 v188, v177, v4
	v_dot4c_i32_i8_e32 v188, v179, v5
	;; [unrolled: 1-line block ×3, first 2 shown]
	s_waitcnt lgkmcnt(0)
	v_lshrrev_b16_e32 v189, 8, v87
	v_bfe_i32 v187, v87, 0, 8
	v_mov_b32_e32 v87, 0
	v_dot4c_i32_i8_e32 v87, v182, v0
	v_dot4c_i32_i8_e32 v87, v184, v1
	;; [unrolled: 1-line block ×5, first 2 shown]
	v_bfe_i32 v189, v189, 0, 8
	v_mul_lo_u32 v188, v188, v187
	s_nop 0
	v_mad_u64_u32 v[190:191], s[26:27], v87, v189, v[188:189]
	v_cvt_f32_i32_e32 v188, v190
	v_mul_f32_e32 v87, v84, v183
	v_fmac_f32_e32 v109, v87, v188
	v_add_u32_e32 v87, s24, v133
	ds_read2_b32 v[190:191], v87 offset1:1
	s_waitcnt lgkmcnt(0)
	v_ashrrev_i32_e32 v188, s22, v190
	v_and_b32_e32 v190, 0x3030303, v188
	v_bfe_u32 v188, v188, 24, 2
	v_sub_u16_e32 v194, v190, v192
	v_sub_u16_sdwa v195, v190, v192 dst_sel:BYTE_1 dst_unused:UNUSED_PAD src0_sel:BYTE_1 src1_sel:BYTE_1
	v_sub_u16_sdwa v188, v188, v192 dst_sel:BYTE_1 dst_unused:UNUSED_PAD src0_sel:DWORD src1_sel:BYTE_3
	v_sub_u16_sdwa v190, v190, v192 dst_sel:DWORD dst_unused:UNUSED_PAD src0_sel:WORD_1 src1_sel:WORD_1
	v_ashrrev_i32_e32 v192, s18, v193
	v_or_b32_sdwa v188, v190, v188 dst_sel:WORD_1 dst_unused:UNUSED_PAD src0_sel:BYTE_0 src1_sel:DWORD
	v_ashrrev_i32_e32 v190, s22, v191
	v_lshlrev_b32_e32 v192, 2, v192
	v_or_b32_sdwa v194, v194, v195 dst_sel:DWORD dst_unused:UNUSED_PAD src0_sel:BYTE_0 src1_sel:DWORD
	v_and_b32_e32 v191, 0x3030303, v190
	v_bfe_u32 v190, v190, 24, 2
	v_and_b32_e32 v192, 0x4040404, v192
	v_or_b32_sdwa v188, v194, v188 dst_sel:DWORD dst_unused:UNUSED_PAD src0_sel:WORD_0 src1_sel:DWORD
	v_sub_u16_e32 v193, v191, v192
	v_sub_u16_sdwa v194, v191, v192 dst_sel:BYTE_1 dst_unused:UNUSED_PAD src0_sel:BYTE_1 src1_sel:BYTE_1
	v_sub_u16_sdwa v190, v190, v192 dst_sel:BYTE_1 dst_unused:UNUSED_PAD src0_sel:DWORD src1_sel:BYTE_3
	v_sub_u16_sdwa v191, v191, v192 dst_sel:DWORD dst_unused:UNUSED_PAD src0_sel:WORD_1 src1_sel:WORD_1
	v_or_b32_sdwa v193, v193, v194 dst_sel:DWORD dst_unused:UNUSED_PAD src0_sel:BYTE_0 src1_sel:DWORD
	v_or_b32_sdwa v190, v191, v190 dst_sel:WORD_1 dst_unused:UNUSED_PAD src0_sel:BYTE_0 src1_sel:DWORD
	v_add_u32_e32 v194, 0x4208, v198
	v_or_b32_sdwa v190, v193, v190 dst_sel:DWORD dst_unused:UNUSED_PAD src0_sel:WORD_0 src1_sel:DWORD
	ds_read2_b32 v[192:193], v87 offset0:2 offset1:3
	ds_read2_b32 v[194:195], v194 offset1:1
	s_waitcnt lgkmcnt(1)
	v_ashrrev_i32_e32 v191, s22, v192
	s_waitcnt lgkmcnt(0)
	v_ashrrev_i32_e32 v194, s18, v194
	v_lshlrev_b32_e32 v194, 2, v194
	v_and_b32_e32 v192, 0x3030303, v191
	v_bfe_u32 v191, v191, 24, 2
	v_and_b32_e32 v194, 0x4040404, v194
	v_sub_u16_e32 v196, v192, v194
	v_sub_u16_sdwa v197, v192, v194 dst_sel:BYTE_1 dst_unused:UNUSED_PAD src0_sel:BYTE_1 src1_sel:BYTE_1
	v_sub_u16_sdwa v191, v191, v194 dst_sel:BYTE_1 dst_unused:UNUSED_PAD src0_sel:DWORD src1_sel:BYTE_3
	v_sub_u16_sdwa v192, v192, v194 dst_sel:DWORD dst_unused:UNUSED_PAD src0_sel:WORD_1 src1_sel:WORD_1
	v_ashrrev_i32_e32 v194, s18, v195
	v_or_b32_sdwa v191, v192, v191 dst_sel:WORD_1 dst_unused:UNUSED_PAD src0_sel:BYTE_0 src1_sel:DWORD
	v_ashrrev_i32_e32 v192, s22, v193
	v_lshlrev_b32_e32 v194, 2, v194
	v_or_b32_sdwa v196, v196, v197 dst_sel:DWORD dst_unused:UNUSED_PAD src0_sel:BYTE_0 src1_sel:DWORD
	v_and_b32_e32 v193, 0x3030303, v192
	v_bfe_u32 v192, v192, 24, 2
	v_and_b32_e32 v194, 0x4040404, v194
	v_or_b32_sdwa v191, v196, v191 dst_sel:DWORD dst_unused:UNUSED_PAD src0_sel:WORD_0 src1_sel:DWORD
	v_sub_u16_e32 v195, v193, v194
	v_sub_u16_sdwa v196, v193, v194 dst_sel:BYTE_1 dst_unused:UNUSED_PAD src0_sel:BYTE_1 src1_sel:BYTE_1
	v_sub_u16_sdwa v192, v192, v194 dst_sel:BYTE_1 dst_unused:UNUSED_PAD src0_sel:DWORD src1_sel:BYTE_3
	v_sub_u16_sdwa v193, v193, v194 dst_sel:DWORD dst_unused:UNUSED_PAD src0_sel:WORD_1 src1_sel:WORD_1
	v_or_b32_sdwa v195, v195, v196 dst_sel:DWORD dst_unused:UNUSED_PAD src0_sel:BYTE_0 src1_sel:DWORD
	v_or_b32_sdwa v192, v193, v192 dst_sel:WORD_1 dst_unused:UNUSED_PAD src0_sel:BYTE_0 src1_sel:DWORD
	v_add_u32_e32 v196, 0x4210, v198
	v_or_b32_sdwa v192, v195, v192 dst_sel:DWORD dst_unused:UNUSED_PAD src0_sel:WORD_0 src1_sel:DWORD
	ds_read2_b32 v[194:195], v87 offset0:4 offset1:5
	ds_read2_b32 v[196:197], v196 offset1:1
	s_waitcnt lgkmcnt(1)
	v_ashrrev_i32_e32 v193, s22, v194
	s_waitcnt lgkmcnt(0)
	v_ashrrev_i32_e32 v196, s18, v196
	v_lshlrev_b32_e32 v196, 2, v196
	v_and_b32_e32 v194, 0x3030303, v193
	v_bfe_u32 v193, v193, 24, 2
	v_and_b32_e32 v196, 0x4040404, v196
	v_sub_u16_e32 v199, v194, v196
	v_sub_u16_sdwa v200, v194, v196 dst_sel:BYTE_1 dst_unused:UNUSED_PAD src0_sel:BYTE_1 src1_sel:BYTE_1
	v_sub_u16_sdwa v193, v193, v196 dst_sel:BYTE_1 dst_unused:UNUSED_PAD src0_sel:DWORD src1_sel:BYTE_3
	v_sub_u16_sdwa v194, v194, v196 dst_sel:DWORD dst_unused:UNUSED_PAD src0_sel:WORD_1 src1_sel:WORD_1
	v_ashrrev_i32_e32 v196, s18, v197
	v_or_b32_sdwa v193, v194, v193 dst_sel:WORD_1 dst_unused:UNUSED_PAD src0_sel:BYTE_0 src1_sel:DWORD
	v_ashrrev_i32_e32 v194, s22, v195
	v_lshlrev_b32_e32 v196, 2, v196
	v_or_b32_sdwa v199, v199, v200 dst_sel:DWORD dst_unused:UNUSED_PAD src0_sel:BYTE_0 src1_sel:DWORD
	v_and_b32_e32 v195, 0x3030303, v194
	v_bfe_u32 v194, v194, 24, 2
	v_and_b32_e32 v196, 0x4040404, v196
	v_or_b32_sdwa v193, v199, v193 dst_sel:DWORD dst_unused:UNUSED_PAD src0_sel:WORD_0 src1_sel:DWORD
	v_sub_u16_e32 v197, v195, v196
	v_sub_u16_sdwa v199, v195, v196 dst_sel:BYTE_1 dst_unused:UNUSED_PAD src0_sel:BYTE_1 src1_sel:BYTE_1
	v_sub_u16_sdwa v194, v194, v196 dst_sel:BYTE_1 dst_unused:UNUSED_PAD src0_sel:DWORD src1_sel:BYTE_3
	v_sub_u16_sdwa v195, v195, v196 dst_sel:DWORD dst_unused:UNUSED_PAD src0_sel:WORD_1 src1_sel:WORD_1
	v_or_b32_sdwa v197, v197, v199 dst_sel:DWORD dst_unused:UNUSED_PAD src0_sel:BYTE_0 src1_sel:DWORD
	v_or_b32_sdwa v194, v195, v194 dst_sel:WORD_1 dst_unused:UNUSED_PAD src0_sel:BYTE_0 src1_sel:DWORD
	v_or_b32_sdwa v195, v197, v194 dst_sel:DWORD dst_unused:UNUSED_PAD src0_sel:WORD_0 src1_sel:DWORD
	ds_read2_b32 v[196:197], v87 offset0:6 offset1:7
	s_waitcnt lgkmcnt(0)
	v_ashrrev_i32_e32 v87, s22, v196
	v_add_u32_e32 v196, 0x4218, v198
	ds_read2_b32 v[198:199], v196 offset1:1
	v_and_b32_e32 v194, 0x3030303, v87
	v_bfe_u32 v87, v87, 24, 2
	s_waitcnt lgkmcnt(0)
	v_ashrrev_i32_e32 v196, s18, v198
	v_lshlrev_b32_e32 v196, 2, v196
	v_and_b32_e32 v196, 0x4040404, v196
	v_sub_u16_e32 v198, v194, v196
	v_sub_u16_sdwa v200, v194, v196 dst_sel:BYTE_1 dst_unused:UNUSED_PAD src0_sel:BYTE_1 src1_sel:BYTE_1
	v_sub_u16_sdwa v87, v87, v196 dst_sel:BYTE_1 dst_unused:UNUSED_PAD src0_sel:DWORD src1_sel:BYTE_3
	v_sub_u16_sdwa v194, v194, v196 dst_sel:DWORD dst_unused:UNUSED_PAD src0_sel:WORD_1 src1_sel:WORD_1
	v_or_b32_sdwa v198, v198, v200 dst_sel:DWORD dst_unused:UNUSED_PAD src0_sel:BYTE_0 src1_sel:DWORD
	v_or_b32_sdwa v87, v194, v87 dst_sel:WORD_1 dst_unused:UNUSED_PAD src0_sel:BYTE_0 src1_sel:DWORD
	v_or_b32_sdwa v196, v198, v87 dst_sel:DWORD dst_unused:UNUSED_PAD src0_sel:WORD_0 src1_sel:DWORD
	v_ashrrev_i32_e32 v87, s22, v197
	v_ashrrev_i32_e32 v197, s18, v199
	v_lshlrev_b32_e32 v197, 2, v197
	v_and_b32_e32 v194, 0x3030303, v87
	v_bfe_u32 v87, v87, 24, 2
	v_and_b32_e32 v197, 0x4040404, v197
	v_sub_u16_e32 v198, v194, v197
	v_sub_u16_sdwa v199, v194, v197 dst_sel:BYTE_1 dst_unused:UNUSED_PAD src0_sel:BYTE_1 src1_sel:BYTE_1
	v_sub_u16_sdwa v87, v87, v197 dst_sel:BYTE_1 dst_unused:UNUSED_PAD src0_sel:DWORD src1_sel:BYTE_3
	v_sub_u16_sdwa v194, v194, v197 dst_sel:DWORD dst_unused:UNUSED_PAD src0_sel:WORD_1 src1_sel:WORD_1
	v_or_b32_sdwa v198, v198, v199 dst_sel:DWORD dst_unused:UNUSED_PAD src0_sel:BYTE_0 src1_sel:DWORD
	v_or_b32_sdwa v87, v194, v87 dst_sel:WORD_1 dst_unused:UNUSED_PAD src0_sel:BYTE_0 src1_sel:DWORD
	v_or_b32_sdwa v197, v198, v87 dst_sel:DWORD dst_unused:UNUSED_PAD src0_sel:WORD_0 src1_sel:DWORD
	v_add3_u32 v87, v146, s21, v86
	v_add_u32_e32 v194, s25, v134
	ds_read_b32 v194, v194
	ds_read_u16 v87, v87 offset:10242
	v_mov_b32_e32 v199, 0
	v_dot4c_i32_i8_e32 v199, v188, v4
	v_dot4c_i32_i8_e32 v199, v190, v5
	;; [unrolled: 1-line block ×3, first 2 shown]
	s_waitcnt lgkmcnt(0)
	v_lshrrev_b16_e32 v200, 8, v87
	v_bfe_i32 v198, v87, 0, 8
	v_mov_b32_e32 v87, 0
	v_dot4c_i32_i8_e32 v87, v193, v0
	v_dot4c_i32_i8_e32 v87, v195, v1
	;; [unrolled: 1-line block ×5, first 2 shown]
	v_bfe_i32 v200, v200, 0, 8
	v_mul_lo_u32 v202, v199, v198
	v_add3_u32 v86, v148, s21, v86
	v_mad_u64_u32 v[202:203], s[26:27], v87, v200, v[202:203]
	v_cvt_f32_i32_e32 v199, v202
	v_mul_f32_e32 v87, v84, v194
	s_mov_b32 s21, s20
	v_fmac_f32_e32 v104, v87, v199
	v_add_u32_e32 v87, s24, v136
	ds_read2_b32 v[202:203], v87 offset1:1
	s_waitcnt lgkmcnt(0)
	v_ashrrev_i32_e32 v199, s22, v202
	v_add_u32_e32 v202, 0x4200, v210
	ds_read2_b32 v[204:205], v202 offset1:1
	v_and_b32_e32 v201, 0x3030303, v199
	v_bfe_u32 v199, v199, 24, 2
	s_waitcnt lgkmcnt(0)
	v_ashrrev_i32_e32 v202, s18, v204
	v_lshlrev_b32_e32 v202, 2, v202
	v_and_b32_e32 v202, 0x4040404, v202
	v_sub_u16_e32 v204, v201, v202
	v_sub_u16_sdwa v206, v201, v202 dst_sel:BYTE_1 dst_unused:UNUSED_PAD src0_sel:BYTE_1 src1_sel:BYTE_1
	v_sub_u16_sdwa v199, v199, v202 dst_sel:BYTE_1 dst_unused:UNUSED_PAD src0_sel:DWORD src1_sel:BYTE_3
	v_sub_u16_sdwa v201, v201, v202 dst_sel:DWORD dst_unused:UNUSED_PAD src0_sel:WORD_1 src1_sel:WORD_1
	v_or_b32_sdwa v199, v201, v199 dst_sel:WORD_1 dst_unused:UNUSED_PAD src0_sel:BYTE_0 src1_sel:DWORD
	v_ashrrev_i32_e32 v201, s22, v203
	v_ashrrev_i32_e32 v203, s18, v205
	v_lshlrev_b32_e32 v203, 2, v203
	v_or_b32_sdwa v204, v204, v206 dst_sel:DWORD dst_unused:UNUSED_PAD src0_sel:BYTE_0 src1_sel:DWORD
	v_and_b32_e32 v202, 0x3030303, v201
	v_bfe_u32 v201, v201, 24, 2
	v_and_b32_e32 v203, 0x4040404, v203
	v_or_b32_sdwa v199, v204, v199 dst_sel:DWORD dst_unused:UNUSED_PAD src0_sel:WORD_0 src1_sel:DWORD
	v_sub_u16_e32 v204, v202, v203
	v_sub_u16_sdwa v205, v202, v203 dst_sel:BYTE_1 dst_unused:UNUSED_PAD src0_sel:BYTE_1 src1_sel:BYTE_1
	v_sub_u16_sdwa v201, v201, v203 dst_sel:BYTE_1 dst_unused:UNUSED_PAD src0_sel:DWORD src1_sel:BYTE_3
	v_sub_u16_sdwa v202, v202, v203 dst_sel:DWORD dst_unused:UNUSED_PAD src0_sel:WORD_1 src1_sel:WORD_1
	v_or_b32_sdwa v204, v204, v205 dst_sel:DWORD dst_unused:UNUSED_PAD src0_sel:BYTE_0 src1_sel:DWORD
	v_or_b32_sdwa v201, v202, v201 dst_sel:WORD_1 dst_unused:UNUSED_PAD src0_sel:BYTE_0 src1_sel:DWORD
	v_or_b32_sdwa v201, v204, v201 dst_sel:DWORD dst_unused:UNUSED_PAD src0_sel:WORD_0 src1_sel:DWORD
	v_add_u32_e32 v204, 0x4208, v210
	ds_read2_b32 v[202:203], v87 offset0:2 offset1:3
	ds_read2_b32 v[204:205], v204 offset1:1
	s_waitcnt lgkmcnt(1)
	v_ashrrev_i32_e32 v202, s22, v202
	s_waitcnt lgkmcnt(0)
	v_ashrrev_i32_e32 v204, s18, v204
	v_lshlrev_b32_e32 v204, 2, v204
	v_and_b32_e32 v206, 0x3030303, v202
	v_bfe_u32 v202, v202, 24, 2
	v_and_b32_e32 v204, 0x4040404, v204
	v_ashrrev_i32_e32 v205, s18, v205
	v_sub_u16_e32 v207, v206, v204
	v_sub_u16_sdwa v208, v206, v204 dst_sel:BYTE_1 dst_unused:UNUSED_PAD src0_sel:BYTE_1 src1_sel:BYTE_1
	v_sub_u16_sdwa v202, v202, v204 dst_sel:BYTE_1 dst_unused:UNUSED_PAD src0_sel:DWORD src1_sel:BYTE_3
	v_sub_u16_sdwa v204, v206, v204 dst_sel:DWORD dst_unused:UNUSED_PAD src0_sel:WORD_1 src1_sel:WORD_1
	v_ashrrev_i32_e32 v203, s22, v203
	v_lshlrev_b32_e32 v205, 2, v205
	v_or_b32_sdwa v207, v207, v208 dst_sel:DWORD dst_unused:UNUSED_PAD src0_sel:BYTE_0 src1_sel:DWORD
	v_or_b32_sdwa v202, v204, v202 dst_sel:WORD_1 dst_unused:UNUSED_PAD src0_sel:BYTE_0 src1_sel:DWORD
	v_and_b32_e32 v204, 0x3030303, v203
	v_bfe_u32 v203, v203, 24, 2
	v_and_b32_e32 v205, 0x4040404, v205
	v_or_b32_sdwa v202, v207, v202 dst_sel:DWORD dst_unused:UNUSED_PAD src0_sel:WORD_0 src1_sel:DWORD
	v_sub_u16_e32 v206, v204, v205
	v_sub_u16_sdwa v207, v204, v205 dst_sel:BYTE_1 dst_unused:UNUSED_PAD src0_sel:BYTE_1 src1_sel:BYTE_1
	v_sub_u16_sdwa v203, v203, v205 dst_sel:BYTE_1 dst_unused:UNUSED_PAD src0_sel:DWORD src1_sel:BYTE_3
	v_sub_u16_sdwa v204, v204, v205 dst_sel:DWORD dst_unused:UNUSED_PAD src0_sel:WORD_1 src1_sel:WORD_1
	v_or_b32_sdwa v206, v206, v207 dst_sel:DWORD dst_unused:UNUSED_PAD src0_sel:BYTE_0 src1_sel:DWORD
	v_or_b32_sdwa v203, v204, v203 dst_sel:WORD_1 dst_unused:UNUSED_PAD src0_sel:BYTE_0 src1_sel:DWORD
	v_or_b32_sdwa v203, v206, v203 dst_sel:DWORD dst_unused:UNUSED_PAD src0_sel:WORD_0 src1_sel:DWORD
	v_add_u32_e32 v206, 0x4210, v210
	ds_read2_b32 v[204:205], v87 offset0:4 offset1:5
	ds_read2_b32 v[206:207], v206 offset1:1
	s_waitcnt lgkmcnt(1)
	v_ashrrev_i32_e32 v204, s22, v204
	s_waitcnt lgkmcnt(0)
	v_ashrrev_i32_e32 v206, s18, v206
	v_lshlrev_b32_e32 v206, 2, v206
	v_and_b32_e32 v208, 0x3030303, v204
	v_bfe_u32 v204, v204, 24, 2
	v_and_b32_e32 v206, 0x4040404, v206
	v_ashrrev_i32_e32 v207, s18, v207
	v_sub_u16_e32 v209, v208, v206
	v_sub_u16_sdwa v211, v208, v206 dst_sel:BYTE_1 dst_unused:UNUSED_PAD src0_sel:BYTE_1 src1_sel:BYTE_1
	v_sub_u16_sdwa v204, v204, v206 dst_sel:BYTE_1 dst_unused:UNUSED_PAD src0_sel:DWORD src1_sel:BYTE_3
	v_sub_u16_sdwa v206, v208, v206 dst_sel:DWORD dst_unused:UNUSED_PAD src0_sel:WORD_1 src1_sel:WORD_1
	v_ashrrev_i32_e32 v205, s22, v205
	v_lshlrev_b32_e32 v207, 2, v207
	v_or_b32_sdwa v209, v209, v211 dst_sel:DWORD dst_unused:UNUSED_PAD src0_sel:BYTE_0 src1_sel:DWORD
	v_or_b32_sdwa v204, v206, v204 dst_sel:WORD_1 dst_unused:UNUSED_PAD src0_sel:BYTE_0 src1_sel:DWORD
	v_and_b32_e32 v206, 0x3030303, v205
	v_bfe_u32 v205, v205, 24, 2
	v_and_b32_e32 v207, 0x4040404, v207
	v_or_b32_sdwa v204, v209, v204 dst_sel:DWORD dst_unused:UNUSED_PAD src0_sel:WORD_0 src1_sel:DWORD
	v_sub_u16_e32 v208, v206, v207
	v_sub_u16_sdwa v209, v206, v207 dst_sel:BYTE_1 dst_unused:UNUSED_PAD src0_sel:BYTE_1 src1_sel:BYTE_1
	v_sub_u16_sdwa v205, v205, v207 dst_sel:BYTE_1 dst_unused:UNUSED_PAD src0_sel:DWORD src1_sel:BYTE_3
	v_sub_u16_sdwa v206, v206, v207 dst_sel:DWORD dst_unused:UNUSED_PAD src0_sel:WORD_1 src1_sel:WORD_1
	v_or_b32_sdwa v208, v208, v209 dst_sel:DWORD dst_unused:UNUSED_PAD src0_sel:BYTE_0 src1_sel:DWORD
	v_or_b32_sdwa v205, v206, v205 dst_sel:WORD_1 dst_unused:UNUSED_PAD src0_sel:BYTE_0 src1_sel:DWORD
	v_add_u32_e32 v207, 0x4218, v210
	v_or_b32_sdwa v206, v208, v205 dst_sel:DWORD dst_unused:UNUSED_PAD src0_sel:WORD_0 src1_sel:DWORD
	ds_read2_b32 v[208:209], v87 offset0:6 offset1:7
	ds_read2_b32 v[210:211], v207 offset1:1
	s_waitcnt lgkmcnt(1)
	v_ashrrev_i32_e32 v87, s22, v208
	s_waitcnt lgkmcnt(0)
	v_ashrrev_i32_e32 v207, s18, v210
	v_lshlrev_b32_e32 v207, 2, v207
	v_and_b32_e32 v205, 0x3030303, v87
	v_bfe_u32 v87, v87, 24, 2
	v_and_b32_e32 v207, 0x4040404, v207
	v_sub_u16_e32 v208, v205, v207
	v_sub_u16_sdwa v210, v205, v207 dst_sel:BYTE_1 dst_unused:UNUSED_PAD src0_sel:BYTE_1 src1_sel:BYTE_1
	v_sub_u16_sdwa v87, v87, v207 dst_sel:BYTE_1 dst_unused:UNUSED_PAD src0_sel:DWORD src1_sel:BYTE_3
	v_sub_u16_sdwa v205, v205, v207 dst_sel:DWORD dst_unused:UNUSED_PAD src0_sel:WORD_1 src1_sel:WORD_1
	v_or_b32_sdwa v208, v208, v210 dst_sel:DWORD dst_unused:UNUSED_PAD src0_sel:BYTE_0 src1_sel:DWORD
	v_or_b32_sdwa v87, v205, v87 dst_sel:WORD_1 dst_unused:UNUSED_PAD src0_sel:BYTE_0 src1_sel:DWORD
	v_or_b32_sdwa v207, v208, v87 dst_sel:DWORD dst_unused:UNUSED_PAD src0_sel:WORD_0 src1_sel:DWORD
	v_ashrrev_i32_e32 v208, s18, v211
	v_ashrrev_i32_e32 v87, s22, v209
	v_lshlrev_b32_e32 v208, 2, v208
	v_and_b32_e32 v205, 0x3030303, v87
	v_bfe_u32 v87, v87, 24, 2
	v_and_b32_e32 v208, 0x4040404, v208
	v_sub_u16_e32 v209, v205, v208
	v_sub_u16_sdwa v210, v205, v208 dst_sel:BYTE_1 dst_unused:UNUSED_PAD src0_sel:BYTE_1 src1_sel:BYTE_1
	v_sub_u16_sdwa v87, v87, v208 dst_sel:BYTE_1 dst_unused:UNUSED_PAD src0_sel:DWORD src1_sel:BYTE_3
	v_sub_u16_sdwa v205, v205, v208 dst_sel:DWORD dst_unused:UNUSED_PAD src0_sel:WORD_1 src1_sel:WORD_1
	v_or_b32_sdwa v209, v209, v210 dst_sel:DWORD dst_unused:UNUSED_PAD src0_sel:BYTE_0 src1_sel:DWORD
	v_or_b32_sdwa v87, v205, v87 dst_sel:WORD_1 dst_unused:UNUSED_PAD src0_sel:BYTE_0 src1_sel:DWORD
	v_or_b32_sdwa v208, v209, v87 dst_sel:DWORD dst_unused:UNUSED_PAD src0_sel:WORD_0 src1_sel:DWORD
	v_add_u32_e32 v87, s25, v137
	ds_read_b32 v205, v87
	v_mov_b32_e32 v87, 0
	v_dot4c_i32_i8_e32 v87, v199, v4
	ds_read_u16 v4, v86 offset:11266
	v_dot4c_i32_i8_e32 v87, v201, v5
	v_dot4c_i32_i8_e32 v87, v202, v6
	v_mov_b32_e32 v6, 0
	v_dot4c_i32_i8_e32 v6, v204, v0
	v_dot4c_i32_i8_e32 v6, v206, v1
	;; [unrolled: 1-line block ×3, first 2 shown]
	s_waitcnt lgkmcnt(0)
	v_lshrrev_b16_e32 v5, 8, v4
	v_bfe_i32 v209, v4, 0, 8
	v_dot4c_i32_i8_e32 v6, v207, v2
	v_mul_lo_u32 v4, v87, v209
	v_dot4c_i32_i8_e32 v6, v208, v3
	v_bfe_i32 v210, v5, 0, 8
	v_mov_b32_e32 v86, 0
	s_add_i32 s18, s18, 1
	v_mad_u64_u32 v[0:1], s[22:23], v6, v210, v[4:5]
	v_cvt_f32_i32_e32 v0, v0
	v_mul_f32_e32 v1, v84, v205
	v_mov_b32_e32 v84, 0
	s_cmp_lt_u32 s20, 14
	v_fmac_f32_e32 v102, v1, v0
	ds_read_b128 v[0:3], v165 offset:26368
	ds_read_b128 v[4:7], v165 offset:26384
	s_waitcnt lgkmcnt(1)
	v_dot4c_i32_i8_e32 v84, v167, v0
	v_dot4c_i32_i8_e32 v84, v168, v1
	s_waitcnt lgkmcnt(0)
	v_dot4c_i32_i8_e32 v86, v172, v4
	v_dot4c_i32_i8_e32 v84, v169, v2
	;; [unrolled: 1-line block ×6, first 2 shown]
	s_nop 0
	v_mul_lo_u32 v84, v84, v176
	s_nop 0
	v_mad_u64_u32 v[86:87], s[22:23], v86, v178, v[84:85]
	v_cvt_f32_i32_e32 v86, v86
	v_mul_f32_e32 v84, v171, v85
	v_fmac_f32_e32 v99, v84, v86
	v_mov_b32_e32 v84, 0
	v_dot4c_i32_i8_e32 v84, v177, v0
	v_mov_b32_e32 v86, 0
	v_dot4c_i32_i8_e32 v84, v179, v1
	v_dot4c_i32_i8_e32 v86, v182, v4
	;; [unrolled: 1-line block ×7, first 2 shown]
	s_nop 0
	v_mul_lo_u32 v84, v84, v187
	s_nop 0
	v_mad_u64_u32 v[86:87], s[22:23], v86, v189, v[84:85]
	v_cvt_f32_i32_e32 v86, v86
	v_mul_f32_e32 v84, v183, v85
	v_fmac_f32_e32 v98, v84, v86
	v_mov_b32_e32 v84, 0
	v_dot4c_i32_i8_e32 v84, v188, v0
	v_mov_b32_e32 v86, 0
	v_dot4c_i32_i8_e32 v84, v190, v1
	v_dot4c_i32_i8_e32 v86, v193, v4
	;; [unrolled: 1-line block ×7, first 2 shown]
	s_nop 0
	v_mul_lo_u32 v84, v84, v198
	s_nop 0
	v_mad_u64_u32 v[86:87], s[22:23], v86, v200, v[84:85]
	v_cvt_f32_i32_e32 v86, v86
	v_mul_f32_e32 v84, v194, v85
	v_fmac_f32_e32 v83, v84, v86
	v_mov_b32_e32 v84, 0
	v_dot4c_i32_i8_e32 v84, v199, v0
	v_dot4c_i32_i8_e32 v84, v201, v1
	v_mov_b32_e32 v1, 0
	v_dot4c_i32_i8_e32 v1, v204, v4
	v_dot4c_i32_i8_e32 v84, v202, v2
	;; [unrolled: 1-line block ×6, first 2 shown]
	s_nop 0
	v_mul_lo_u32 v0, v84, v209
	s_nop 0
	v_mad_u64_u32 v[0:1], s[22:23], v1, v210, v[0:1]
	v_cvt_f32_i32_e32 v0, v0
	v_mul_f32_e32 v1, v205, v85
	v_fmac_f32_e32 v75, v1, v0
	v_add_u32_e32 v0, 0x9800, v166
	ds_read2_b32 v[6:7], v0 offset0:40 offset1:72
	ds_read_b128 v[2:5], v165 offset:27392
	ds_read_b128 v[84:87], v165 offset:27408
	v_mov_b32_e32 v1, 0
	v_add_u32_e32 v166, 4, v166
	s_waitcnt lgkmcnt(1)
	v_dot4c_i32_i8_e32 v1, v167, v2
	v_dot4c_i32_i8_e32 v1, v168, v3
	;; [unrolled: 1-line block ×4, first 2 shown]
	s_nop 2
	v_mul_lo_u32 v212, v1, v176
	v_mov_b32_e32 v1, 0
	s_waitcnt lgkmcnt(0)
	v_dot4c_i32_i8_e32 v1, v172, v84
	v_dot4c_i32_i8_e32 v1, v173, v85
	;; [unrolled: 1-line block ×4, first 2 shown]
	s_nop 2
	v_mad_u64_u32 v[212:213], s[22:23], v1, v178, v[212:213]
	v_cvt_f32_i32_e32 v211, v212
	v_mul_f32_e32 v1, v171, v6
	v_fmac_f32_e32 v59, v1, v211
	v_mov_b32_e32 v1, 0
	v_dot4c_i32_i8_e32 v1, v177, v2
	v_dot4c_i32_i8_e32 v1, v179, v3
	;; [unrolled: 1-line block ×4, first 2 shown]
	s_nop 2
	v_mul_lo_u32 v212, v1, v187
	v_mov_b32_e32 v1, 0
	v_dot4c_i32_i8_e32 v1, v182, v84
	v_dot4c_i32_i8_e32 v1, v184, v85
	v_dot4c_i32_i8_e32 v1, v185, v86
	v_dot4c_i32_i8_e32 v1, v186, v87
	s_nop 2
	v_mad_u64_u32 v[212:213], s[22:23], v1, v189, v[212:213]
	v_cvt_f32_i32_e32 v211, v212
	v_mul_f32_e32 v1, v183, v6
	v_fmac_f32_e32 v57, v1, v211
	v_mov_b32_e32 v1, 0
	v_dot4c_i32_i8_e32 v1, v188, v2
	v_dot4c_i32_i8_e32 v1, v190, v3
	;; [unrolled: 1-line block ×4, first 2 shown]
	s_nop 2
	v_mul_lo_u32 v212, v1, v198
	v_mov_b32_e32 v1, 0
	v_dot4c_i32_i8_e32 v1, v193, v84
	v_dot4c_i32_i8_e32 v1, v195, v85
	;; [unrolled: 1-line block ×4, first 2 shown]
	s_nop 2
	v_mad_u64_u32 v[212:213], s[22:23], v1, v200, v[212:213]
	v_cvt_f32_i32_e32 v211, v212
	v_mul_f32_e32 v1, v194, v6
	v_fmac_f32_e32 v55, v1, v211
	v_mov_b32_e32 v1, 0
	v_dot4c_i32_i8_e32 v1, v199, v2
	v_dot4c_i32_i8_e32 v1, v201, v3
	;; [unrolled: 1-line block ×4, first 2 shown]
                                        ; kill: def $vgpr3 killed $sgpr0 killed $exec
	s_nop 2
	v_mul_lo_u32 v2, v1, v209
	v_mov_b32_e32 v1, 0
	v_dot4c_i32_i8_e32 v1, v204, v84
	v_dot4c_i32_i8_e32 v1, v206, v85
	;; [unrolled: 1-line block ×4, first 2 shown]
	s_nop 2
	v_mad_u64_u32 v[2:3], s[22:23], v1, v210, v[2:3]
	v_cvt_f32_i32_e32 v2, v2
	v_mul_f32_e32 v1, v205, v6
	v_fmac_f32_e32 v53, v1, v2
	ds_read_b128 v[2:5], v165 offset:28416
	ds_read_b128 v[84:87], v165 offset:28432
	v_mov_b32_e32 v1, 0
	s_waitcnt lgkmcnt(1)
	v_dot4c_i32_i8_e32 v1, v167, v2
	v_dot4c_i32_i8_e32 v1, v168, v3
	;; [unrolled: 1-line block ×4, first 2 shown]
	s_nop 2
	v_mul_lo_u32 v6, v1, v176
	v_mov_b32_e32 v1, 0
	s_waitcnt lgkmcnt(0)
	v_dot4c_i32_i8_e32 v1, v172, v84
	v_dot4c_i32_i8_e32 v1, v173, v85
	;; [unrolled: 1-line block ×4, first 2 shown]
	s_nop 2
	v_mad_u64_u32 v[212:213], s[22:23], v1, v178, v[6:7]
	v_cvt_f32_i32_e32 v6, v212
	v_mul_f32_e32 v1, v171, v7
	v_fmac_f32_e32 v49, v1, v6
	v_mov_b32_e32 v1, 0
	v_dot4c_i32_i8_e32 v1, v177, v2
	v_dot4c_i32_i8_e32 v1, v179, v3
	;; [unrolled: 1-line block ×4, first 2 shown]
	s_nop 2
	v_mul_lo_u32 v6, v1, v187
	v_mov_b32_e32 v1, 0
	v_dot4c_i32_i8_e32 v1, v182, v84
	v_dot4c_i32_i8_e32 v1, v184, v85
	v_dot4c_i32_i8_e32 v1, v185, v86
	v_dot4c_i32_i8_e32 v1, v186, v87
	s_nop 2
	v_mad_u64_u32 v[212:213], s[22:23], v1, v189, v[6:7]
	v_cvt_f32_i32_e32 v6, v212
	v_mul_f32_e32 v1, v183, v7
	v_fmac_f32_e32 v45, v1, v6
	v_mov_b32_e32 v1, 0
	v_dot4c_i32_i8_e32 v1, v188, v2
	v_dot4c_i32_i8_e32 v1, v190, v3
	v_dot4c_i32_i8_e32 v1, v191, v4
	v_dot4c_i32_i8_e32 v1, v192, v5
	s_nop 2
	v_mul_lo_u32 v6, v1, v198
	v_mov_b32_e32 v1, 0
	v_dot4c_i32_i8_e32 v1, v193, v84
	v_dot4c_i32_i8_e32 v1, v195, v85
	;; [unrolled: 1-line block ×4, first 2 shown]
	s_nop 2
	v_mad_u64_u32 v[212:213], s[22:23], v1, v200, v[6:7]
	v_cvt_f32_i32_e32 v6, v212
	v_mul_f32_e32 v1, v194, v7
	v_fmac_f32_e32 v43, v1, v6
	v_mov_b32_e32 v1, 0
	v_dot4c_i32_i8_e32 v1, v199, v2
	v_dot4c_i32_i8_e32 v1, v201, v3
	;; [unrolled: 1-line block ×4, first 2 shown]
                                        ; kill: def $vgpr3 killed $sgpr0 killed $exec
	s_nop 2
	v_mul_lo_u32 v2, v1, v209
	v_mov_b32_e32 v1, 0
	v_dot4c_i32_i8_e32 v1, v204, v84
	v_dot4c_i32_i8_e32 v1, v206, v85
	;; [unrolled: 1-line block ×4, first 2 shown]
	s_nop 2
	v_mad_u64_u32 v[2:3], s[22:23], v1, v210, v[2:3]
	v_cvt_f32_i32_e32 v2, v2
	v_mul_f32_e32 v1, v205, v7
	v_fmac_f32_e32 v41, v1, v2
	ds_read2_b32 v[6:7], v0 offset0:104 offset1:136
	ds_read_b128 v[2:5], v165 offset:29440
	ds_read_b128 v[84:87], v165 offset:29456
	v_mov_b32_e32 v1, 0
	s_waitcnt lgkmcnt(1)
	v_dot4c_i32_i8_e32 v1, v167, v2
	v_dot4c_i32_i8_e32 v1, v168, v3
	;; [unrolled: 1-line block ×4, first 2 shown]
	s_nop 2
	v_mul_lo_u32 v212, v1, v176
	v_mov_b32_e32 v1, 0
	s_waitcnt lgkmcnt(0)
	v_dot4c_i32_i8_e32 v1, v172, v84
	v_dot4c_i32_i8_e32 v1, v173, v85
	;; [unrolled: 1-line block ×4, first 2 shown]
	s_nop 2
	v_mad_u64_u32 v[212:213], s[22:23], v1, v178, v[212:213]
	v_cvt_f32_i32_e32 v211, v212
	v_mul_f32_e32 v1, v171, v6
	v_fmac_f32_e32 v39, v1, v211
	v_mov_b32_e32 v1, 0
	v_dot4c_i32_i8_e32 v1, v177, v2
	v_dot4c_i32_i8_e32 v1, v179, v3
	;; [unrolled: 1-line block ×4, first 2 shown]
	s_nop 2
	v_mul_lo_u32 v212, v1, v187
	v_mov_b32_e32 v1, 0
	v_dot4c_i32_i8_e32 v1, v182, v84
	v_dot4c_i32_i8_e32 v1, v184, v85
	;; [unrolled: 1-line block ×4, first 2 shown]
	s_nop 2
	v_mad_u64_u32 v[212:213], s[22:23], v1, v189, v[212:213]
	v_cvt_f32_i32_e32 v211, v212
	v_mul_f32_e32 v1, v183, v6
	v_fmac_f32_e32 v37, v1, v211
	v_mov_b32_e32 v1, 0
	v_dot4c_i32_i8_e32 v1, v188, v2
	v_dot4c_i32_i8_e32 v1, v190, v3
	;; [unrolled: 1-line block ×4, first 2 shown]
	s_nop 2
	v_mul_lo_u32 v212, v1, v198
	v_mov_b32_e32 v1, 0
	v_dot4c_i32_i8_e32 v1, v193, v84
	v_dot4c_i32_i8_e32 v1, v195, v85
	;; [unrolled: 1-line block ×4, first 2 shown]
	s_nop 2
	v_mad_u64_u32 v[212:213], s[22:23], v1, v200, v[212:213]
	v_cvt_f32_i32_e32 v211, v212
	v_mul_f32_e32 v1, v194, v6
	v_fmac_f32_e32 v35, v1, v211
	v_mov_b32_e32 v1, 0
	v_dot4c_i32_i8_e32 v1, v199, v2
	v_dot4c_i32_i8_e32 v1, v201, v3
	;; [unrolled: 1-line block ×4, first 2 shown]
                                        ; kill: def $vgpr3 killed $sgpr0 killed $exec
	s_nop 2
	v_mul_lo_u32 v2, v1, v209
	v_mov_b32_e32 v1, 0
	v_dot4c_i32_i8_e32 v1, v204, v84
	v_dot4c_i32_i8_e32 v1, v206, v85
	v_dot4c_i32_i8_e32 v1, v207, v86
	v_dot4c_i32_i8_e32 v1, v208, v87
	s_nop 2
	v_mad_u64_u32 v[2:3], s[22:23], v1, v210, v[2:3]
	v_cvt_f32_i32_e32 v2, v2
	v_mul_f32_e32 v1, v205, v6
	v_fmac_f32_e32 v33, v1, v2
	ds_read_b128 v[2:5], v165 offset:30464
	ds_read_b128 v[84:87], v165 offset:30480
	v_mov_b32_e32 v1, 0
	s_waitcnt lgkmcnt(1)
	v_dot4c_i32_i8_e32 v1, v167, v2
	v_dot4c_i32_i8_e32 v1, v168, v3
	;; [unrolled: 1-line block ×4, first 2 shown]
	s_nop 2
	v_mul_lo_u32 v6, v1, v176
	v_mov_b32_e32 v1, 0
	s_waitcnt lgkmcnt(0)
	v_dot4c_i32_i8_e32 v1, v172, v84
	v_dot4c_i32_i8_e32 v1, v173, v85
	;; [unrolled: 1-line block ×4, first 2 shown]
	s_nop 2
	v_mad_u64_u32 v[212:213], s[22:23], v1, v178, v[6:7]
	v_cvt_f32_i32_e32 v6, v212
	v_mul_f32_e32 v1, v171, v7
	v_fmac_f32_e32 v31, v1, v6
	v_mov_b32_e32 v1, 0
	v_dot4c_i32_i8_e32 v1, v177, v2
	v_dot4c_i32_i8_e32 v1, v179, v3
	;; [unrolled: 1-line block ×4, first 2 shown]
	s_nop 2
	v_mul_lo_u32 v6, v1, v187
	v_mov_b32_e32 v1, 0
	v_dot4c_i32_i8_e32 v1, v182, v84
	v_dot4c_i32_i8_e32 v1, v184, v85
	;; [unrolled: 1-line block ×4, first 2 shown]
	s_nop 2
	v_mad_u64_u32 v[212:213], s[22:23], v1, v189, v[6:7]
	v_cvt_f32_i32_e32 v6, v212
	v_mul_f32_e32 v1, v183, v7
	v_fmac_f32_e32 v29, v1, v6
	v_mov_b32_e32 v1, 0
	v_dot4c_i32_i8_e32 v1, v188, v2
	v_dot4c_i32_i8_e32 v1, v190, v3
	;; [unrolled: 1-line block ×4, first 2 shown]
	s_nop 2
	v_mul_lo_u32 v6, v1, v198
	v_mov_b32_e32 v1, 0
	v_dot4c_i32_i8_e32 v1, v193, v84
	v_dot4c_i32_i8_e32 v1, v195, v85
	;; [unrolled: 1-line block ×4, first 2 shown]
	s_nop 2
	v_mad_u64_u32 v[212:213], s[22:23], v1, v200, v[6:7]
	v_cvt_f32_i32_e32 v6, v212
	v_mul_f32_e32 v1, v194, v7
	v_fmac_f32_e32 v27, v1, v6
	v_mov_b32_e32 v1, 0
	v_dot4c_i32_i8_e32 v1, v199, v2
	v_dot4c_i32_i8_e32 v1, v201, v3
	;; [unrolled: 1-line block ×4, first 2 shown]
                                        ; kill: def $vgpr3 killed $sgpr0 killed $exec
	s_nop 2
	v_mul_lo_u32 v2, v1, v209
	v_mov_b32_e32 v1, 0
	v_dot4c_i32_i8_e32 v1, v204, v84
	v_dot4c_i32_i8_e32 v1, v206, v85
	;; [unrolled: 1-line block ×4, first 2 shown]
	v_mov_b32_e32 v86, 0
	v_mov_b32_e32 v87, 0
	s_nop 0
	v_mad_u64_u32 v[2:3], s[22:23], v1, v210, v[2:3]
	v_cvt_f32_i32_e32 v2, v2
	v_mul_f32_e32 v1, v205, v7
	v_fmac_f32_e32 v25, v1, v2
	ds_read2_b32 v[84:85], v0 offset0:168 offset1:200
	ds_read_b128 v[4:7], v165 offset:31488
	ds_read_b128 v[0:3], v165 offset:31504
	s_waitcnt lgkmcnt(1)
	v_dot4c_i32_i8_e32 v86, v167, v4
	v_dot4c_i32_i8_e32 v86, v168, v5
	s_waitcnt lgkmcnt(0)
	v_dot4c_i32_i8_e32 v87, v172, v0
	v_dot4c_i32_i8_e32 v86, v169, v6
	;; [unrolled: 1-line block ×6, first 2 shown]
	s_nop 0
	v_mul_lo_u32 v86, v86, v176
	s_nop 0
	v_mad_u64_u32 v[86:87], s[22:23], v87, v178, v[86:87]
	v_cvt_f32_i32_e32 v86, v86
	v_mul_f32_e32 v87, v171, v84
	v_fmac_f32_e32 v23, v87, v86
	v_mov_b32_e32 v86, 0
	v_dot4c_i32_i8_e32 v86, v177, v4
	v_mov_b32_e32 v87, 0
	v_dot4c_i32_i8_e32 v86, v179, v5
	v_dot4c_i32_i8_e32 v87, v182, v0
	;; [unrolled: 1-line block ×7, first 2 shown]
	s_nop 0
	v_mul_lo_u32 v86, v86, v187
	s_nop 0
	v_mad_u64_u32 v[86:87], s[22:23], v87, v189, v[86:87]
	v_cvt_f32_i32_e32 v86, v86
	v_mul_f32_e32 v87, v183, v84
	v_fmac_f32_e32 v21, v87, v86
	v_mov_b32_e32 v86, 0
	v_dot4c_i32_i8_e32 v86, v188, v4
	v_mov_b32_e32 v87, 0
	v_dot4c_i32_i8_e32 v86, v190, v5
	v_dot4c_i32_i8_e32 v87, v193, v0
	;; [unrolled: 1-line block ×7, first 2 shown]
	s_nop 0
	v_mul_lo_u32 v86, v86, v198
	s_nop 0
	v_mad_u64_u32 v[86:87], s[22:23], v87, v200, v[86:87]
	v_cvt_f32_i32_e32 v86, v86
	v_mul_f32_e32 v87, v194, v84
	v_fmac_f32_e32 v19, v87, v86
	v_mov_b32_e32 v86, 0
	v_dot4c_i32_i8_e32 v86, v199, v4
	v_dot4c_i32_i8_e32 v86, v201, v5
	v_mov_b32_e32 v5, 0
	v_dot4c_i32_i8_e32 v5, v204, v0
	v_dot4c_i32_i8_e32 v86, v202, v6
	;; [unrolled: 1-line block ×6, first 2 shown]
	s_nop 0
	v_mul_lo_u32 v4, v86, v209
	v_mov_b32_e32 v86, 0
	v_mad_u64_u32 v[0:1], s[22:23], v5, v210, v[4:5]
	v_cvt_f32_i32_e32 v0, v0
	v_mul_f32_e32 v1, v205, v84
	v_mov_b32_e32 v84, 0
	v_fmac_f32_e32 v17, v1, v0
	ds_read_b128 v[0:3], v165 offset:32512
	ds_read_b128 v[4:7], v165 offset:32528
	v_add_u32_e32 v165, 32, v165
	s_waitcnt lgkmcnt(1)
	v_dot4c_i32_i8_e32 v84, v167, v0
	v_dot4c_i32_i8_e32 v84, v168, v1
	s_waitcnt lgkmcnt(0)
	v_dot4c_i32_i8_e32 v86, v172, v4
	v_dot4c_i32_i8_e32 v84, v169, v2
	;; [unrolled: 1-line block ×6, first 2 shown]
	s_nop 0
	v_mul_lo_u32 v84, v84, v176
	s_nop 0
	v_mad_u64_u32 v[86:87], s[22:23], v86, v178, v[84:85]
	v_cvt_f32_i32_e32 v86, v86
	v_mul_f32_e32 v84, v171, v85
	v_fmac_f32_e32 v15, v84, v86
	v_mov_b32_e32 v84, 0
	v_dot4c_i32_i8_e32 v84, v177, v0
	v_mov_b32_e32 v86, 0
	v_dot4c_i32_i8_e32 v84, v179, v1
	v_dot4c_i32_i8_e32 v86, v182, v4
	;; [unrolled: 1-line block ×7, first 2 shown]
	s_nop 0
	v_mul_lo_u32 v84, v84, v187
	s_nop 0
	v_mad_u64_u32 v[86:87], s[22:23], v86, v189, v[84:85]
	v_cvt_f32_i32_e32 v86, v86
	v_mul_f32_e32 v84, v183, v85
	v_fmac_f32_e32 v13, v84, v86
	v_mov_b32_e32 v84, 0
	v_dot4c_i32_i8_e32 v84, v188, v0
	v_mov_b32_e32 v86, 0
	v_dot4c_i32_i8_e32 v84, v190, v1
	v_dot4c_i32_i8_e32 v86, v193, v4
	v_dot4c_i32_i8_e32 v84, v191, v2
	v_dot4c_i32_i8_e32 v86, v195, v5
	v_dot4c_i32_i8_e32 v84, v192, v3
	v_dot4c_i32_i8_e32 v86, v196, v6
	v_dot4c_i32_i8_e32 v86, v197, v7
	s_nop 0
	v_mul_lo_u32 v84, v84, v198
	s_nop 0
	v_mad_u64_u32 v[86:87], s[22:23], v86, v200, v[84:85]
	v_cvt_f32_i32_e32 v86, v86
	v_mul_f32_e32 v84, v194, v85
	v_fmac_f32_e32 v11, v84, v86
	v_mov_b32_e32 v84, 0
	v_dot4c_i32_i8_e32 v84, v199, v0
	v_dot4c_i32_i8_e32 v84, v201, v1
	v_mov_b32_e32 v1, 0
	v_dot4c_i32_i8_e32 v1, v204, v4
	v_dot4c_i32_i8_e32 v84, v202, v2
	;; [unrolled: 1-line block ×6, first 2 shown]
	s_nop 0
	v_mul_lo_u32 v0, v84, v209
	s_nop 0
	v_mad_u64_u32 v[0:1], s[22:23], v1, v210, v[0:1]
	v_cvt_f32_i32_e32 v0, v0
	v_mul_f32_e32 v1, v205, v85
	v_fmac_f32_e32 v9, v1, v0
	s_cbranch_scc1 .LBB169_9
; %bb.10:                               ;   in Loop: Header=BB169_6 Depth=1
	s_or_b32 s18, s7, 1
	s_cmp_ge_i32 s18, s4
	s_barrier
	s_cbranch_scc1 .LBB169_5
; %bb.11:                               ;   in Loop: Header=BB169_6 Depth=1
	v_add_u32_e32 v165, s17, v139
	v_add_u32_e32 v0, v165, v106
	;; [unrolled: 1-line block ×9, first 2 shown]
	v_mad_i64_i32 v[168:169], s[18:19], v165, 36, v[80:81]
	v_add_u32_e32 v165, 8, v164
	v_mad_i64_i32 v[0:1], s[18:19], v0, 36, v[80:81]
	v_mad_i64_i32 v[2:3], s[18:19], v2, 36, v[80:81]
	;; [unrolled: 1-line block ×4, first 2 shown]
	v_mad_u64_u32 v[170:171], s[18:19], v165, 36, s[2:3]
	v_mad_i64_i32 v[84:85], s[18:19], v84, 36, v[80:81]
	v_mad_i64_i32 v[86:87], s[18:19], v86, 36, v[80:81]
	;; [unrolled: 1-line block ×3, first 2 shown]
	global_load_dword v170, v[170:171], off
	s_nop 0
	global_load_dword v0, v[0:1], off offset:4
	s_nop 0
	global_load_dword v1, v[2:3], off offset:4
	;; [unrolled: 2-line block ×3, first 2 shown]
	global_load_dword v3, v[6:7], off offset:4
	s_nop 0
	global_load_dword v4, v[84:85], off offset:4
	global_load_dword v5, v[86:87], off offset:4
	;; [unrolled: 1-line block ×4, first 2 shown]
	s_mov_b32 s18, 16
	s_mov_b32 s21, 14
	;; [unrolled: 1-line block ×3, first 2 shown]
	v_mov_b32_e32 v165, v150
	v_mov_b32_e32 v166, v149
	s_waitcnt vmcnt(8)
	v_cvt_f32_f16_e32 v84, v170
	s_waitcnt vmcnt(7)
	ds_write_b32 v108, v0
	s_waitcnt vmcnt(6)
	ds_write_b32 v111, v1
	;; [unrolled: 2-line block ×8, first 2 shown]
	ds_write_b32 v105, v84
	s_waitcnt lgkmcnt(0)
	s_barrier
.LBB169_12:                             ;   Parent Loop BB169_6 Depth=1
                                        ; =>  This Inner Loop Header: Depth=2
	s_add_i32 s20, s21, 2
	s_lshr_b32 s25, s20, 4
	s_and_b32 s24, s20, 0x3ffffff8
	s_lshl_b32 s23, s25, 3
	s_lshl_b32 s24, s24, 2
	v_add_lshl_u32 v176, v126, s23, 2
	v_add_u32_e32 v87, s24, v127
	v_add_u32_e32 v170, 0x4200, v176
	ds_read2_b32 v[84:85], v166 offset1:32
	ds_read_b128 v[4:7], v165
	ds_read_b128 v[0:3], v165 offset:16
	ds_read2_b32 v[168:169], v87 offset1:1
	ds_read2_b32 v[170:171], v170 offset1:1
	s_and_b32 s22, s18, -16
	v_add_u32_e32 v86, s22, v125
	s_add_i32 s22, s21, -14
	s_waitcnt lgkmcnt(1)
	v_ashrrev_i32_e32 v167, s22, v168
	s_waitcnt lgkmcnt(0)
	v_ashrrev_i32_e32 v170, s19, v170
	v_lshlrev_b32_e32 v170, 2, v170
	v_and_b32_e32 v168, 0x3030303, v167
	v_bfe_u32 v167, v167, 24, 2
	v_and_b32_e32 v170, 0x4040404, v170
	v_sub_u16_e32 v172, v168, v170
	v_sub_u16_sdwa v173, v168, v170 dst_sel:BYTE_1 dst_unused:UNUSED_PAD src0_sel:BYTE_1 src1_sel:BYTE_1
	v_sub_u16_sdwa v167, v167, v170 dst_sel:BYTE_1 dst_unused:UNUSED_PAD src0_sel:DWORD src1_sel:BYTE_3
	v_sub_u16_sdwa v168, v168, v170 dst_sel:DWORD dst_unused:UNUSED_PAD src0_sel:WORD_1 src1_sel:WORD_1
	v_ashrrev_i32_e32 v170, s19, v171
	v_or_b32_sdwa v167, v168, v167 dst_sel:WORD_1 dst_unused:UNUSED_PAD src0_sel:BYTE_0 src1_sel:DWORD
	v_ashrrev_i32_e32 v168, s22, v169
	v_lshlrev_b32_e32 v170, 2, v170
	v_or_b32_sdwa v172, v172, v173 dst_sel:DWORD dst_unused:UNUSED_PAD src0_sel:BYTE_0 src1_sel:DWORD
	v_and_b32_e32 v169, 0x3030303, v168
	v_bfe_u32 v168, v168, 24, 2
	v_and_b32_e32 v170, 0x4040404, v170
	v_or_b32_sdwa v167, v172, v167 dst_sel:DWORD dst_unused:UNUSED_PAD src0_sel:WORD_0 src1_sel:DWORD
	v_sub_u16_e32 v171, v169, v170
	v_sub_u16_sdwa v172, v169, v170 dst_sel:BYTE_1 dst_unused:UNUSED_PAD src0_sel:BYTE_1 src1_sel:BYTE_1
	v_sub_u16_sdwa v168, v168, v170 dst_sel:BYTE_1 dst_unused:UNUSED_PAD src0_sel:DWORD src1_sel:BYTE_3
	v_sub_u16_sdwa v169, v169, v170 dst_sel:DWORD dst_unused:UNUSED_PAD src0_sel:WORD_1 src1_sel:WORD_1
	v_or_b32_sdwa v171, v171, v172 dst_sel:DWORD dst_unused:UNUSED_PAD src0_sel:BYTE_0 src1_sel:DWORD
	v_or_b32_sdwa v168, v169, v168 dst_sel:WORD_1 dst_unused:UNUSED_PAD src0_sel:BYTE_0 src1_sel:DWORD
	v_add_u32_e32 v172, 0x4208, v176
	v_or_b32_sdwa v168, v171, v168 dst_sel:DWORD dst_unused:UNUSED_PAD src0_sel:WORD_0 src1_sel:DWORD
	ds_read2_b32 v[170:171], v87 offset0:2 offset1:3
	ds_read2_b32 v[172:173], v172 offset1:1
	s_lshl_b32 s25, s25, 2
	v_add_lshl_u32 v198, v132, s23, 2
	v_add_lshl_u32 v188, v129, s23, 2
	s_waitcnt lgkmcnt(1)
	v_ashrrev_i32_e32 v169, s22, v170
	s_waitcnt lgkmcnt(0)
	v_ashrrev_i32_e32 v172, s19, v172
	v_lshlrev_b32_e32 v172, 2, v172
	v_and_b32_e32 v170, 0x3030303, v169
	v_bfe_u32 v169, v169, 24, 2
	v_and_b32_e32 v172, 0x4040404, v172
	v_sub_u16_e32 v174, v170, v172
	v_sub_u16_sdwa v175, v170, v172 dst_sel:BYTE_1 dst_unused:UNUSED_PAD src0_sel:BYTE_1 src1_sel:BYTE_1
	v_sub_u16_sdwa v169, v169, v172 dst_sel:BYTE_1 dst_unused:UNUSED_PAD src0_sel:DWORD src1_sel:BYTE_3
	v_sub_u16_sdwa v170, v170, v172 dst_sel:DWORD dst_unused:UNUSED_PAD src0_sel:WORD_1 src1_sel:WORD_1
	v_ashrrev_i32_e32 v172, s19, v173
	v_or_b32_sdwa v169, v170, v169 dst_sel:WORD_1 dst_unused:UNUSED_PAD src0_sel:BYTE_0 src1_sel:DWORD
	v_ashrrev_i32_e32 v170, s22, v171
	v_lshlrev_b32_e32 v172, 2, v172
	v_or_b32_sdwa v174, v174, v175 dst_sel:DWORD dst_unused:UNUSED_PAD src0_sel:BYTE_0 src1_sel:DWORD
	v_and_b32_e32 v171, 0x3030303, v170
	v_bfe_u32 v170, v170, 24, 2
	v_and_b32_e32 v172, 0x4040404, v172
	v_or_b32_sdwa v169, v174, v169 dst_sel:DWORD dst_unused:UNUSED_PAD src0_sel:WORD_0 src1_sel:DWORD
	v_sub_u16_e32 v173, v171, v172
	v_sub_u16_sdwa v174, v171, v172 dst_sel:BYTE_1 dst_unused:UNUSED_PAD src0_sel:BYTE_1 src1_sel:BYTE_1
	v_sub_u16_sdwa v170, v170, v172 dst_sel:BYTE_1 dst_unused:UNUSED_PAD src0_sel:DWORD src1_sel:BYTE_3
	v_sub_u16_sdwa v171, v171, v172 dst_sel:DWORD dst_unused:UNUSED_PAD src0_sel:WORD_1 src1_sel:WORD_1
	v_or_b32_sdwa v173, v173, v174 dst_sel:DWORD dst_unused:UNUSED_PAD src0_sel:BYTE_0 src1_sel:DWORD
	v_or_b32_sdwa v170, v171, v170 dst_sel:WORD_1 dst_unused:UNUSED_PAD src0_sel:BYTE_0 src1_sel:DWORD
	v_add_u32_e32 v174, 0x4210, v176
	v_or_b32_sdwa v170, v173, v170 dst_sel:DWORD dst_unused:UNUSED_PAD src0_sel:WORD_0 src1_sel:DWORD
	ds_read2_b32 v[172:173], v87 offset0:4 offset1:5
	ds_read2_b32 v[174:175], v174 offset1:1
	v_add_u32_e32 v192, 0x4200, v198
	v_add_lshl_u32 v210, v135, s23, 2
	s_add_i32 s18, s18, 2
	s_waitcnt lgkmcnt(1)
	v_ashrrev_i32_e32 v171, s22, v172
	s_waitcnt lgkmcnt(0)
	v_ashrrev_i32_e32 v174, s19, v174
	v_lshlrev_b32_e32 v174, 2, v174
	v_and_b32_e32 v172, 0x3030303, v171
	v_bfe_u32 v171, v171, 24, 2
	v_and_b32_e32 v174, 0x4040404, v174
	v_sub_u16_e32 v177, v172, v174
	v_sub_u16_sdwa v178, v172, v174 dst_sel:BYTE_1 dst_unused:UNUSED_PAD src0_sel:BYTE_1 src1_sel:BYTE_1
	v_sub_u16_sdwa v171, v171, v174 dst_sel:BYTE_1 dst_unused:UNUSED_PAD src0_sel:DWORD src1_sel:BYTE_3
	v_sub_u16_sdwa v172, v172, v174 dst_sel:DWORD dst_unused:UNUSED_PAD src0_sel:WORD_1 src1_sel:WORD_1
	v_or_b32_sdwa v177, v177, v178 dst_sel:DWORD dst_unused:UNUSED_PAD src0_sel:BYTE_0 src1_sel:DWORD
	v_or_b32_sdwa v171, v172, v171 dst_sel:WORD_1 dst_unused:UNUSED_PAD src0_sel:BYTE_0 src1_sel:DWORD
	v_ashrrev_i32_e32 v174, s19, v175
	v_or_b32_sdwa v172, v177, v171 dst_sel:DWORD dst_unused:UNUSED_PAD src0_sel:WORD_0 src1_sel:DWORD
	v_ashrrev_i32_e32 v171, s22, v173
	v_lshlrev_b32_e32 v174, 2, v174
	v_and_b32_e32 v173, 0x3030303, v171
	v_bfe_u32 v171, v171, 24, 2
	v_and_b32_e32 v174, 0x4040404, v174
	v_sub_u16_e32 v175, v173, v174
	v_sub_u16_sdwa v177, v173, v174 dst_sel:BYTE_1 dst_unused:UNUSED_PAD src0_sel:BYTE_1 src1_sel:BYTE_1
	v_sub_u16_sdwa v171, v171, v174 dst_sel:BYTE_1 dst_unused:UNUSED_PAD src0_sel:DWORD src1_sel:BYTE_3
	v_sub_u16_sdwa v173, v173, v174 dst_sel:DWORD dst_unused:UNUSED_PAD src0_sel:WORD_1 src1_sel:WORD_1
	v_or_b32_sdwa v175, v175, v177 dst_sel:DWORD dst_unused:UNUSED_PAD src0_sel:BYTE_0 src1_sel:DWORD
	v_or_b32_sdwa v171, v173, v171 dst_sel:WORD_1 dst_unused:UNUSED_PAD src0_sel:BYTE_0 src1_sel:DWORD
	v_or_b32_sdwa v173, v175, v171 dst_sel:DWORD dst_unused:UNUSED_PAD src0_sel:WORD_0 src1_sel:DWORD
	ds_read2_b32 v[174:175], v87 offset0:6 offset1:7
	ds_read2_b32 v[192:193], v192 offset1:1
	s_waitcnt lgkmcnt(1)
	v_ashrrev_i32_e32 v87, s22, v174
	v_add_u32_e32 v174, 0x4218, v176
	ds_read2_b32 v[176:177], v174 offset1:1
	v_and_b32_e32 v171, 0x3030303, v87
	v_bfe_u32 v87, v87, 24, 2
	s_waitcnt lgkmcnt(1)
	v_ashrrev_i32_e32 v192, s19, v192
	v_lshlrev_b32_e32 v192, 2, v192
	s_waitcnt lgkmcnt(0)
	v_ashrrev_i32_e32 v174, s19, v176
	v_lshlrev_b32_e32 v174, 2, v174
	v_and_b32_e32 v174, 0x4040404, v174
	v_sub_u16_e32 v176, v171, v174
	v_sub_u16_sdwa v178, v171, v174 dst_sel:BYTE_1 dst_unused:UNUSED_PAD src0_sel:BYTE_1 src1_sel:BYTE_1
	v_sub_u16_sdwa v87, v87, v174 dst_sel:BYTE_1 dst_unused:UNUSED_PAD src0_sel:DWORD src1_sel:BYTE_3
	v_sub_u16_sdwa v171, v171, v174 dst_sel:DWORD dst_unused:UNUSED_PAD src0_sel:WORD_1 src1_sel:WORD_1
	v_or_b32_sdwa v176, v176, v178 dst_sel:DWORD dst_unused:UNUSED_PAD src0_sel:BYTE_0 src1_sel:DWORD
	v_or_b32_sdwa v87, v171, v87 dst_sel:WORD_1 dst_unused:UNUSED_PAD src0_sel:BYTE_0 src1_sel:DWORD
	v_or_b32_sdwa v174, v176, v87 dst_sel:DWORD dst_unused:UNUSED_PAD src0_sel:WORD_0 src1_sel:DWORD
	v_ashrrev_i32_e32 v87, s22, v175
	v_ashrrev_i32_e32 v175, s19, v177
	v_lshlrev_b32_e32 v175, 2, v175
	v_and_b32_e32 v171, 0x3030303, v87
	v_bfe_u32 v87, v87, 24, 2
	v_and_b32_e32 v175, 0x4040404, v175
	v_sub_u16_e32 v176, v171, v175
	v_sub_u16_sdwa v177, v171, v175 dst_sel:BYTE_1 dst_unused:UNUSED_PAD src0_sel:BYTE_1 src1_sel:BYTE_1
	v_sub_u16_sdwa v87, v87, v175 dst_sel:BYTE_1 dst_unused:UNUSED_PAD src0_sel:DWORD src1_sel:BYTE_3
	v_sub_u16_sdwa v171, v171, v175 dst_sel:DWORD dst_unused:UNUSED_PAD src0_sel:WORD_1 src1_sel:WORD_1
	v_or_b32_sdwa v176, v176, v177 dst_sel:DWORD dst_unused:UNUSED_PAD src0_sel:BYTE_0 src1_sel:DWORD
	v_or_b32_sdwa v87, v171, v87 dst_sel:WORD_1 dst_unused:UNUSED_PAD src0_sel:BYTE_0 src1_sel:DWORD
	v_or_b32_sdwa v175, v176, v87 dst_sel:DWORD dst_unused:UNUSED_PAD src0_sel:WORD_0 src1_sel:DWORD
	v_add3_u32 v87, v141, s21, v86
	v_add_u32_e32 v171, s25, v128
	ds_read_b32 v171, v171
	ds_read_u16 v87, v87 offset:33522
	v_mov_b32_e32 v177, 0
	v_dot4c_i32_i8_e32 v177, v167, v4
	v_dot4c_i32_i8_e32 v177, v168, v5
	v_dot4c_i32_i8_e32 v177, v169, v6
	s_waitcnt lgkmcnt(0)
	v_lshrrev_b16_e32 v178, 8, v87
	v_bfe_i32 v176, v87, 0, 8
	v_mov_b32_e32 v87, 0
	v_dot4c_i32_i8_e32 v87, v172, v0
	v_dot4c_i32_i8_e32 v87, v173, v1
	;; [unrolled: 1-line block ×5, first 2 shown]
	v_bfe_i32 v178, v178, 0, 8
	v_mul_lo_u32 v180, v177, v176
	v_and_b32_e32 v192, 0x4040404, v192
	v_mad_u64_u32 v[180:181], s[26:27], v87, v178, v[180:181]
	v_cvt_f32_i32_e32 v177, v180
	v_mul_f32_e32 v87, v84, v171
	v_fmac_f32_e32 v120, v87, v177
	v_add_u32_e32 v87, s24, v130
	ds_read2_b32 v[180:181], v87 offset1:1
	s_waitcnt lgkmcnt(0)
	v_ashrrev_i32_e32 v177, s22, v180
	v_add_u32_e32 v180, 0x4200, v188
	ds_read2_b32 v[182:183], v180 offset1:1
	v_and_b32_e32 v179, 0x3030303, v177
	v_bfe_u32 v177, v177, 24, 2
	s_waitcnt lgkmcnt(0)
	v_ashrrev_i32_e32 v180, s19, v182
	v_lshlrev_b32_e32 v180, 2, v180
	v_and_b32_e32 v180, 0x4040404, v180
	v_sub_u16_e32 v182, v179, v180
	v_sub_u16_sdwa v184, v179, v180 dst_sel:BYTE_1 dst_unused:UNUSED_PAD src0_sel:BYTE_1 src1_sel:BYTE_1
	v_sub_u16_sdwa v177, v177, v180 dst_sel:BYTE_1 dst_unused:UNUSED_PAD src0_sel:DWORD src1_sel:BYTE_3
	v_sub_u16_sdwa v179, v179, v180 dst_sel:DWORD dst_unused:UNUSED_PAD src0_sel:WORD_1 src1_sel:WORD_1
	v_or_b32_sdwa v177, v179, v177 dst_sel:WORD_1 dst_unused:UNUSED_PAD src0_sel:BYTE_0 src1_sel:DWORD
	v_ashrrev_i32_e32 v179, s22, v181
	v_ashrrev_i32_e32 v181, s19, v183
	v_lshlrev_b32_e32 v181, 2, v181
	v_or_b32_sdwa v182, v182, v184 dst_sel:DWORD dst_unused:UNUSED_PAD src0_sel:BYTE_0 src1_sel:DWORD
	v_and_b32_e32 v180, 0x3030303, v179
	v_bfe_u32 v179, v179, 24, 2
	v_and_b32_e32 v181, 0x4040404, v181
	v_or_b32_sdwa v177, v182, v177 dst_sel:DWORD dst_unused:UNUSED_PAD src0_sel:WORD_0 src1_sel:DWORD
	v_sub_u16_e32 v182, v180, v181
	v_sub_u16_sdwa v183, v180, v181 dst_sel:BYTE_1 dst_unused:UNUSED_PAD src0_sel:BYTE_1 src1_sel:BYTE_1
	v_sub_u16_sdwa v179, v179, v181 dst_sel:BYTE_1 dst_unused:UNUSED_PAD src0_sel:DWORD src1_sel:BYTE_3
	v_sub_u16_sdwa v180, v180, v181 dst_sel:DWORD dst_unused:UNUSED_PAD src0_sel:WORD_1 src1_sel:WORD_1
	v_or_b32_sdwa v182, v182, v183 dst_sel:DWORD dst_unused:UNUSED_PAD src0_sel:BYTE_0 src1_sel:DWORD
	v_or_b32_sdwa v179, v180, v179 dst_sel:WORD_1 dst_unused:UNUSED_PAD src0_sel:BYTE_0 src1_sel:DWORD
	v_or_b32_sdwa v179, v182, v179 dst_sel:DWORD dst_unused:UNUSED_PAD src0_sel:WORD_0 src1_sel:DWORD
	v_add_u32_e32 v182, 0x4208, v188
	ds_read2_b32 v[180:181], v87 offset0:2 offset1:3
	ds_read2_b32 v[182:183], v182 offset1:1
	s_waitcnt lgkmcnt(1)
	v_ashrrev_i32_e32 v180, s22, v180
	s_waitcnt lgkmcnt(0)
	v_ashrrev_i32_e32 v182, s19, v182
	v_lshlrev_b32_e32 v182, 2, v182
	v_and_b32_e32 v184, 0x3030303, v180
	v_bfe_u32 v180, v180, 24, 2
	v_and_b32_e32 v182, 0x4040404, v182
	v_ashrrev_i32_e32 v183, s19, v183
	v_sub_u16_e32 v185, v184, v182
	v_sub_u16_sdwa v186, v184, v182 dst_sel:BYTE_1 dst_unused:UNUSED_PAD src0_sel:BYTE_1 src1_sel:BYTE_1
	v_sub_u16_sdwa v180, v180, v182 dst_sel:BYTE_1 dst_unused:UNUSED_PAD src0_sel:DWORD src1_sel:BYTE_3
	v_sub_u16_sdwa v182, v184, v182 dst_sel:DWORD dst_unused:UNUSED_PAD src0_sel:WORD_1 src1_sel:WORD_1
	v_ashrrev_i32_e32 v181, s22, v181
	v_lshlrev_b32_e32 v183, 2, v183
	v_or_b32_sdwa v185, v185, v186 dst_sel:DWORD dst_unused:UNUSED_PAD src0_sel:BYTE_0 src1_sel:DWORD
	v_or_b32_sdwa v180, v182, v180 dst_sel:WORD_1 dst_unused:UNUSED_PAD src0_sel:BYTE_0 src1_sel:DWORD
	v_and_b32_e32 v182, 0x3030303, v181
	v_bfe_u32 v181, v181, 24, 2
	v_and_b32_e32 v183, 0x4040404, v183
	v_or_b32_sdwa v180, v185, v180 dst_sel:DWORD dst_unused:UNUSED_PAD src0_sel:WORD_0 src1_sel:DWORD
	v_sub_u16_e32 v184, v182, v183
	v_sub_u16_sdwa v185, v182, v183 dst_sel:BYTE_1 dst_unused:UNUSED_PAD src0_sel:BYTE_1 src1_sel:BYTE_1
	v_sub_u16_sdwa v181, v181, v183 dst_sel:BYTE_1 dst_unused:UNUSED_PAD src0_sel:DWORD src1_sel:BYTE_3
	v_sub_u16_sdwa v182, v182, v183 dst_sel:DWORD dst_unused:UNUSED_PAD src0_sel:WORD_1 src1_sel:WORD_1
	v_or_b32_sdwa v184, v184, v185 dst_sel:DWORD dst_unused:UNUSED_PAD src0_sel:BYTE_0 src1_sel:DWORD
	v_or_b32_sdwa v181, v182, v181 dst_sel:WORD_1 dst_unused:UNUSED_PAD src0_sel:BYTE_0 src1_sel:DWORD
	v_or_b32_sdwa v181, v184, v181 dst_sel:DWORD dst_unused:UNUSED_PAD src0_sel:WORD_0 src1_sel:DWORD
	v_add_u32_e32 v184, 0x4210, v188
	ds_read2_b32 v[182:183], v87 offset0:4 offset1:5
	ds_read2_b32 v[184:185], v184 offset1:1
	s_waitcnt lgkmcnt(1)
	v_ashrrev_i32_e32 v182, s22, v182
	s_waitcnt lgkmcnt(0)
	v_ashrrev_i32_e32 v184, s19, v184
	v_lshlrev_b32_e32 v184, 2, v184
	v_and_b32_e32 v186, 0x3030303, v182
	v_bfe_u32 v182, v182, 24, 2
	v_and_b32_e32 v184, 0x4040404, v184
	v_ashrrev_i32_e32 v185, s19, v185
	v_sub_u16_e32 v187, v186, v184
	v_sub_u16_sdwa v189, v186, v184 dst_sel:BYTE_1 dst_unused:UNUSED_PAD src0_sel:BYTE_1 src1_sel:BYTE_1
	v_sub_u16_sdwa v182, v182, v184 dst_sel:BYTE_1 dst_unused:UNUSED_PAD src0_sel:DWORD src1_sel:BYTE_3
	v_sub_u16_sdwa v184, v186, v184 dst_sel:DWORD dst_unused:UNUSED_PAD src0_sel:WORD_1 src1_sel:WORD_1
	v_ashrrev_i32_e32 v183, s22, v183
	v_lshlrev_b32_e32 v185, 2, v185
	v_or_b32_sdwa v187, v187, v189 dst_sel:DWORD dst_unused:UNUSED_PAD src0_sel:BYTE_0 src1_sel:DWORD
	v_or_b32_sdwa v182, v184, v182 dst_sel:WORD_1 dst_unused:UNUSED_PAD src0_sel:BYTE_0 src1_sel:DWORD
	v_and_b32_e32 v184, 0x3030303, v183
	v_bfe_u32 v183, v183, 24, 2
	v_and_b32_e32 v185, 0x4040404, v185
	v_or_b32_sdwa v182, v187, v182 dst_sel:DWORD dst_unused:UNUSED_PAD src0_sel:WORD_0 src1_sel:DWORD
	v_sub_u16_e32 v186, v184, v185
	v_sub_u16_sdwa v187, v184, v185 dst_sel:BYTE_1 dst_unused:UNUSED_PAD src0_sel:BYTE_1 src1_sel:BYTE_1
	v_sub_u16_sdwa v183, v183, v185 dst_sel:BYTE_1 dst_unused:UNUSED_PAD src0_sel:DWORD src1_sel:BYTE_3
	v_sub_u16_sdwa v184, v184, v185 dst_sel:DWORD dst_unused:UNUSED_PAD src0_sel:WORD_1 src1_sel:WORD_1
	v_or_b32_sdwa v186, v186, v187 dst_sel:DWORD dst_unused:UNUSED_PAD src0_sel:BYTE_0 src1_sel:DWORD
	v_or_b32_sdwa v183, v184, v183 dst_sel:WORD_1 dst_unused:UNUSED_PAD src0_sel:BYTE_0 src1_sel:DWORD
	v_add_u32_e32 v185, 0x4218, v188
	v_or_b32_sdwa v184, v186, v183 dst_sel:DWORD dst_unused:UNUSED_PAD src0_sel:WORD_0 src1_sel:DWORD
	ds_read2_b32 v[186:187], v87 offset0:6 offset1:7
	ds_read2_b32 v[188:189], v185 offset1:1
	s_waitcnt lgkmcnt(1)
	v_ashrrev_i32_e32 v87, s22, v186
	s_waitcnt lgkmcnt(0)
	v_ashrrev_i32_e32 v185, s19, v188
	v_lshlrev_b32_e32 v185, 2, v185
	v_and_b32_e32 v183, 0x3030303, v87
	v_bfe_u32 v87, v87, 24, 2
	v_and_b32_e32 v185, 0x4040404, v185
	v_sub_u16_e32 v186, v183, v185
	v_sub_u16_sdwa v188, v183, v185 dst_sel:BYTE_1 dst_unused:UNUSED_PAD src0_sel:BYTE_1 src1_sel:BYTE_1
	v_sub_u16_sdwa v87, v87, v185 dst_sel:BYTE_1 dst_unused:UNUSED_PAD src0_sel:DWORD src1_sel:BYTE_3
	v_sub_u16_sdwa v183, v183, v185 dst_sel:DWORD dst_unused:UNUSED_PAD src0_sel:WORD_1 src1_sel:WORD_1
	v_or_b32_sdwa v186, v186, v188 dst_sel:DWORD dst_unused:UNUSED_PAD src0_sel:BYTE_0 src1_sel:DWORD
	v_or_b32_sdwa v87, v183, v87 dst_sel:WORD_1 dst_unused:UNUSED_PAD src0_sel:BYTE_0 src1_sel:DWORD
	v_or_b32_sdwa v185, v186, v87 dst_sel:DWORD dst_unused:UNUSED_PAD src0_sel:WORD_0 src1_sel:DWORD
	v_ashrrev_i32_e32 v186, s19, v189
	v_ashrrev_i32_e32 v87, s22, v187
	v_lshlrev_b32_e32 v186, 2, v186
	v_and_b32_e32 v183, 0x3030303, v87
	v_bfe_u32 v87, v87, 24, 2
	v_and_b32_e32 v186, 0x4040404, v186
	v_sub_u16_e32 v187, v183, v186
	v_sub_u16_sdwa v188, v183, v186 dst_sel:BYTE_1 dst_unused:UNUSED_PAD src0_sel:BYTE_1 src1_sel:BYTE_1
	v_sub_u16_sdwa v87, v87, v186 dst_sel:BYTE_1 dst_unused:UNUSED_PAD src0_sel:DWORD src1_sel:BYTE_3
	v_sub_u16_sdwa v183, v183, v186 dst_sel:DWORD dst_unused:UNUSED_PAD src0_sel:WORD_1 src1_sel:WORD_1
	v_or_b32_sdwa v187, v187, v188 dst_sel:DWORD dst_unused:UNUSED_PAD src0_sel:BYTE_0 src1_sel:DWORD
	v_or_b32_sdwa v87, v183, v87 dst_sel:WORD_1 dst_unused:UNUSED_PAD src0_sel:BYTE_0 src1_sel:DWORD
	v_or_b32_sdwa v186, v187, v87 dst_sel:DWORD dst_unused:UNUSED_PAD src0_sel:WORD_0 src1_sel:DWORD
	v_add3_u32 v87, v143, s21, v86
	v_add_u32_e32 v183, s25, v131
	ds_read_b32 v183, v183
	ds_read_u16 v87, v87 offset:34546
	v_mov_b32_e32 v188, 0
	v_dot4c_i32_i8_e32 v188, v177, v4
	v_dot4c_i32_i8_e32 v188, v179, v5
	;; [unrolled: 1-line block ×3, first 2 shown]
	s_waitcnt lgkmcnt(0)
	v_lshrrev_b16_e32 v189, 8, v87
	v_bfe_i32 v187, v87, 0, 8
	v_mov_b32_e32 v87, 0
	v_dot4c_i32_i8_e32 v87, v182, v0
	v_dot4c_i32_i8_e32 v87, v184, v1
	;; [unrolled: 1-line block ×5, first 2 shown]
	v_bfe_i32 v189, v189, 0, 8
	v_mul_lo_u32 v188, v188, v187
	s_nop 0
	v_mad_u64_u32 v[190:191], s[26:27], v87, v189, v[188:189]
	v_cvt_f32_i32_e32 v188, v190
	v_mul_f32_e32 v87, v84, v183
	v_fmac_f32_e32 v109, v87, v188
	v_add_u32_e32 v87, s24, v133
	ds_read2_b32 v[190:191], v87 offset1:1
	s_waitcnt lgkmcnt(0)
	v_ashrrev_i32_e32 v188, s22, v190
	v_and_b32_e32 v190, 0x3030303, v188
	v_bfe_u32 v188, v188, 24, 2
	v_sub_u16_e32 v194, v190, v192
	v_sub_u16_sdwa v195, v190, v192 dst_sel:BYTE_1 dst_unused:UNUSED_PAD src0_sel:BYTE_1 src1_sel:BYTE_1
	v_sub_u16_sdwa v188, v188, v192 dst_sel:BYTE_1 dst_unused:UNUSED_PAD src0_sel:DWORD src1_sel:BYTE_3
	v_sub_u16_sdwa v190, v190, v192 dst_sel:DWORD dst_unused:UNUSED_PAD src0_sel:WORD_1 src1_sel:WORD_1
	v_ashrrev_i32_e32 v192, s19, v193
	v_or_b32_sdwa v188, v190, v188 dst_sel:WORD_1 dst_unused:UNUSED_PAD src0_sel:BYTE_0 src1_sel:DWORD
	v_ashrrev_i32_e32 v190, s22, v191
	v_lshlrev_b32_e32 v192, 2, v192
	v_or_b32_sdwa v194, v194, v195 dst_sel:DWORD dst_unused:UNUSED_PAD src0_sel:BYTE_0 src1_sel:DWORD
	v_and_b32_e32 v191, 0x3030303, v190
	v_bfe_u32 v190, v190, 24, 2
	v_and_b32_e32 v192, 0x4040404, v192
	v_or_b32_sdwa v188, v194, v188 dst_sel:DWORD dst_unused:UNUSED_PAD src0_sel:WORD_0 src1_sel:DWORD
	v_sub_u16_e32 v193, v191, v192
	v_sub_u16_sdwa v194, v191, v192 dst_sel:BYTE_1 dst_unused:UNUSED_PAD src0_sel:BYTE_1 src1_sel:BYTE_1
	v_sub_u16_sdwa v190, v190, v192 dst_sel:BYTE_1 dst_unused:UNUSED_PAD src0_sel:DWORD src1_sel:BYTE_3
	v_sub_u16_sdwa v191, v191, v192 dst_sel:DWORD dst_unused:UNUSED_PAD src0_sel:WORD_1 src1_sel:WORD_1
	v_or_b32_sdwa v193, v193, v194 dst_sel:DWORD dst_unused:UNUSED_PAD src0_sel:BYTE_0 src1_sel:DWORD
	v_or_b32_sdwa v190, v191, v190 dst_sel:WORD_1 dst_unused:UNUSED_PAD src0_sel:BYTE_0 src1_sel:DWORD
	v_add_u32_e32 v194, 0x4208, v198
	v_or_b32_sdwa v190, v193, v190 dst_sel:DWORD dst_unused:UNUSED_PAD src0_sel:WORD_0 src1_sel:DWORD
	ds_read2_b32 v[192:193], v87 offset0:2 offset1:3
	ds_read2_b32 v[194:195], v194 offset1:1
	s_waitcnt lgkmcnt(1)
	v_ashrrev_i32_e32 v191, s22, v192
	s_waitcnt lgkmcnt(0)
	v_ashrrev_i32_e32 v194, s19, v194
	v_lshlrev_b32_e32 v194, 2, v194
	v_and_b32_e32 v192, 0x3030303, v191
	v_bfe_u32 v191, v191, 24, 2
	v_and_b32_e32 v194, 0x4040404, v194
	v_sub_u16_e32 v196, v192, v194
	v_sub_u16_sdwa v197, v192, v194 dst_sel:BYTE_1 dst_unused:UNUSED_PAD src0_sel:BYTE_1 src1_sel:BYTE_1
	v_sub_u16_sdwa v191, v191, v194 dst_sel:BYTE_1 dst_unused:UNUSED_PAD src0_sel:DWORD src1_sel:BYTE_3
	v_sub_u16_sdwa v192, v192, v194 dst_sel:DWORD dst_unused:UNUSED_PAD src0_sel:WORD_1 src1_sel:WORD_1
	v_ashrrev_i32_e32 v194, s19, v195
	v_or_b32_sdwa v191, v192, v191 dst_sel:WORD_1 dst_unused:UNUSED_PAD src0_sel:BYTE_0 src1_sel:DWORD
	v_ashrrev_i32_e32 v192, s22, v193
	v_lshlrev_b32_e32 v194, 2, v194
	v_or_b32_sdwa v196, v196, v197 dst_sel:DWORD dst_unused:UNUSED_PAD src0_sel:BYTE_0 src1_sel:DWORD
	v_and_b32_e32 v193, 0x3030303, v192
	v_bfe_u32 v192, v192, 24, 2
	v_and_b32_e32 v194, 0x4040404, v194
	v_or_b32_sdwa v191, v196, v191 dst_sel:DWORD dst_unused:UNUSED_PAD src0_sel:WORD_0 src1_sel:DWORD
	v_sub_u16_e32 v195, v193, v194
	v_sub_u16_sdwa v196, v193, v194 dst_sel:BYTE_1 dst_unused:UNUSED_PAD src0_sel:BYTE_1 src1_sel:BYTE_1
	v_sub_u16_sdwa v192, v192, v194 dst_sel:BYTE_1 dst_unused:UNUSED_PAD src0_sel:DWORD src1_sel:BYTE_3
	v_sub_u16_sdwa v193, v193, v194 dst_sel:DWORD dst_unused:UNUSED_PAD src0_sel:WORD_1 src1_sel:WORD_1
	v_or_b32_sdwa v195, v195, v196 dst_sel:DWORD dst_unused:UNUSED_PAD src0_sel:BYTE_0 src1_sel:DWORD
	v_or_b32_sdwa v192, v193, v192 dst_sel:WORD_1 dst_unused:UNUSED_PAD src0_sel:BYTE_0 src1_sel:DWORD
	v_add_u32_e32 v196, 0x4210, v198
	v_or_b32_sdwa v192, v195, v192 dst_sel:DWORD dst_unused:UNUSED_PAD src0_sel:WORD_0 src1_sel:DWORD
	ds_read2_b32 v[194:195], v87 offset0:4 offset1:5
	ds_read2_b32 v[196:197], v196 offset1:1
	s_waitcnt lgkmcnt(1)
	v_ashrrev_i32_e32 v193, s22, v194
	s_waitcnt lgkmcnt(0)
	v_ashrrev_i32_e32 v196, s19, v196
	v_lshlrev_b32_e32 v196, 2, v196
	v_and_b32_e32 v194, 0x3030303, v193
	v_bfe_u32 v193, v193, 24, 2
	v_and_b32_e32 v196, 0x4040404, v196
	v_sub_u16_e32 v199, v194, v196
	v_sub_u16_sdwa v200, v194, v196 dst_sel:BYTE_1 dst_unused:UNUSED_PAD src0_sel:BYTE_1 src1_sel:BYTE_1
	v_sub_u16_sdwa v193, v193, v196 dst_sel:BYTE_1 dst_unused:UNUSED_PAD src0_sel:DWORD src1_sel:BYTE_3
	v_sub_u16_sdwa v194, v194, v196 dst_sel:DWORD dst_unused:UNUSED_PAD src0_sel:WORD_1 src1_sel:WORD_1
	v_ashrrev_i32_e32 v196, s19, v197
	v_or_b32_sdwa v193, v194, v193 dst_sel:WORD_1 dst_unused:UNUSED_PAD src0_sel:BYTE_0 src1_sel:DWORD
	v_ashrrev_i32_e32 v194, s22, v195
	v_lshlrev_b32_e32 v196, 2, v196
	v_or_b32_sdwa v199, v199, v200 dst_sel:DWORD dst_unused:UNUSED_PAD src0_sel:BYTE_0 src1_sel:DWORD
	v_and_b32_e32 v195, 0x3030303, v194
	v_bfe_u32 v194, v194, 24, 2
	v_and_b32_e32 v196, 0x4040404, v196
	v_or_b32_sdwa v193, v199, v193 dst_sel:DWORD dst_unused:UNUSED_PAD src0_sel:WORD_0 src1_sel:DWORD
	v_sub_u16_e32 v197, v195, v196
	v_sub_u16_sdwa v199, v195, v196 dst_sel:BYTE_1 dst_unused:UNUSED_PAD src0_sel:BYTE_1 src1_sel:BYTE_1
	v_sub_u16_sdwa v194, v194, v196 dst_sel:BYTE_1 dst_unused:UNUSED_PAD src0_sel:DWORD src1_sel:BYTE_3
	v_sub_u16_sdwa v195, v195, v196 dst_sel:DWORD dst_unused:UNUSED_PAD src0_sel:WORD_1 src1_sel:WORD_1
	v_or_b32_sdwa v197, v197, v199 dst_sel:DWORD dst_unused:UNUSED_PAD src0_sel:BYTE_0 src1_sel:DWORD
	v_or_b32_sdwa v194, v195, v194 dst_sel:WORD_1 dst_unused:UNUSED_PAD src0_sel:BYTE_0 src1_sel:DWORD
	v_or_b32_sdwa v195, v197, v194 dst_sel:DWORD dst_unused:UNUSED_PAD src0_sel:WORD_0 src1_sel:DWORD
	ds_read2_b32 v[196:197], v87 offset0:6 offset1:7
	s_waitcnt lgkmcnt(0)
	v_ashrrev_i32_e32 v87, s22, v196
	v_add_u32_e32 v196, 0x4218, v198
	ds_read2_b32 v[198:199], v196 offset1:1
	v_and_b32_e32 v194, 0x3030303, v87
	v_bfe_u32 v87, v87, 24, 2
	s_waitcnt lgkmcnt(0)
	v_ashrrev_i32_e32 v196, s19, v198
	v_lshlrev_b32_e32 v196, 2, v196
	v_and_b32_e32 v196, 0x4040404, v196
	v_sub_u16_e32 v198, v194, v196
	v_sub_u16_sdwa v200, v194, v196 dst_sel:BYTE_1 dst_unused:UNUSED_PAD src0_sel:BYTE_1 src1_sel:BYTE_1
	v_sub_u16_sdwa v87, v87, v196 dst_sel:BYTE_1 dst_unused:UNUSED_PAD src0_sel:DWORD src1_sel:BYTE_3
	v_sub_u16_sdwa v194, v194, v196 dst_sel:DWORD dst_unused:UNUSED_PAD src0_sel:WORD_1 src1_sel:WORD_1
	v_or_b32_sdwa v198, v198, v200 dst_sel:DWORD dst_unused:UNUSED_PAD src0_sel:BYTE_0 src1_sel:DWORD
	v_or_b32_sdwa v87, v194, v87 dst_sel:WORD_1 dst_unused:UNUSED_PAD src0_sel:BYTE_0 src1_sel:DWORD
	v_or_b32_sdwa v196, v198, v87 dst_sel:DWORD dst_unused:UNUSED_PAD src0_sel:WORD_0 src1_sel:DWORD
	v_ashrrev_i32_e32 v87, s22, v197
	v_ashrrev_i32_e32 v197, s19, v199
	v_lshlrev_b32_e32 v197, 2, v197
	v_and_b32_e32 v194, 0x3030303, v87
	v_bfe_u32 v87, v87, 24, 2
	v_and_b32_e32 v197, 0x4040404, v197
	v_sub_u16_e32 v198, v194, v197
	v_sub_u16_sdwa v199, v194, v197 dst_sel:BYTE_1 dst_unused:UNUSED_PAD src0_sel:BYTE_1 src1_sel:BYTE_1
	v_sub_u16_sdwa v87, v87, v197 dst_sel:BYTE_1 dst_unused:UNUSED_PAD src0_sel:DWORD src1_sel:BYTE_3
	v_sub_u16_sdwa v194, v194, v197 dst_sel:DWORD dst_unused:UNUSED_PAD src0_sel:WORD_1 src1_sel:WORD_1
	v_or_b32_sdwa v198, v198, v199 dst_sel:DWORD dst_unused:UNUSED_PAD src0_sel:BYTE_0 src1_sel:DWORD
	v_or_b32_sdwa v87, v194, v87 dst_sel:WORD_1 dst_unused:UNUSED_PAD src0_sel:BYTE_0 src1_sel:DWORD
	v_or_b32_sdwa v197, v198, v87 dst_sel:DWORD dst_unused:UNUSED_PAD src0_sel:WORD_0 src1_sel:DWORD
	v_add3_u32 v87, v145, s21, v86
	v_add_u32_e32 v194, s25, v134
	ds_read_b32 v194, v194
	ds_read_u16 v87, v87 offset:35570
	v_mov_b32_e32 v199, 0
	v_dot4c_i32_i8_e32 v199, v188, v4
	v_dot4c_i32_i8_e32 v199, v190, v5
	;; [unrolled: 1-line block ×3, first 2 shown]
	s_waitcnt lgkmcnt(0)
	v_lshrrev_b16_e32 v200, 8, v87
	v_bfe_i32 v198, v87, 0, 8
	v_mov_b32_e32 v87, 0
	v_dot4c_i32_i8_e32 v87, v193, v0
	v_dot4c_i32_i8_e32 v87, v195, v1
	;; [unrolled: 1-line block ×5, first 2 shown]
	v_bfe_i32 v200, v200, 0, 8
	v_mul_lo_u32 v202, v199, v198
	v_add3_u32 v86, v147, s21, v86
	v_mad_u64_u32 v[202:203], s[26:27], v87, v200, v[202:203]
	v_cvt_f32_i32_e32 v199, v202
	v_mul_f32_e32 v87, v84, v194
	s_mov_b32 s21, s20
	v_fmac_f32_e32 v104, v87, v199
	v_add_u32_e32 v87, s24, v136
	ds_read2_b32 v[202:203], v87 offset1:1
	s_waitcnt lgkmcnt(0)
	v_ashrrev_i32_e32 v199, s22, v202
	v_add_u32_e32 v202, 0x4200, v210
	ds_read2_b32 v[204:205], v202 offset1:1
	v_and_b32_e32 v201, 0x3030303, v199
	v_bfe_u32 v199, v199, 24, 2
	s_waitcnt lgkmcnt(0)
	v_ashrrev_i32_e32 v202, s19, v204
	v_lshlrev_b32_e32 v202, 2, v202
	v_and_b32_e32 v202, 0x4040404, v202
	v_sub_u16_e32 v204, v201, v202
	v_sub_u16_sdwa v206, v201, v202 dst_sel:BYTE_1 dst_unused:UNUSED_PAD src0_sel:BYTE_1 src1_sel:BYTE_1
	v_sub_u16_sdwa v199, v199, v202 dst_sel:BYTE_1 dst_unused:UNUSED_PAD src0_sel:DWORD src1_sel:BYTE_3
	v_sub_u16_sdwa v201, v201, v202 dst_sel:DWORD dst_unused:UNUSED_PAD src0_sel:WORD_1 src1_sel:WORD_1
	v_or_b32_sdwa v199, v201, v199 dst_sel:WORD_1 dst_unused:UNUSED_PAD src0_sel:BYTE_0 src1_sel:DWORD
	v_ashrrev_i32_e32 v201, s22, v203
	v_ashrrev_i32_e32 v203, s19, v205
	v_lshlrev_b32_e32 v203, 2, v203
	v_or_b32_sdwa v204, v204, v206 dst_sel:DWORD dst_unused:UNUSED_PAD src0_sel:BYTE_0 src1_sel:DWORD
	v_and_b32_e32 v202, 0x3030303, v201
	v_bfe_u32 v201, v201, 24, 2
	v_and_b32_e32 v203, 0x4040404, v203
	v_or_b32_sdwa v199, v204, v199 dst_sel:DWORD dst_unused:UNUSED_PAD src0_sel:WORD_0 src1_sel:DWORD
	v_sub_u16_e32 v204, v202, v203
	v_sub_u16_sdwa v205, v202, v203 dst_sel:BYTE_1 dst_unused:UNUSED_PAD src0_sel:BYTE_1 src1_sel:BYTE_1
	v_sub_u16_sdwa v201, v201, v203 dst_sel:BYTE_1 dst_unused:UNUSED_PAD src0_sel:DWORD src1_sel:BYTE_3
	v_sub_u16_sdwa v202, v202, v203 dst_sel:DWORD dst_unused:UNUSED_PAD src0_sel:WORD_1 src1_sel:WORD_1
	v_or_b32_sdwa v204, v204, v205 dst_sel:DWORD dst_unused:UNUSED_PAD src0_sel:BYTE_0 src1_sel:DWORD
	v_or_b32_sdwa v201, v202, v201 dst_sel:WORD_1 dst_unused:UNUSED_PAD src0_sel:BYTE_0 src1_sel:DWORD
	v_or_b32_sdwa v201, v204, v201 dst_sel:DWORD dst_unused:UNUSED_PAD src0_sel:WORD_0 src1_sel:DWORD
	v_add_u32_e32 v204, 0x4208, v210
	ds_read2_b32 v[202:203], v87 offset0:2 offset1:3
	ds_read2_b32 v[204:205], v204 offset1:1
	s_waitcnt lgkmcnt(1)
	v_ashrrev_i32_e32 v202, s22, v202
	s_waitcnt lgkmcnt(0)
	v_ashrrev_i32_e32 v204, s19, v204
	v_lshlrev_b32_e32 v204, 2, v204
	v_and_b32_e32 v206, 0x3030303, v202
	v_bfe_u32 v202, v202, 24, 2
	v_and_b32_e32 v204, 0x4040404, v204
	v_ashrrev_i32_e32 v205, s19, v205
	v_sub_u16_e32 v207, v206, v204
	v_sub_u16_sdwa v208, v206, v204 dst_sel:BYTE_1 dst_unused:UNUSED_PAD src0_sel:BYTE_1 src1_sel:BYTE_1
	v_sub_u16_sdwa v202, v202, v204 dst_sel:BYTE_1 dst_unused:UNUSED_PAD src0_sel:DWORD src1_sel:BYTE_3
	v_sub_u16_sdwa v204, v206, v204 dst_sel:DWORD dst_unused:UNUSED_PAD src0_sel:WORD_1 src1_sel:WORD_1
	v_ashrrev_i32_e32 v203, s22, v203
	v_lshlrev_b32_e32 v205, 2, v205
	v_or_b32_sdwa v207, v207, v208 dst_sel:DWORD dst_unused:UNUSED_PAD src0_sel:BYTE_0 src1_sel:DWORD
	v_or_b32_sdwa v202, v204, v202 dst_sel:WORD_1 dst_unused:UNUSED_PAD src0_sel:BYTE_0 src1_sel:DWORD
	v_and_b32_e32 v204, 0x3030303, v203
	v_bfe_u32 v203, v203, 24, 2
	v_and_b32_e32 v205, 0x4040404, v205
	v_or_b32_sdwa v202, v207, v202 dst_sel:DWORD dst_unused:UNUSED_PAD src0_sel:WORD_0 src1_sel:DWORD
	v_sub_u16_e32 v206, v204, v205
	v_sub_u16_sdwa v207, v204, v205 dst_sel:BYTE_1 dst_unused:UNUSED_PAD src0_sel:BYTE_1 src1_sel:BYTE_1
	v_sub_u16_sdwa v203, v203, v205 dst_sel:BYTE_1 dst_unused:UNUSED_PAD src0_sel:DWORD src1_sel:BYTE_3
	v_sub_u16_sdwa v204, v204, v205 dst_sel:DWORD dst_unused:UNUSED_PAD src0_sel:WORD_1 src1_sel:WORD_1
	v_or_b32_sdwa v206, v206, v207 dst_sel:DWORD dst_unused:UNUSED_PAD src0_sel:BYTE_0 src1_sel:DWORD
	v_or_b32_sdwa v203, v204, v203 dst_sel:WORD_1 dst_unused:UNUSED_PAD src0_sel:BYTE_0 src1_sel:DWORD
	v_or_b32_sdwa v203, v206, v203 dst_sel:DWORD dst_unused:UNUSED_PAD src0_sel:WORD_0 src1_sel:DWORD
	v_add_u32_e32 v206, 0x4210, v210
	ds_read2_b32 v[204:205], v87 offset0:4 offset1:5
	ds_read2_b32 v[206:207], v206 offset1:1
	s_waitcnt lgkmcnt(1)
	v_ashrrev_i32_e32 v204, s22, v204
	s_waitcnt lgkmcnt(0)
	v_ashrrev_i32_e32 v206, s19, v206
	v_lshlrev_b32_e32 v206, 2, v206
	v_and_b32_e32 v208, 0x3030303, v204
	v_bfe_u32 v204, v204, 24, 2
	v_and_b32_e32 v206, 0x4040404, v206
	v_ashrrev_i32_e32 v207, s19, v207
	v_sub_u16_e32 v209, v208, v206
	v_sub_u16_sdwa v211, v208, v206 dst_sel:BYTE_1 dst_unused:UNUSED_PAD src0_sel:BYTE_1 src1_sel:BYTE_1
	v_sub_u16_sdwa v204, v204, v206 dst_sel:BYTE_1 dst_unused:UNUSED_PAD src0_sel:DWORD src1_sel:BYTE_3
	v_sub_u16_sdwa v206, v208, v206 dst_sel:DWORD dst_unused:UNUSED_PAD src0_sel:WORD_1 src1_sel:WORD_1
	v_ashrrev_i32_e32 v205, s22, v205
	v_lshlrev_b32_e32 v207, 2, v207
	v_or_b32_sdwa v209, v209, v211 dst_sel:DWORD dst_unused:UNUSED_PAD src0_sel:BYTE_0 src1_sel:DWORD
	v_or_b32_sdwa v204, v206, v204 dst_sel:WORD_1 dst_unused:UNUSED_PAD src0_sel:BYTE_0 src1_sel:DWORD
	v_and_b32_e32 v206, 0x3030303, v205
	v_bfe_u32 v205, v205, 24, 2
	v_and_b32_e32 v207, 0x4040404, v207
	v_or_b32_sdwa v204, v209, v204 dst_sel:DWORD dst_unused:UNUSED_PAD src0_sel:WORD_0 src1_sel:DWORD
	v_sub_u16_e32 v208, v206, v207
	v_sub_u16_sdwa v209, v206, v207 dst_sel:BYTE_1 dst_unused:UNUSED_PAD src0_sel:BYTE_1 src1_sel:BYTE_1
	v_sub_u16_sdwa v205, v205, v207 dst_sel:BYTE_1 dst_unused:UNUSED_PAD src0_sel:DWORD src1_sel:BYTE_3
	v_sub_u16_sdwa v206, v206, v207 dst_sel:DWORD dst_unused:UNUSED_PAD src0_sel:WORD_1 src1_sel:WORD_1
	v_or_b32_sdwa v208, v208, v209 dst_sel:DWORD dst_unused:UNUSED_PAD src0_sel:BYTE_0 src1_sel:DWORD
	v_or_b32_sdwa v205, v206, v205 dst_sel:WORD_1 dst_unused:UNUSED_PAD src0_sel:BYTE_0 src1_sel:DWORD
	v_add_u32_e32 v207, 0x4218, v210
	v_or_b32_sdwa v206, v208, v205 dst_sel:DWORD dst_unused:UNUSED_PAD src0_sel:WORD_0 src1_sel:DWORD
	ds_read2_b32 v[208:209], v87 offset0:6 offset1:7
	ds_read2_b32 v[210:211], v207 offset1:1
	s_waitcnt lgkmcnt(1)
	v_ashrrev_i32_e32 v87, s22, v208
	s_waitcnt lgkmcnt(0)
	v_ashrrev_i32_e32 v207, s19, v210
	v_lshlrev_b32_e32 v207, 2, v207
	v_and_b32_e32 v205, 0x3030303, v87
	v_bfe_u32 v87, v87, 24, 2
	v_and_b32_e32 v207, 0x4040404, v207
	v_sub_u16_e32 v208, v205, v207
	v_sub_u16_sdwa v210, v205, v207 dst_sel:BYTE_1 dst_unused:UNUSED_PAD src0_sel:BYTE_1 src1_sel:BYTE_1
	v_sub_u16_sdwa v87, v87, v207 dst_sel:BYTE_1 dst_unused:UNUSED_PAD src0_sel:DWORD src1_sel:BYTE_3
	v_sub_u16_sdwa v205, v205, v207 dst_sel:DWORD dst_unused:UNUSED_PAD src0_sel:WORD_1 src1_sel:WORD_1
	v_or_b32_sdwa v208, v208, v210 dst_sel:DWORD dst_unused:UNUSED_PAD src0_sel:BYTE_0 src1_sel:DWORD
	v_or_b32_sdwa v87, v205, v87 dst_sel:WORD_1 dst_unused:UNUSED_PAD src0_sel:BYTE_0 src1_sel:DWORD
	v_or_b32_sdwa v207, v208, v87 dst_sel:DWORD dst_unused:UNUSED_PAD src0_sel:WORD_0 src1_sel:DWORD
	v_ashrrev_i32_e32 v208, s19, v211
	v_ashrrev_i32_e32 v87, s22, v209
	v_lshlrev_b32_e32 v208, 2, v208
	v_and_b32_e32 v205, 0x3030303, v87
	v_bfe_u32 v87, v87, 24, 2
	v_and_b32_e32 v208, 0x4040404, v208
	v_sub_u16_e32 v209, v205, v208
	v_sub_u16_sdwa v210, v205, v208 dst_sel:BYTE_1 dst_unused:UNUSED_PAD src0_sel:BYTE_1 src1_sel:BYTE_1
	v_sub_u16_sdwa v87, v87, v208 dst_sel:BYTE_1 dst_unused:UNUSED_PAD src0_sel:DWORD src1_sel:BYTE_3
	v_sub_u16_sdwa v205, v205, v208 dst_sel:DWORD dst_unused:UNUSED_PAD src0_sel:WORD_1 src1_sel:WORD_1
	v_or_b32_sdwa v209, v209, v210 dst_sel:DWORD dst_unused:UNUSED_PAD src0_sel:BYTE_0 src1_sel:DWORD
	v_or_b32_sdwa v87, v205, v87 dst_sel:WORD_1 dst_unused:UNUSED_PAD src0_sel:BYTE_0 src1_sel:DWORD
	v_or_b32_sdwa v208, v209, v87 dst_sel:DWORD dst_unused:UNUSED_PAD src0_sel:WORD_0 src1_sel:DWORD
	v_add_u32_e32 v87, s25, v137
	ds_read_b32 v205, v87
	v_mov_b32_e32 v87, 0
	v_dot4c_i32_i8_e32 v87, v199, v4
	ds_read_u16 v4, v86 offset:36594
	v_dot4c_i32_i8_e32 v87, v201, v5
	v_dot4c_i32_i8_e32 v87, v202, v6
	v_mov_b32_e32 v6, 0
	v_dot4c_i32_i8_e32 v6, v204, v0
	v_dot4c_i32_i8_e32 v6, v206, v1
	;; [unrolled: 1-line block ×3, first 2 shown]
	s_waitcnt lgkmcnt(0)
	v_lshrrev_b16_e32 v5, 8, v4
	v_bfe_i32 v209, v4, 0, 8
	v_dot4c_i32_i8_e32 v6, v207, v2
	v_mul_lo_u32 v4, v87, v209
	v_dot4c_i32_i8_e32 v6, v208, v3
	v_bfe_i32 v210, v5, 0, 8
	v_mov_b32_e32 v86, 0
	s_add_i32 s19, s19, 1
	v_mad_u64_u32 v[0:1], s[22:23], v6, v210, v[4:5]
	v_cvt_f32_i32_e32 v0, v0
	v_mul_f32_e32 v1, v84, v205
	v_mov_b32_e32 v84, 0
	s_cmp_lt_u32 s20, 22
	v_fmac_f32_e32 v102, v1, v0
	ds_read_b128 v[0:3], v165 offset:1024
	ds_read_b128 v[4:7], v165 offset:1040
	s_waitcnt lgkmcnt(1)
	v_dot4c_i32_i8_e32 v84, v167, v0
	v_dot4c_i32_i8_e32 v84, v168, v1
	s_waitcnt lgkmcnt(0)
	v_dot4c_i32_i8_e32 v86, v172, v4
	v_dot4c_i32_i8_e32 v84, v169, v2
	;; [unrolled: 1-line block ×6, first 2 shown]
	s_nop 0
	v_mul_lo_u32 v84, v84, v176
	s_nop 0
	v_mad_u64_u32 v[86:87], s[22:23], v86, v178, v[84:85]
	v_cvt_f32_i32_e32 v86, v86
	v_mul_f32_e32 v84, v171, v85
	v_fmac_f32_e32 v99, v84, v86
	v_mov_b32_e32 v84, 0
	v_dot4c_i32_i8_e32 v84, v177, v0
	v_mov_b32_e32 v86, 0
	v_dot4c_i32_i8_e32 v84, v179, v1
	v_dot4c_i32_i8_e32 v86, v182, v4
	;; [unrolled: 1-line block ×7, first 2 shown]
	s_nop 0
	v_mul_lo_u32 v84, v84, v187
	s_nop 0
	v_mad_u64_u32 v[86:87], s[22:23], v86, v189, v[84:85]
	v_cvt_f32_i32_e32 v86, v86
	v_mul_f32_e32 v84, v183, v85
	v_fmac_f32_e32 v98, v84, v86
	v_mov_b32_e32 v84, 0
	v_dot4c_i32_i8_e32 v84, v188, v0
	v_mov_b32_e32 v86, 0
	v_dot4c_i32_i8_e32 v84, v190, v1
	v_dot4c_i32_i8_e32 v86, v193, v4
	v_dot4c_i32_i8_e32 v84, v191, v2
	v_dot4c_i32_i8_e32 v86, v195, v5
	v_dot4c_i32_i8_e32 v84, v192, v3
	v_dot4c_i32_i8_e32 v86, v196, v6
	v_dot4c_i32_i8_e32 v86, v197, v7
	s_nop 0
	v_mul_lo_u32 v84, v84, v198
	s_nop 0
	v_mad_u64_u32 v[86:87], s[22:23], v86, v200, v[84:85]
	v_cvt_f32_i32_e32 v86, v86
	v_mul_f32_e32 v84, v194, v85
	v_mov_b32_e32 v87, 0
	v_fmac_f32_e32 v83, v84, v86
	v_mov_b32_e32 v84, 0
	v_dot4c_i32_i8_e32 v84, v199, v0
	v_dot4c_i32_i8_e32 v84, v201, v1
	v_mov_b32_e32 v1, 0
	v_dot4c_i32_i8_e32 v1, v204, v4
	v_dot4c_i32_i8_e32 v84, v202, v2
	;; [unrolled: 1-line block ×6, first 2 shown]
	v_mov_b32_e32 v86, 0
	v_mul_lo_u32 v0, v84, v209
	s_nop 0
	v_mad_u64_u32 v[0:1], s[22:23], v1, v210, v[0:1]
	v_cvt_f32_i32_e32 v0, v0
	v_mul_f32_e32 v1, v205, v85
	v_fmac_f32_e32 v75, v1, v0
	ds_read2_b32 v[84:85], v166 offset0:64 offset1:96
	ds_read_b128 v[0:3], v165 offset:2048
	ds_read_b128 v[4:7], v165 offset:2064
	s_waitcnt lgkmcnt(1)
	v_dot4c_i32_i8_e32 v86, v167, v0
	v_dot4c_i32_i8_e32 v86, v168, v1
	s_waitcnt lgkmcnt(0)
	v_dot4c_i32_i8_e32 v87, v172, v4
	v_dot4c_i32_i8_e32 v86, v169, v2
	;; [unrolled: 1-line block ×6, first 2 shown]
	s_nop 0
	v_mul_lo_u32 v86, v86, v176
	s_nop 0
	v_mad_u64_u32 v[86:87], s[22:23], v87, v178, v[86:87]
	v_cvt_f32_i32_e32 v86, v86
	v_mul_f32_e32 v87, v171, v84
	v_fmac_f32_e32 v59, v87, v86
	v_mov_b32_e32 v86, 0
	v_dot4c_i32_i8_e32 v86, v177, v0
	v_mov_b32_e32 v87, 0
	v_dot4c_i32_i8_e32 v86, v179, v1
	v_dot4c_i32_i8_e32 v87, v182, v4
	;; [unrolled: 1-line block ×7, first 2 shown]
	s_nop 0
	v_mul_lo_u32 v86, v86, v187
	s_nop 0
	v_mad_u64_u32 v[86:87], s[22:23], v87, v189, v[86:87]
	v_cvt_f32_i32_e32 v86, v86
	v_mul_f32_e32 v87, v183, v84
	v_fmac_f32_e32 v57, v87, v86
	v_mov_b32_e32 v86, 0
	v_dot4c_i32_i8_e32 v86, v188, v0
	v_mov_b32_e32 v87, 0
	v_dot4c_i32_i8_e32 v86, v190, v1
	v_dot4c_i32_i8_e32 v87, v193, v4
	;; [unrolled: 1-line block ×7, first 2 shown]
	s_nop 0
	v_mul_lo_u32 v86, v86, v198
	s_nop 0
	v_mad_u64_u32 v[86:87], s[22:23], v87, v200, v[86:87]
	v_cvt_f32_i32_e32 v86, v86
	v_mul_f32_e32 v87, v194, v84
	v_fmac_f32_e32 v55, v87, v86
	v_mov_b32_e32 v86, 0
	v_dot4c_i32_i8_e32 v86, v199, v0
	v_dot4c_i32_i8_e32 v86, v201, v1
	v_mov_b32_e32 v1, 0
	v_dot4c_i32_i8_e32 v1, v204, v4
	v_dot4c_i32_i8_e32 v86, v202, v2
	;; [unrolled: 1-line block ×6, first 2 shown]
	s_nop 0
	v_mul_lo_u32 v0, v86, v209
	v_mov_b32_e32 v86, 0
	v_mad_u64_u32 v[0:1], s[22:23], v1, v210, v[0:1]
	v_cvt_f32_i32_e32 v0, v0
	v_mul_f32_e32 v1, v205, v84
	v_mov_b32_e32 v84, 0
	v_fmac_f32_e32 v53, v1, v0
	ds_read_b128 v[0:3], v165 offset:3072
	ds_read_b128 v[4:7], v165 offset:3088
	s_waitcnt lgkmcnt(1)
	v_dot4c_i32_i8_e32 v84, v167, v0
	v_dot4c_i32_i8_e32 v84, v168, v1
	s_waitcnt lgkmcnt(0)
	v_dot4c_i32_i8_e32 v86, v172, v4
	v_dot4c_i32_i8_e32 v84, v169, v2
	;; [unrolled: 1-line block ×6, first 2 shown]
	s_nop 0
	v_mul_lo_u32 v84, v84, v176
	s_nop 0
	v_mad_u64_u32 v[86:87], s[22:23], v86, v178, v[84:85]
	v_cvt_f32_i32_e32 v86, v86
	v_mul_f32_e32 v84, v171, v85
	v_fmac_f32_e32 v49, v84, v86
	v_mov_b32_e32 v84, 0
	v_dot4c_i32_i8_e32 v84, v177, v0
	v_mov_b32_e32 v86, 0
	v_dot4c_i32_i8_e32 v84, v179, v1
	v_dot4c_i32_i8_e32 v86, v182, v4
	;; [unrolled: 1-line block ×7, first 2 shown]
	s_nop 0
	v_mul_lo_u32 v84, v84, v187
	s_nop 0
	v_mad_u64_u32 v[86:87], s[22:23], v86, v189, v[84:85]
	v_cvt_f32_i32_e32 v86, v86
	v_mul_f32_e32 v84, v183, v85
	v_fmac_f32_e32 v45, v84, v86
	v_mov_b32_e32 v84, 0
	v_dot4c_i32_i8_e32 v84, v188, v0
	v_mov_b32_e32 v86, 0
	v_dot4c_i32_i8_e32 v84, v190, v1
	v_dot4c_i32_i8_e32 v86, v193, v4
	v_dot4c_i32_i8_e32 v84, v191, v2
	v_dot4c_i32_i8_e32 v86, v195, v5
	v_dot4c_i32_i8_e32 v84, v192, v3
	v_dot4c_i32_i8_e32 v86, v196, v6
	v_dot4c_i32_i8_e32 v86, v197, v7
	s_nop 0
	v_mul_lo_u32 v84, v84, v198
	s_nop 0
	v_mad_u64_u32 v[86:87], s[22:23], v86, v200, v[84:85]
	v_cvt_f32_i32_e32 v86, v86
	v_mul_f32_e32 v84, v194, v85
	v_mov_b32_e32 v87, 0
	v_fmac_f32_e32 v43, v84, v86
	v_mov_b32_e32 v84, 0
	v_dot4c_i32_i8_e32 v84, v199, v0
	v_dot4c_i32_i8_e32 v84, v201, v1
	v_mov_b32_e32 v1, 0
	v_dot4c_i32_i8_e32 v1, v204, v4
	v_dot4c_i32_i8_e32 v84, v202, v2
	;; [unrolled: 1-line block ×6, first 2 shown]
	v_mov_b32_e32 v86, 0
	v_mul_lo_u32 v0, v84, v209
	s_nop 0
	v_mad_u64_u32 v[0:1], s[22:23], v1, v210, v[0:1]
	v_cvt_f32_i32_e32 v0, v0
	v_mul_f32_e32 v1, v205, v85
	v_fmac_f32_e32 v41, v1, v0
	ds_read2_b32 v[84:85], v166 offset0:128 offset1:160
	ds_read_b128 v[0:3], v165 offset:4096
	ds_read_b128 v[4:7], v165 offset:4112
	s_waitcnt lgkmcnt(1)
	v_dot4c_i32_i8_e32 v86, v167, v0
	v_dot4c_i32_i8_e32 v86, v168, v1
	s_waitcnt lgkmcnt(0)
	v_dot4c_i32_i8_e32 v87, v172, v4
	v_dot4c_i32_i8_e32 v86, v169, v2
	;; [unrolled: 1-line block ×6, first 2 shown]
	s_nop 0
	v_mul_lo_u32 v86, v86, v176
	s_nop 0
	v_mad_u64_u32 v[86:87], s[22:23], v87, v178, v[86:87]
	v_cvt_f32_i32_e32 v86, v86
	v_mul_f32_e32 v87, v171, v84
	v_fmac_f32_e32 v39, v87, v86
	v_mov_b32_e32 v86, 0
	v_dot4c_i32_i8_e32 v86, v177, v0
	v_mov_b32_e32 v87, 0
	v_dot4c_i32_i8_e32 v86, v179, v1
	v_dot4c_i32_i8_e32 v87, v182, v4
	;; [unrolled: 1-line block ×7, first 2 shown]
	s_nop 0
	v_mul_lo_u32 v86, v86, v187
	s_nop 0
	v_mad_u64_u32 v[86:87], s[22:23], v87, v189, v[86:87]
	v_cvt_f32_i32_e32 v86, v86
	v_mul_f32_e32 v87, v183, v84
	v_fmac_f32_e32 v37, v87, v86
	v_mov_b32_e32 v86, 0
	v_dot4c_i32_i8_e32 v86, v188, v0
	v_mov_b32_e32 v87, 0
	v_dot4c_i32_i8_e32 v86, v190, v1
	v_dot4c_i32_i8_e32 v87, v193, v4
	;; [unrolled: 1-line block ×7, first 2 shown]
	s_nop 0
	v_mul_lo_u32 v86, v86, v198
	s_nop 0
	v_mad_u64_u32 v[86:87], s[22:23], v87, v200, v[86:87]
	v_cvt_f32_i32_e32 v86, v86
	v_mul_f32_e32 v87, v194, v84
	v_fmac_f32_e32 v35, v87, v86
	v_mov_b32_e32 v86, 0
	v_dot4c_i32_i8_e32 v86, v199, v0
	v_dot4c_i32_i8_e32 v86, v201, v1
	v_mov_b32_e32 v1, 0
	v_dot4c_i32_i8_e32 v1, v204, v4
	v_dot4c_i32_i8_e32 v86, v202, v2
	;; [unrolled: 1-line block ×6, first 2 shown]
	s_nop 0
	v_mul_lo_u32 v0, v86, v209
	v_mov_b32_e32 v86, 0
	v_mad_u64_u32 v[0:1], s[22:23], v1, v210, v[0:1]
	v_cvt_f32_i32_e32 v0, v0
	v_mul_f32_e32 v1, v205, v84
	v_mov_b32_e32 v84, 0
	v_fmac_f32_e32 v33, v1, v0
	ds_read_b128 v[0:3], v165 offset:5120
	ds_read_b128 v[4:7], v165 offset:5136
	s_waitcnt lgkmcnt(1)
	v_dot4c_i32_i8_e32 v84, v167, v0
	v_dot4c_i32_i8_e32 v84, v168, v1
	s_waitcnt lgkmcnt(0)
	v_dot4c_i32_i8_e32 v86, v172, v4
	v_dot4c_i32_i8_e32 v84, v169, v2
	;; [unrolled: 1-line block ×6, first 2 shown]
	s_nop 0
	v_mul_lo_u32 v84, v84, v176
	s_nop 0
	v_mad_u64_u32 v[86:87], s[22:23], v86, v178, v[84:85]
	v_cvt_f32_i32_e32 v86, v86
	v_mul_f32_e32 v84, v171, v85
	v_fmac_f32_e32 v31, v84, v86
	v_mov_b32_e32 v84, 0
	v_dot4c_i32_i8_e32 v84, v177, v0
	v_mov_b32_e32 v86, 0
	v_dot4c_i32_i8_e32 v84, v179, v1
	v_dot4c_i32_i8_e32 v86, v182, v4
	v_dot4c_i32_i8_e32 v84, v180, v2
	v_dot4c_i32_i8_e32 v86, v184, v5
	v_dot4c_i32_i8_e32 v84, v181, v3
	v_dot4c_i32_i8_e32 v86, v185, v6
	v_dot4c_i32_i8_e32 v86, v186, v7
	s_nop 0
	v_mul_lo_u32 v84, v84, v187
	s_nop 0
	v_mad_u64_u32 v[86:87], s[22:23], v86, v189, v[84:85]
	v_cvt_f32_i32_e32 v86, v86
	v_mul_f32_e32 v84, v183, v85
	v_fmac_f32_e32 v29, v84, v86
	v_mov_b32_e32 v84, 0
	v_dot4c_i32_i8_e32 v84, v188, v0
	v_mov_b32_e32 v86, 0
	v_dot4c_i32_i8_e32 v84, v190, v1
	v_dot4c_i32_i8_e32 v86, v193, v4
	;; [unrolled: 1-line block ×7, first 2 shown]
	s_nop 0
	v_mul_lo_u32 v84, v84, v198
	s_nop 0
	v_mad_u64_u32 v[86:87], s[22:23], v86, v200, v[84:85]
	v_cvt_f32_i32_e32 v86, v86
	v_mul_f32_e32 v84, v194, v85
	v_mov_b32_e32 v87, 0
	v_fmac_f32_e32 v27, v84, v86
	v_mov_b32_e32 v84, 0
	v_dot4c_i32_i8_e32 v84, v199, v0
	v_dot4c_i32_i8_e32 v84, v201, v1
	v_mov_b32_e32 v1, 0
	v_dot4c_i32_i8_e32 v1, v204, v4
	v_dot4c_i32_i8_e32 v84, v202, v2
	v_dot4c_i32_i8_e32 v1, v206, v5
	v_dot4c_i32_i8_e32 v84, v203, v3
	v_dot4c_i32_i8_e32 v1, v207, v6
	v_dot4c_i32_i8_e32 v1, v208, v7
	v_mov_b32_e32 v86, 0
	v_mul_lo_u32 v0, v84, v209
	s_nop 0
	v_mad_u64_u32 v[0:1], s[22:23], v1, v210, v[0:1]
	v_cvt_f32_i32_e32 v0, v0
	v_mul_f32_e32 v1, v205, v85
	v_fmac_f32_e32 v25, v1, v0
	ds_read2_b32 v[84:85], v166 offset0:192 offset1:224
	ds_read_b128 v[4:7], v165 offset:6144
	ds_read_b128 v[0:3], v165 offset:6160
	v_add_u32_e32 v166, 4, v166
	s_waitcnt lgkmcnt(1)
	v_dot4c_i32_i8_e32 v86, v167, v4
	v_dot4c_i32_i8_e32 v86, v168, v5
	s_waitcnt lgkmcnt(0)
	v_dot4c_i32_i8_e32 v87, v172, v0
	v_dot4c_i32_i8_e32 v86, v169, v6
	;; [unrolled: 1-line block ×6, first 2 shown]
	s_nop 0
	v_mul_lo_u32 v86, v86, v176
	s_nop 0
	v_mad_u64_u32 v[86:87], s[22:23], v87, v178, v[86:87]
	v_cvt_f32_i32_e32 v86, v86
	v_mul_f32_e32 v87, v171, v84
	v_fmac_f32_e32 v23, v87, v86
	v_mov_b32_e32 v86, 0
	v_dot4c_i32_i8_e32 v86, v177, v4
	v_mov_b32_e32 v87, 0
	v_dot4c_i32_i8_e32 v86, v179, v5
	v_dot4c_i32_i8_e32 v87, v182, v0
	;; [unrolled: 1-line block ×7, first 2 shown]
	s_nop 0
	v_mul_lo_u32 v86, v86, v187
	s_nop 0
	v_mad_u64_u32 v[86:87], s[22:23], v87, v189, v[86:87]
	v_cvt_f32_i32_e32 v86, v86
	v_mul_f32_e32 v87, v183, v84
	v_fmac_f32_e32 v21, v87, v86
	v_mov_b32_e32 v86, 0
	v_dot4c_i32_i8_e32 v86, v188, v4
	v_mov_b32_e32 v87, 0
	v_dot4c_i32_i8_e32 v86, v190, v5
	v_dot4c_i32_i8_e32 v87, v193, v0
	;; [unrolled: 1-line block ×7, first 2 shown]
	s_nop 0
	v_mul_lo_u32 v86, v86, v198
	s_nop 0
	v_mad_u64_u32 v[86:87], s[22:23], v87, v200, v[86:87]
	v_cvt_f32_i32_e32 v86, v86
	v_mul_f32_e32 v87, v194, v84
	v_fmac_f32_e32 v19, v87, v86
	v_mov_b32_e32 v86, 0
	v_dot4c_i32_i8_e32 v86, v199, v4
	v_dot4c_i32_i8_e32 v86, v201, v5
	v_mov_b32_e32 v5, 0
	v_dot4c_i32_i8_e32 v5, v204, v0
	v_dot4c_i32_i8_e32 v86, v202, v6
	;; [unrolled: 1-line block ×6, first 2 shown]
	s_nop 0
	v_mul_lo_u32 v4, v86, v209
	v_mov_b32_e32 v86, 0
	v_mad_u64_u32 v[0:1], s[22:23], v5, v210, v[4:5]
	v_cvt_f32_i32_e32 v0, v0
	v_mul_f32_e32 v1, v205, v84
	v_mov_b32_e32 v84, 0
	v_fmac_f32_e32 v17, v1, v0
	ds_read_b128 v[0:3], v165 offset:7168
	ds_read_b128 v[4:7], v165 offset:7184
	v_add_u32_e32 v165, 32, v165
	s_waitcnt lgkmcnt(1)
	v_dot4c_i32_i8_e32 v84, v167, v0
	v_dot4c_i32_i8_e32 v84, v168, v1
	s_waitcnt lgkmcnt(0)
	v_dot4c_i32_i8_e32 v86, v172, v4
	v_dot4c_i32_i8_e32 v84, v169, v2
	;; [unrolled: 1-line block ×6, first 2 shown]
	s_nop 0
	v_mul_lo_u32 v84, v84, v176
	s_nop 0
	v_mad_u64_u32 v[86:87], s[22:23], v86, v178, v[84:85]
	v_cvt_f32_i32_e32 v86, v86
	v_mul_f32_e32 v84, v171, v85
	v_fmac_f32_e32 v15, v84, v86
	v_mov_b32_e32 v84, 0
	v_dot4c_i32_i8_e32 v84, v177, v0
	v_mov_b32_e32 v86, 0
	v_dot4c_i32_i8_e32 v84, v179, v1
	v_dot4c_i32_i8_e32 v86, v182, v4
	;; [unrolled: 1-line block ×7, first 2 shown]
	s_nop 0
	v_mul_lo_u32 v84, v84, v187
	s_nop 0
	v_mad_u64_u32 v[86:87], s[22:23], v86, v189, v[84:85]
	v_cvt_f32_i32_e32 v86, v86
	v_mul_f32_e32 v84, v183, v85
	v_fmac_f32_e32 v13, v84, v86
	v_mov_b32_e32 v84, 0
	v_dot4c_i32_i8_e32 v84, v188, v0
	v_mov_b32_e32 v86, 0
	v_dot4c_i32_i8_e32 v84, v190, v1
	v_dot4c_i32_i8_e32 v86, v193, v4
	;; [unrolled: 1-line block ×7, first 2 shown]
	s_nop 0
	v_mul_lo_u32 v84, v84, v198
	s_nop 0
	v_mad_u64_u32 v[86:87], s[22:23], v86, v200, v[84:85]
	v_cvt_f32_i32_e32 v86, v86
	v_mul_f32_e32 v84, v194, v85
	v_fmac_f32_e32 v11, v84, v86
	v_mov_b32_e32 v84, 0
	v_dot4c_i32_i8_e32 v84, v199, v0
	v_dot4c_i32_i8_e32 v84, v201, v1
	v_mov_b32_e32 v1, 0
	v_dot4c_i32_i8_e32 v1, v204, v4
	v_dot4c_i32_i8_e32 v84, v202, v2
	;; [unrolled: 1-line block ×6, first 2 shown]
	s_nop 0
	v_mul_lo_u32 v0, v84, v209
	s_nop 0
	v_mad_u64_u32 v[0:1], s[22:23], v1, v210, v[0:1]
	v_cvt_f32_i32_e32 v0, v0
	v_mul_f32_e32 v1, v205, v85
	v_fmac_f32_e32 v9, v1, v0
	s_cbranch_scc1 .LBB169_12
; %bb.13:                               ;   in Loop: Header=BB169_6 Depth=1
	v_add_u32_e32 v165, s17, v140
	v_add_u32_e32 v0, v165, v106
	;; [unrolled: 1-line block ×10, first 2 shown]
	v_mad_i64_i32 v[0:1], s[18:19], v0, 36, v[80:81]
	v_mad_i64_i32 v[2:3], s[18:19], v2, 36, v[80:81]
	v_mad_i64_i32 v[4:5], s[18:19], v4, 36, v[80:81]
	v_mad_i64_i32 v[6:7], s[18:19], v6, 36, v[80:81]
	v_mad_i64_i32 v[168:169], s[18:19], v165, 36, v[80:81]
	v_mad_u64_u32 v[164:165], s[18:19], v164, 36, s[2:3]
	s_barrier
	v_mad_i64_i32 v[84:85], s[18:19], v84, 36, v[80:81]
	v_mad_i64_i32 v[86:87], s[18:19], v86, 36, v[80:81]
	;; [unrolled: 1-line block ×3, first 2 shown]
	global_load_dword v165, v[164:165], off
	s_nop 0
	global_load_dword v0, v[0:1], off offset:4
	s_nop 0
	global_load_dword v1, v[2:3], off offset:4
	;; [unrolled: 2-line block ×3, first 2 shown]
	global_load_dword v3, v[6:7], off offset:4
	s_nop 0
	global_load_dword v4, v[84:85], off offset:4
	global_load_dword v5, v[86:87], off offset:4
	;; [unrolled: 1-line block ×4, first 2 shown]
	s_mov_b32 s17, 24
	s_mov_b32 s20, 22
	;; [unrolled: 1-line block ×3, first 2 shown]
	v_mov_b32_e32 v164, v150
	s_waitcnt vmcnt(8)
	v_cvt_f32_f16_e32 v84, v165
	v_mov_b32_e32 v165, v149
	s_waitcnt vmcnt(7)
	ds_write_b32 v108, v0
	s_waitcnt vmcnt(6)
	ds_write_b32 v111, v1
	;; [unrolled: 2-line block ×8, first 2 shown]
	ds_write_b32 v105, v84
	s_waitcnt lgkmcnt(0)
	s_barrier
.LBB169_14:                             ;   Parent Loop BB169_6 Depth=1
                                        ; =>  This Inner Loop Header: Depth=2
	s_add_i32 s19, s20, 2
	s_lshr_b32 s24, s19, 4
	s_and_b32 s23, s19, 0x3ffffff8
	s_lshl_b32 s22, s24, 3
	s_lshl_b32 s23, s23, 2
	v_add_lshl_u32 v176, v126, s22, 2
	v_add_u32_e32 v87, s23, v127
	v_add_u32_e32 v168, 0x4200, v176
	ds_read2_b32 v[84:85], v165 offset1:32
	ds_read_b128 v[4:7], v164
	ds_read_b128 v[0:3], v164 offset:16
	ds_read2_b32 v[166:167], v87 offset1:1
	ds_read2_b32 v[168:169], v168 offset1:1
	s_and_b32 s21, s17, -16
	v_add_u32_e32 v86, s21, v125
	s_sub_i32 s21, s20, 22
	s_waitcnt lgkmcnt(1)
	v_ashrrev_i32_e32 v166, s21, v166
	s_waitcnt lgkmcnt(0)
	v_ashrrev_i32_e32 v168, s18, v168
	v_lshlrev_b32_e32 v168, 2, v168
	v_and_b32_e32 v170, 0x3030303, v166
	v_bfe_u32 v166, v166, 24, 2
	v_and_b32_e32 v168, 0x4040404, v168
	v_ashrrev_i32_e32 v169, s18, v169
	v_sub_u16_e32 v171, v170, v168
	v_sub_u16_sdwa v172, v170, v168 dst_sel:BYTE_1 dst_unused:UNUSED_PAD src0_sel:BYTE_1 src1_sel:BYTE_1
	v_sub_u16_sdwa v166, v166, v168 dst_sel:BYTE_1 dst_unused:UNUSED_PAD src0_sel:DWORD src1_sel:BYTE_3
	v_sub_u16_sdwa v168, v170, v168 dst_sel:DWORD dst_unused:UNUSED_PAD src0_sel:WORD_1 src1_sel:WORD_1
	v_ashrrev_i32_e32 v167, s21, v167
	v_lshlrev_b32_e32 v169, 2, v169
	v_or_b32_sdwa v171, v171, v172 dst_sel:DWORD dst_unused:UNUSED_PAD src0_sel:BYTE_0 src1_sel:DWORD
	v_or_b32_sdwa v166, v168, v166 dst_sel:WORD_1 dst_unused:UNUSED_PAD src0_sel:BYTE_0 src1_sel:DWORD
	v_and_b32_e32 v168, 0x3030303, v167
	v_bfe_u32 v167, v167, 24, 2
	v_and_b32_e32 v169, 0x4040404, v169
	v_or_b32_sdwa v166, v171, v166 dst_sel:DWORD dst_unused:UNUSED_PAD src0_sel:WORD_0 src1_sel:DWORD
	v_sub_u16_e32 v170, v168, v169
	v_sub_u16_sdwa v171, v168, v169 dst_sel:BYTE_1 dst_unused:UNUSED_PAD src0_sel:BYTE_1 src1_sel:BYTE_1
	v_sub_u16_sdwa v167, v167, v169 dst_sel:BYTE_1 dst_unused:UNUSED_PAD src0_sel:DWORD src1_sel:BYTE_3
	v_sub_u16_sdwa v168, v168, v169 dst_sel:DWORD dst_unused:UNUSED_PAD src0_sel:WORD_1 src1_sel:WORD_1
	v_or_b32_sdwa v170, v170, v171 dst_sel:DWORD dst_unused:UNUSED_PAD src0_sel:BYTE_0 src1_sel:DWORD
	v_or_b32_sdwa v167, v168, v167 dst_sel:WORD_1 dst_unused:UNUSED_PAD src0_sel:BYTE_0 src1_sel:DWORD
	v_or_b32_sdwa v167, v170, v167 dst_sel:DWORD dst_unused:UNUSED_PAD src0_sel:WORD_0 src1_sel:DWORD
	v_add_u32_e32 v170, 0x4208, v176
	ds_read2_b32 v[168:169], v87 offset0:2 offset1:3
	ds_read2_b32 v[170:171], v170 offset1:1
	s_lshl_b32 s24, s24, 2
	v_add_lshl_u32 v186, v129, s22, 2
	v_add_u32_e32 v180, 0x4200, v186
	s_waitcnt lgkmcnt(1)
	v_ashrrev_i32_e32 v168, s21, v168
	s_waitcnt lgkmcnt(0)
	v_ashrrev_i32_e32 v170, s18, v170
	v_lshlrev_b32_e32 v170, 2, v170
	v_and_b32_e32 v172, 0x3030303, v168
	v_bfe_u32 v168, v168, 24, 2
	v_and_b32_e32 v170, 0x4040404, v170
	v_ashrrev_i32_e32 v171, s18, v171
	v_sub_u16_e32 v173, v172, v170
	v_sub_u16_sdwa v174, v172, v170 dst_sel:BYTE_1 dst_unused:UNUSED_PAD src0_sel:BYTE_1 src1_sel:BYTE_1
	v_sub_u16_sdwa v168, v168, v170 dst_sel:BYTE_1 dst_unused:UNUSED_PAD src0_sel:DWORD src1_sel:BYTE_3
	v_sub_u16_sdwa v170, v172, v170 dst_sel:DWORD dst_unused:UNUSED_PAD src0_sel:WORD_1 src1_sel:WORD_1
	v_ashrrev_i32_e32 v169, s21, v169
	v_lshlrev_b32_e32 v171, 2, v171
	v_or_b32_sdwa v173, v173, v174 dst_sel:DWORD dst_unused:UNUSED_PAD src0_sel:BYTE_0 src1_sel:DWORD
	v_or_b32_sdwa v168, v170, v168 dst_sel:WORD_1 dst_unused:UNUSED_PAD src0_sel:BYTE_0 src1_sel:DWORD
	v_and_b32_e32 v170, 0x3030303, v169
	v_bfe_u32 v169, v169, 24, 2
	v_and_b32_e32 v171, 0x4040404, v171
	v_or_b32_sdwa v168, v173, v168 dst_sel:DWORD dst_unused:UNUSED_PAD src0_sel:WORD_0 src1_sel:DWORD
	v_sub_u16_e32 v172, v170, v171
	v_sub_u16_sdwa v173, v170, v171 dst_sel:BYTE_1 dst_unused:UNUSED_PAD src0_sel:BYTE_1 src1_sel:BYTE_1
	v_sub_u16_sdwa v169, v169, v171 dst_sel:BYTE_1 dst_unused:UNUSED_PAD src0_sel:DWORD src1_sel:BYTE_3
	v_sub_u16_sdwa v170, v170, v171 dst_sel:DWORD dst_unused:UNUSED_PAD src0_sel:WORD_1 src1_sel:WORD_1
	v_or_b32_sdwa v172, v172, v173 dst_sel:DWORD dst_unused:UNUSED_PAD src0_sel:BYTE_0 src1_sel:DWORD
	v_or_b32_sdwa v169, v170, v169 dst_sel:WORD_1 dst_unused:UNUSED_PAD src0_sel:BYTE_0 src1_sel:DWORD
	v_or_b32_sdwa v169, v172, v169 dst_sel:DWORD dst_unused:UNUSED_PAD src0_sel:WORD_0 src1_sel:DWORD
	ds_read2_b32 v[172:173], v87 offset0:4 offset1:5
	v_add_lshl_u32 v208, v135, s22, 2
	v_add_lshl_u32 v198, v132, s22, 2
	v_add_u32_e32 v202, 0x4200, v208
	s_add_i32 s17, s17, 2
	s_waitcnt lgkmcnt(0)
	v_ashrrev_i32_e32 v170, s21, v172
	v_add_u32_e32 v172, 0x4210, v176
	ds_read2_b32 v[174:175], v172 offset1:1
	v_and_b32_e32 v171, 0x3030303, v170
	v_bfe_u32 v170, v170, 24, 2
	ds_read2_b32 v[180:181], v180 offset1:1
	ds_read2_b32 v[202:203], v202 offset1:1
	s_waitcnt lgkmcnt(2)
	v_ashrrev_i32_e32 v172, s18, v174
	v_lshlrev_b32_e32 v172, 2, v172
	v_and_b32_e32 v172, 0x4040404, v172
	v_sub_u16_e32 v174, v171, v172
	v_sub_u16_sdwa v177, v171, v172 dst_sel:BYTE_1 dst_unused:UNUSED_PAD src0_sel:BYTE_1 src1_sel:BYTE_1
	v_sub_u16_sdwa v170, v170, v172 dst_sel:BYTE_1 dst_unused:UNUSED_PAD src0_sel:DWORD src1_sel:BYTE_3
	v_sub_u16_sdwa v171, v171, v172 dst_sel:DWORD dst_unused:UNUSED_PAD src0_sel:WORD_1 src1_sel:WORD_1
	v_or_b32_sdwa v174, v174, v177 dst_sel:DWORD dst_unused:UNUSED_PAD src0_sel:BYTE_0 src1_sel:DWORD
	v_or_b32_sdwa v170, v171, v170 dst_sel:WORD_1 dst_unused:UNUSED_PAD src0_sel:BYTE_0 src1_sel:DWORD
	v_or_b32_sdwa v171, v174, v170 dst_sel:DWORD dst_unused:UNUSED_PAD src0_sel:WORD_0 src1_sel:DWORD
	v_ashrrev_i32_e32 v170, s21, v173
	v_ashrrev_i32_e32 v173, s18, v175
	v_lshlrev_b32_e32 v173, 2, v173
	v_and_b32_e32 v172, 0x3030303, v170
	v_bfe_u32 v170, v170, 24, 2
	v_and_b32_e32 v173, 0x4040404, v173
	v_sub_u16_e32 v174, v172, v173
	v_sub_u16_sdwa v175, v172, v173 dst_sel:BYTE_1 dst_unused:UNUSED_PAD src0_sel:BYTE_1 src1_sel:BYTE_1
	v_sub_u16_sdwa v170, v170, v173 dst_sel:BYTE_1 dst_unused:UNUSED_PAD src0_sel:DWORD src1_sel:BYTE_3
	v_sub_u16_sdwa v172, v172, v173 dst_sel:DWORD dst_unused:UNUSED_PAD src0_sel:WORD_1 src1_sel:WORD_1
	v_or_b32_sdwa v174, v174, v175 dst_sel:DWORD dst_unused:UNUSED_PAD src0_sel:BYTE_0 src1_sel:DWORD
	v_or_b32_sdwa v170, v172, v170 dst_sel:WORD_1 dst_unused:UNUSED_PAD src0_sel:BYTE_0 src1_sel:DWORD
	v_add_u32_e32 v173, 0x4218, v176
	v_or_b32_sdwa v172, v174, v170 dst_sel:DWORD dst_unused:UNUSED_PAD src0_sel:WORD_0 src1_sel:DWORD
	ds_read2_b32 v[174:175], v87 offset0:6 offset1:7
	ds_read2_b32 v[176:177], v173 offset1:1
	s_waitcnt lgkmcnt(3)
	v_ashrrev_i32_e32 v180, s18, v180
	v_lshlrev_b32_e32 v180, 2, v180
	v_and_b32_e32 v180, 0x4040404, v180
	s_waitcnt lgkmcnt(1)
	v_ashrrev_i32_e32 v87, s21, v174
	s_waitcnt lgkmcnt(0)
	v_ashrrev_i32_e32 v173, s18, v176
	v_lshlrev_b32_e32 v173, 2, v173
	v_and_b32_e32 v170, 0x3030303, v87
	v_bfe_u32 v87, v87, 24, 2
	v_and_b32_e32 v173, 0x4040404, v173
	v_sub_u16_e32 v174, v170, v173
	v_sub_u16_sdwa v176, v170, v173 dst_sel:BYTE_1 dst_unused:UNUSED_PAD src0_sel:BYTE_1 src1_sel:BYTE_1
	v_sub_u16_sdwa v87, v87, v173 dst_sel:BYTE_1 dst_unused:UNUSED_PAD src0_sel:DWORD src1_sel:BYTE_3
	v_sub_u16_sdwa v170, v170, v173 dst_sel:DWORD dst_unused:UNUSED_PAD src0_sel:WORD_1 src1_sel:WORD_1
	v_or_b32_sdwa v174, v174, v176 dst_sel:DWORD dst_unused:UNUSED_PAD src0_sel:BYTE_0 src1_sel:DWORD
	v_or_b32_sdwa v87, v170, v87 dst_sel:WORD_1 dst_unused:UNUSED_PAD src0_sel:BYTE_0 src1_sel:DWORD
	v_or_b32_sdwa v173, v174, v87 dst_sel:DWORD dst_unused:UNUSED_PAD src0_sel:WORD_0 src1_sel:DWORD
	v_ashrrev_i32_e32 v174, s18, v177
	v_ashrrev_i32_e32 v87, s21, v175
	v_lshlrev_b32_e32 v174, 2, v174
	v_and_b32_e32 v170, 0x3030303, v87
	v_bfe_u32 v87, v87, 24, 2
	v_and_b32_e32 v174, 0x4040404, v174
	v_sub_u16_e32 v175, v170, v174
	v_sub_u16_sdwa v176, v170, v174 dst_sel:BYTE_1 dst_unused:UNUSED_PAD src0_sel:BYTE_1 src1_sel:BYTE_1
	v_sub_u16_sdwa v87, v87, v174 dst_sel:BYTE_1 dst_unused:UNUSED_PAD src0_sel:DWORD src1_sel:BYTE_3
	v_sub_u16_sdwa v170, v170, v174 dst_sel:DWORD dst_unused:UNUSED_PAD src0_sel:WORD_1 src1_sel:WORD_1
	v_or_b32_sdwa v175, v175, v176 dst_sel:DWORD dst_unused:UNUSED_PAD src0_sel:BYTE_0 src1_sel:DWORD
	v_or_b32_sdwa v87, v170, v87 dst_sel:WORD_1 dst_unused:UNUSED_PAD src0_sel:BYTE_0 src1_sel:DWORD
	v_or_b32_sdwa v174, v175, v87 dst_sel:DWORD dst_unused:UNUSED_PAD src0_sel:WORD_0 src1_sel:DWORD
	v_add3_u32 v87, v141, s20, v86
	v_add_u32_e32 v170, s24, v128
	ds_read_b32 v170, v170
	ds_read_u16 v87, v87 offset:33522
	v_mov_b32_e32 v176, 0
	v_dot4c_i32_i8_e32 v176, v166, v4
	v_dot4c_i32_i8_e32 v176, v167, v5
	;; [unrolled: 1-line block ×3, first 2 shown]
	s_waitcnt lgkmcnt(0)
	v_lshrrev_b16_e32 v177, 8, v87
	v_bfe_i32 v175, v87, 0, 8
	v_mov_b32_e32 v87, 0
	v_dot4c_i32_i8_e32 v87, v171, v0
	v_dot4c_i32_i8_e32 v87, v172, v1
	;; [unrolled: 1-line block ×5, first 2 shown]
	v_bfe_i32 v177, v177, 0, 8
	v_mul_lo_u32 v176, v176, v175
	v_ashrrev_i32_e32 v202, s18, v202
	v_mad_u64_u32 v[178:179], s[26:27], v87, v177, v[176:177]
	v_cvt_f32_i32_e32 v176, v178
	v_mul_f32_e32 v87, v84, v170
	v_lshlrev_b32_e32 v202, 2, v202
	v_and_b32_e32 v202, 0x4040404, v202
	v_fmac_f32_e32 v120, v87, v176
	v_add_u32_e32 v87, s23, v130
	ds_read2_b32 v[178:179], v87 offset1:1
	s_waitcnt lgkmcnt(0)
	v_ashrrev_i32_e32 v176, s21, v178
	v_and_b32_e32 v178, 0x3030303, v176
	v_bfe_u32 v176, v176, 24, 2
	v_sub_u16_e32 v182, v178, v180
	v_sub_u16_sdwa v183, v178, v180 dst_sel:BYTE_1 dst_unused:UNUSED_PAD src0_sel:BYTE_1 src1_sel:BYTE_1
	v_sub_u16_sdwa v176, v176, v180 dst_sel:BYTE_1 dst_unused:UNUSED_PAD src0_sel:DWORD src1_sel:BYTE_3
	v_sub_u16_sdwa v178, v178, v180 dst_sel:DWORD dst_unused:UNUSED_PAD src0_sel:WORD_1 src1_sel:WORD_1
	v_ashrrev_i32_e32 v180, s18, v181
	v_or_b32_sdwa v176, v178, v176 dst_sel:WORD_1 dst_unused:UNUSED_PAD src0_sel:BYTE_0 src1_sel:DWORD
	v_ashrrev_i32_e32 v178, s21, v179
	v_lshlrev_b32_e32 v180, 2, v180
	v_or_b32_sdwa v182, v182, v183 dst_sel:DWORD dst_unused:UNUSED_PAD src0_sel:BYTE_0 src1_sel:DWORD
	v_and_b32_e32 v179, 0x3030303, v178
	v_bfe_u32 v178, v178, 24, 2
	v_and_b32_e32 v180, 0x4040404, v180
	v_or_b32_sdwa v176, v182, v176 dst_sel:DWORD dst_unused:UNUSED_PAD src0_sel:WORD_0 src1_sel:DWORD
	v_sub_u16_e32 v181, v179, v180
	v_sub_u16_sdwa v182, v179, v180 dst_sel:BYTE_1 dst_unused:UNUSED_PAD src0_sel:BYTE_1 src1_sel:BYTE_1
	v_sub_u16_sdwa v178, v178, v180 dst_sel:BYTE_1 dst_unused:UNUSED_PAD src0_sel:DWORD src1_sel:BYTE_3
	v_sub_u16_sdwa v179, v179, v180 dst_sel:DWORD dst_unused:UNUSED_PAD src0_sel:WORD_1 src1_sel:WORD_1
	v_or_b32_sdwa v181, v181, v182 dst_sel:DWORD dst_unused:UNUSED_PAD src0_sel:BYTE_0 src1_sel:DWORD
	v_or_b32_sdwa v178, v179, v178 dst_sel:WORD_1 dst_unused:UNUSED_PAD src0_sel:BYTE_0 src1_sel:DWORD
	v_add_u32_e32 v182, 0x4208, v186
	v_or_b32_sdwa v178, v181, v178 dst_sel:DWORD dst_unused:UNUSED_PAD src0_sel:WORD_0 src1_sel:DWORD
	ds_read2_b32 v[180:181], v87 offset0:2 offset1:3
	ds_read2_b32 v[182:183], v182 offset1:1
	s_waitcnt lgkmcnt(1)
	v_ashrrev_i32_e32 v179, s21, v180
	s_waitcnt lgkmcnt(0)
	v_ashrrev_i32_e32 v182, s18, v182
	v_lshlrev_b32_e32 v182, 2, v182
	v_and_b32_e32 v180, 0x3030303, v179
	v_bfe_u32 v179, v179, 24, 2
	v_and_b32_e32 v182, 0x4040404, v182
	v_sub_u16_e32 v184, v180, v182
	v_sub_u16_sdwa v185, v180, v182 dst_sel:BYTE_1 dst_unused:UNUSED_PAD src0_sel:BYTE_1 src1_sel:BYTE_1
	v_sub_u16_sdwa v179, v179, v182 dst_sel:BYTE_1 dst_unused:UNUSED_PAD src0_sel:DWORD src1_sel:BYTE_3
	v_sub_u16_sdwa v180, v180, v182 dst_sel:DWORD dst_unused:UNUSED_PAD src0_sel:WORD_1 src1_sel:WORD_1
	v_ashrrev_i32_e32 v182, s18, v183
	v_or_b32_sdwa v179, v180, v179 dst_sel:WORD_1 dst_unused:UNUSED_PAD src0_sel:BYTE_0 src1_sel:DWORD
	v_ashrrev_i32_e32 v180, s21, v181
	v_lshlrev_b32_e32 v182, 2, v182
	v_or_b32_sdwa v184, v184, v185 dst_sel:DWORD dst_unused:UNUSED_PAD src0_sel:BYTE_0 src1_sel:DWORD
	v_and_b32_e32 v181, 0x3030303, v180
	v_bfe_u32 v180, v180, 24, 2
	v_and_b32_e32 v182, 0x4040404, v182
	v_or_b32_sdwa v179, v184, v179 dst_sel:DWORD dst_unused:UNUSED_PAD src0_sel:WORD_0 src1_sel:DWORD
	v_sub_u16_e32 v183, v181, v182
	v_sub_u16_sdwa v184, v181, v182 dst_sel:BYTE_1 dst_unused:UNUSED_PAD src0_sel:BYTE_1 src1_sel:BYTE_1
	v_sub_u16_sdwa v180, v180, v182 dst_sel:BYTE_1 dst_unused:UNUSED_PAD src0_sel:DWORD src1_sel:BYTE_3
	v_sub_u16_sdwa v181, v181, v182 dst_sel:DWORD dst_unused:UNUSED_PAD src0_sel:WORD_1 src1_sel:WORD_1
	v_or_b32_sdwa v183, v183, v184 dst_sel:DWORD dst_unused:UNUSED_PAD src0_sel:BYTE_0 src1_sel:DWORD
	v_or_b32_sdwa v180, v181, v180 dst_sel:WORD_1 dst_unused:UNUSED_PAD src0_sel:BYTE_0 src1_sel:DWORD
	v_add_u32_e32 v184, 0x4210, v186
	v_or_b32_sdwa v180, v183, v180 dst_sel:DWORD dst_unused:UNUSED_PAD src0_sel:WORD_0 src1_sel:DWORD
	ds_read2_b32 v[182:183], v87 offset0:4 offset1:5
	ds_read2_b32 v[184:185], v184 offset1:1
	s_waitcnt lgkmcnt(1)
	v_ashrrev_i32_e32 v181, s21, v182
	s_waitcnt lgkmcnt(0)
	v_ashrrev_i32_e32 v184, s18, v184
	v_lshlrev_b32_e32 v184, 2, v184
	v_and_b32_e32 v182, 0x3030303, v181
	v_bfe_u32 v181, v181, 24, 2
	v_and_b32_e32 v184, 0x4040404, v184
	v_sub_u16_e32 v187, v182, v184
	v_sub_u16_sdwa v188, v182, v184 dst_sel:BYTE_1 dst_unused:UNUSED_PAD src0_sel:BYTE_1 src1_sel:BYTE_1
	v_sub_u16_sdwa v181, v181, v184 dst_sel:BYTE_1 dst_unused:UNUSED_PAD src0_sel:DWORD src1_sel:BYTE_3
	v_sub_u16_sdwa v182, v182, v184 dst_sel:DWORD dst_unused:UNUSED_PAD src0_sel:WORD_1 src1_sel:WORD_1
	v_ashrrev_i32_e32 v184, s18, v185
	v_or_b32_sdwa v181, v182, v181 dst_sel:WORD_1 dst_unused:UNUSED_PAD src0_sel:BYTE_0 src1_sel:DWORD
	v_ashrrev_i32_e32 v182, s21, v183
	v_lshlrev_b32_e32 v184, 2, v184
	v_or_b32_sdwa v187, v187, v188 dst_sel:DWORD dst_unused:UNUSED_PAD src0_sel:BYTE_0 src1_sel:DWORD
	v_and_b32_e32 v183, 0x3030303, v182
	v_bfe_u32 v182, v182, 24, 2
	v_and_b32_e32 v184, 0x4040404, v184
	v_or_b32_sdwa v181, v187, v181 dst_sel:DWORD dst_unused:UNUSED_PAD src0_sel:WORD_0 src1_sel:DWORD
	v_sub_u16_e32 v185, v183, v184
	v_sub_u16_sdwa v187, v183, v184 dst_sel:BYTE_1 dst_unused:UNUSED_PAD src0_sel:BYTE_1 src1_sel:BYTE_1
	v_sub_u16_sdwa v182, v182, v184 dst_sel:BYTE_1 dst_unused:UNUSED_PAD src0_sel:DWORD src1_sel:BYTE_3
	v_sub_u16_sdwa v183, v183, v184 dst_sel:DWORD dst_unused:UNUSED_PAD src0_sel:WORD_1 src1_sel:WORD_1
	v_or_b32_sdwa v185, v185, v187 dst_sel:DWORD dst_unused:UNUSED_PAD src0_sel:BYTE_0 src1_sel:DWORD
	v_or_b32_sdwa v182, v183, v182 dst_sel:WORD_1 dst_unused:UNUSED_PAD src0_sel:BYTE_0 src1_sel:DWORD
	v_or_b32_sdwa v183, v185, v182 dst_sel:DWORD dst_unused:UNUSED_PAD src0_sel:WORD_0 src1_sel:DWORD
	ds_read2_b32 v[184:185], v87 offset0:6 offset1:7
	s_waitcnt lgkmcnt(0)
	v_ashrrev_i32_e32 v87, s21, v184
	v_add_u32_e32 v184, 0x4218, v186
	ds_read2_b32 v[186:187], v184 offset1:1
	v_and_b32_e32 v182, 0x3030303, v87
	v_bfe_u32 v87, v87, 24, 2
	s_waitcnt lgkmcnt(0)
	v_ashrrev_i32_e32 v184, s18, v186
	v_lshlrev_b32_e32 v184, 2, v184
	v_and_b32_e32 v184, 0x4040404, v184
	v_sub_u16_e32 v186, v182, v184
	v_sub_u16_sdwa v188, v182, v184 dst_sel:BYTE_1 dst_unused:UNUSED_PAD src0_sel:BYTE_1 src1_sel:BYTE_1
	v_sub_u16_sdwa v87, v87, v184 dst_sel:BYTE_1 dst_unused:UNUSED_PAD src0_sel:DWORD src1_sel:BYTE_3
	v_sub_u16_sdwa v182, v182, v184 dst_sel:DWORD dst_unused:UNUSED_PAD src0_sel:WORD_1 src1_sel:WORD_1
	v_or_b32_sdwa v186, v186, v188 dst_sel:DWORD dst_unused:UNUSED_PAD src0_sel:BYTE_0 src1_sel:DWORD
	v_or_b32_sdwa v87, v182, v87 dst_sel:WORD_1 dst_unused:UNUSED_PAD src0_sel:BYTE_0 src1_sel:DWORD
	v_or_b32_sdwa v184, v186, v87 dst_sel:DWORD dst_unused:UNUSED_PAD src0_sel:WORD_0 src1_sel:DWORD
	v_ashrrev_i32_e32 v87, s21, v185
	v_ashrrev_i32_e32 v185, s18, v187
	v_lshlrev_b32_e32 v185, 2, v185
	v_and_b32_e32 v182, 0x3030303, v87
	v_bfe_u32 v87, v87, 24, 2
	v_and_b32_e32 v185, 0x4040404, v185
	v_sub_u16_e32 v186, v182, v185
	v_sub_u16_sdwa v187, v182, v185 dst_sel:BYTE_1 dst_unused:UNUSED_PAD src0_sel:BYTE_1 src1_sel:BYTE_1
	v_sub_u16_sdwa v87, v87, v185 dst_sel:BYTE_1 dst_unused:UNUSED_PAD src0_sel:DWORD src1_sel:BYTE_3
	v_sub_u16_sdwa v182, v182, v185 dst_sel:DWORD dst_unused:UNUSED_PAD src0_sel:WORD_1 src1_sel:WORD_1
	v_or_b32_sdwa v186, v186, v187 dst_sel:DWORD dst_unused:UNUSED_PAD src0_sel:BYTE_0 src1_sel:DWORD
	v_or_b32_sdwa v87, v182, v87 dst_sel:WORD_1 dst_unused:UNUSED_PAD src0_sel:BYTE_0 src1_sel:DWORD
	v_or_b32_sdwa v185, v186, v87 dst_sel:DWORD dst_unused:UNUSED_PAD src0_sel:WORD_0 src1_sel:DWORD
	v_add3_u32 v87, v143, s20, v86
	v_add_u32_e32 v182, s24, v131
	ds_read_b32 v182, v182
	ds_read_u16 v87, v87 offset:34546
	v_mov_b32_e32 v187, 0
	v_dot4c_i32_i8_e32 v187, v176, v4
	v_dot4c_i32_i8_e32 v187, v178, v5
	;; [unrolled: 1-line block ×3, first 2 shown]
	s_waitcnt lgkmcnt(0)
	v_lshrrev_b16_e32 v188, 8, v87
	v_bfe_i32 v186, v87, 0, 8
	v_mov_b32_e32 v87, 0
	v_dot4c_i32_i8_e32 v87, v181, v0
	v_dot4c_i32_i8_e32 v87, v183, v1
	;; [unrolled: 1-line block ×5, first 2 shown]
	v_bfe_i32 v188, v188, 0, 8
	v_mul_lo_u32 v190, v187, v186
	s_nop 0
	v_mad_u64_u32 v[190:191], s[26:27], v87, v188, v[190:191]
	v_cvt_f32_i32_e32 v187, v190
	v_mul_f32_e32 v87, v84, v182
	v_fmac_f32_e32 v109, v87, v187
	v_add_u32_e32 v87, s23, v133
	ds_read2_b32 v[190:191], v87 offset1:1
	s_waitcnt lgkmcnt(0)
	v_ashrrev_i32_e32 v187, s21, v190
	v_add_u32_e32 v190, 0x4200, v198
	ds_read2_b32 v[192:193], v190 offset1:1
	v_and_b32_e32 v189, 0x3030303, v187
	v_bfe_u32 v187, v187, 24, 2
	s_waitcnt lgkmcnt(0)
	v_ashrrev_i32_e32 v190, s18, v192
	v_lshlrev_b32_e32 v190, 2, v190
	v_and_b32_e32 v190, 0x4040404, v190
	v_sub_u16_e32 v192, v189, v190
	v_sub_u16_sdwa v194, v189, v190 dst_sel:BYTE_1 dst_unused:UNUSED_PAD src0_sel:BYTE_1 src1_sel:BYTE_1
	v_sub_u16_sdwa v187, v187, v190 dst_sel:BYTE_1 dst_unused:UNUSED_PAD src0_sel:DWORD src1_sel:BYTE_3
	v_sub_u16_sdwa v189, v189, v190 dst_sel:DWORD dst_unused:UNUSED_PAD src0_sel:WORD_1 src1_sel:WORD_1
	v_or_b32_sdwa v187, v189, v187 dst_sel:WORD_1 dst_unused:UNUSED_PAD src0_sel:BYTE_0 src1_sel:DWORD
	v_ashrrev_i32_e32 v189, s21, v191
	v_ashrrev_i32_e32 v191, s18, v193
	v_lshlrev_b32_e32 v191, 2, v191
	v_or_b32_sdwa v192, v192, v194 dst_sel:DWORD dst_unused:UNUSED_PAD src0_sel:BYTE_0 src1_sel:DWORD
	v_and_b32_e32 v190, 0x3030303, v189
	v_bfe_u32 v189, v189, 24, 2
	v_and_b32_e32 v191, 0x4040404, v191
	v_or_b32_sdwa v187, v192, v187 dst_sel:DWORD dst_unused:UNUSED_PAD src0_sel:WORD_0 src1_sel:DWORD
	v_sub_u16_e32 v192, v190, v191
	v_sub_u16_sdwa v193, v190, v191 dst_sel:BYTE_1 dst_unused:UNUSED_PAD src0_sel:BYTE_1 src1_sel:BYTE_1
	v_sub_u16_sdwa v189, v189, v191 dst_sel:BYTE_1 dst_unused:UNUSED_PAD src0_sel:DWORD src1_sel:BYTE_3
	v_sub_u16_sdwa v190, v190, v191 dst_sel:DWORD dst_unused:UNUSED_PAD src0_sel:WORD_1 src1_sel:WORD_1
	v_or_b32_sdwa v192, v192, v193 dst_sel:DWORD dst_unused:UNUSED_PAD src0_sel:BYTE_0 src1_sel:DWORD
	v_or_b32_sdwa v189, v190, v189 dst_sel:WORD_1 dst_unused:UNUSED_PAD src0_sel:BYTE_0 src1_sel:DWORD
	v_or_b32_sdwa v189, v192, v189 dst_sel:DWORD dst_unused:UNUSED_PAD src0_sel:WORD_0 src1_sel:DWORD
	v_add_u32_e32 v192, 0x4208, v198
	ds_read2_b32 v[190:191], v87 offset0:2 offset1:3
	ds_read2_b32 v[192:193], v192 offset1:1
	s_waitcnt lgkmcnt(1)
	v_ashrrev_i32_e32 v190, s21, v190
	s_waitcnt lgkmcnt(0)
	v_ashrrev_i32_e32 v192, s18, v192
	v_lshlrev_b32_e32 v192, 2, v192
	v_and_b32_e32 v194, 0x3030303, v190
	v_bfe_u32 v190, v190, 24, 2
	v_and_b32_e32 v192, 0x4040404, v192
	v_ashrrev_i32_e32 v193, s18, v193
	v_sub_u16_e32 v195, v194, v192
	v_sub_u16_sdwa v196, v194, v192 dst_sel:BYTE_1 dst_unused:UNUSED_PAD src0_sel:BYTE_1 src1_sel:BYTE_1
	v_sub_u16_sdwa v190, v190, v192 dst_sel:BYTE_1 dst_unused:UNUSED_PAD src0_sel:DWORD src1_sel:BYTE_3
	v_sub_u16_sdwa v192, v194, v192 dst_sel:DWORD dst_unused:UNUSED_PAD src0_sel:WORD_1 src1_sel:WORD_1
	v_ashrrev_i32_e32 v191, s21, v191
	v_lshlrev_b32_e32 v193, 2, v193
	v_or_b32_sdwa v195, v195, v196 dst_sel:DWORD dst_unused:UNUSED_PAD src0_sel:BYTE_0 src1_sel:DWORD
	v_or_b32_sdwa v190, v192, v190 dst_sel:WORD_1 dst_unused:UNUSED_PAD src0_sel:BYTE_0 src1_sel:DWORD
	v_and_b32_e32 v192, 0x3030303, v191
	v_bfe_u32 v191, v191, 24, 2
	v_and_b32_e32 v193, 0x4040404, v193
	v_or_b32_sdwa v190, v195, v190 dst_sel:DWORD dst_unused:UNUSED_PAD src0_sel:WORD_0 src1_sel:DWORD
	v_sub_u16_e32 v194, v192, v193
	v_sub_u16_sdwa v195, v192, v193 dst_sel:BYTE_1 dst_unused:UNUSED_PAD src0_sel:BYTE_1 src1_sel:BYTE_1
	v_sub_u16_sdwa v191, v191, v193 dst_sel:BYTE_1 dst_unused:UNUSED_PAD src0_sel:DWORD src1_sel:BYTE_3
	v_sub_u16_sdwa v192, v192, v193 dst_sel:DWORD dst_unused:UNUSED_PAD src0_sel:WORD_1 src1_sel:WORD_1
	v_or_b32_sdwa v194, v194, v195 dst_sel:DWORD dst_unused:UNUSED_PAD src0_sel:BYTE_0 src1_sel:DWORD
	v_or_b32_sdwa v191, v192, v191 dst_sel:WORD_1 dst_unused:UNUSED_PAD src0_sel:BYTE_0 src1_sel:DWORD
	v_or_b32_sdwa v191, v194, v191 dst_sel:DWORD dst_unused:UNUSED_PAD src0_sel:WORD_0 src1_sel:DWORD
	v_add_u32_e32 v194, 0x4210, v198
	ds_read2_b32 v[192:193], v87 offset0:4 offset1:5
	ds_read2_b32 v[194:195], v194 offset1:1
	s_waitcnt lgkmcnt(1)
	v_ashrrev_i32_e32 v192, s21, v192
	s_waitcnt lgkmcnt(0)
	v_ashrrev_i32_e32 v194, s18, v194
	v_lshlrev_b32_e32 v194, 2, v194
	v_and_b32_e32 v196, 0x3030303, v192
	v_bfe_u32 v192, v192, 24, 2
	v_and_b32_e32 v194, 0x4040404, v194
	v_ashrrev_i32_e32 v195, s18, v195
	v_sub_u16_e32 v197, v196, v194
	v_sub_u16_sdwa v199, v196, v194 dst_sel:BYTE_1 dst_unused:UNUSED_PAD src0_sel:BYTE_1 src1_sel:BYTE_1
	v_sub_u16_sdwa v192, v192, v194 dst_sel:BYTE_1 dst_unused:UNUSED_PAD src0_sel:DWORD src1_sel:BYTE_3
	v_sub_u16_sdwa v194, v196, v194 dst_sel:DWORD dst_unused:UNUSED_PAD src0_sel:WORD_1 src1_sel:WORD_1
	v_ashrrev_i32_e32 v193, s21, v193
	v_lshlrev_b32_e32 v195, 2, v195
	v_or_b32_sdwa v197, v197, v199 dst_sel:DWORD dst_unused:UNUSED_PAD src0_sel:BYTE_0 src1_sel:DWORD
	v_or_b32_sdwa v192, v194, v192 dst_sel:WORD_1 dst_unused:UNUSED_PAD src0_sel:BYTE_0 src1_sel:DWORD
	v_and_b32_e32 v194, 0x3030303, v193
	v_bfe_u32 v193, v193, 24, 2
	v_and_b32_e32 v195, 0x4040404, v195
	v_or_b32_sdwa v192, v197, v192 dst_sel:DWORD dst_unused:UNUSED_PAD src0_sel:WORD_0 src1_sel:DWORD
	v_sub_u16_e32 v196, v194, v195
	v_sub_u16_sdwa v197, v194, v195 dst_sel:BYTE_1 dst_unused:UNUSED_PAD src0_sel:BYTE_1 src1_sel:BYTE_1
	v_sub_u16_sdwa v193, v193, v195 dst_sel:BYTE_1 dst_unused:UNUSED_PAD src0_sel:DWORD src1_sel:BYTE_3
	v_sub_u16_sdwa v194, v194, v195 dst_sel:DWORD dst_unused:UNUSED_PAD src0_sel:WORD_1 src1_sel:WORD_1
	v_or_b32_sdwa v196, v196, v197 dst_sel:DWORD dst_unused:UNUSED_PAD src0_sel:BYTE_0 src1_sel:DWORD
	v_or_b32_sdwa v193, v194, v193 dst_sel:WORD_1 dst_unused:UNUSED_PAD src0_sel:BYTE_0 src1_sel:DWORD
	v_add_u32_e32 v195, 0x4218, v198
	v_or_b32_sdwa v194, v196, v193 dst_sel:DWORD dst_unused:UNUSED_PAD src0_sel:WORD_0 src1_sel:DWORD
	ds_read2_b32 v[196:197], v87 offset0:6 offset1:7
	ds_read2_b32 v[198:199], v195 offset1:1
	s_waitcnt lgkmcnt(1)
	v_ashrrev_i32_e32 v87, s21, v196
	s_waitcnt lgkmcnt(0)
	v_ashrrev_i32_e32 v195, s18, v198
	v_lshlrev_b32_e32 v195, 2, v195
	v_and_b32_e32 v193, 0x3030303, v87
	v_bfe_u32 v87, v87, 24, 2
	v_and_b32_e32 v195, 0x4040404, v195
	v_sub_u16_e32 v196, v193, v195
	v_sub_u16_sdwa v198, v193, v195 dst_sel:BYTE_1 dst_unused:UNUSED_PAD src0_sel:BYTE_1 src1_sel:BYTE_1
	v_sub_u16_sdwa v87, v87, v195 dst_sel:BYTE_1 dst_unused:UNUSED_PAD src0_sel:DWORD src1_sel:BYTE_3
	v_sub_u16_sdwa v193, v193, v195 dst_sel:DWORD dst_unused:UNUSED_PAD src0_sel:WORD_1 src1_sel:WORD_1
	v_or_b32_sdwa v196, v196, v198 dst_sel:DWORD dst_unused:UNUSED_PAD src0_sel:BYTE_0 src1_sel:DWORD
	v_or_b32_sdwa v87, v193, v87 dst_sel:WORD_1 dst_unused:UNUSED_PAD src0_sel:BYTE_0 src1_sel:DWORD
	v_or_b32_sdwa v195, v196, v87 dst_sel:DWORD dst_unused:UNUSED_PAD src0_sel:WORD_0 src1_sel:DWORD
	v_ashrrev_i32_e32 v196, s18, v199
	v_ashrrev_i32_e32 v87, s21, v197
	v_lshlrev_b32_e32 v196, 2, v196
	v_and_b32_e32 v193, 0x3030303, v87
	v_bfe_u32 v87, v87, 24, 2
	v_and_b32_e32 v196, 0x4040404, v196
	v_sub_u16_e32 v197, v193, v196
	v_sub_u16_sdwa v198, v193, v196 dst_sel:BYTE_1 dst_unused:UNUSED_PAD src0_sel:BYTE_1 src1_sel:BYTE_1
	v_sub_u16_sdwa v87, v87, v196 dst_sel:BYTE_1 dst_unused:UNUSED_PAD src0_sel:DWORD src1_sel:BYTE_3
	v_sub_u16_sdwa v193, v193, v196 dst_sel:DWORD dst_unused:UNUSED_PAD src0_sel:WORD_1 src1_sel:WORD_1
	v_or_b32_sdwa v197, v197, v198 dst_sel:DWORD dst_unused:UNUSED_PAD src0_sel:BYTE_0 src1_sel:DWORD
	v_or_b32_sdwa v87, v193, v87 dst_sel:WORD_1 dst_unused:UNUSED_PAD src0_sel:BYTE_0 src1_sel:DWORD
	v_or_b32_sdwa v196, v197, v87 dst_sel:DWORD dst_unused:UNUSED_PAD src0_sel:WORD_0 src1_sel:DWORD
	v_add3_u32 v87, v145, s20, v86
	v_add_u32_e32 v193, s24, v134
	ds_read_b32 v193, v193
	ds_read_u16 v87, v87 offset:35570
	v_mov_b32_e32 v198, 0
	v_dot4c_i32_i8_e32 v198, v187, v4
	v_dot4c_i32_i8_e32 v198, v189, v5
	;; [unrolled: 1-line block ×3, first 2 shown]
	s_waitcnt lgkmcnt(0)
	v_lshrrev_b16_e32 v199, 8, v87
	v_bfe_i32 v197, v87, 0, 8
	v_mov_b32_e32 v87, 0
	v_dot4c_i32_i8_e32 v87, v192, v0
	v_dot4c_i32_i8_e32 v87, v194, v1
	;; [unrolled: 1-line block ×5, first 2 shown]
	v_bfe_i32 v199, v199, 0, 8
	v_mul_lo_u32 v198, v198, v197
	v_add3_u32 v86, v147, s20, v86
	v_mad_u64_u32 v[200:201], s[26:27], v87, v199, v[198:199]
	v_cvt_f32_i32_e32 v198, v200
	v_mul_f32_e32 v87, v84, v193
	v_fmac_f32_e32 v104, v87, v198
	v_add_u32_e32 v87, s23, v136
	ds_read2_b32 v[200:201], v87 offset1:1
	s_waitcnt lgkmcnt(0)
	v_ashrrev_i32_e32 v198, s21, v200
	v_and_b32_e32 v200, 0x3030303, v198
	v_bfe_u32 v198, v198, 24, 2
	v_sub_u16_e32 v204, v200, v202
	v_sub_u16_sdwa v205, v200, v202 dst_sel:BYTE_1 dst_unused:UNUSED_PAD src0_sel:BYTE_1 src1_sel:BYTE_1
	v_sub_u16_sdwa v198, v198, v202 dst_sel:BYTE_1 dst_unused:UNUSED_PAD src0_sel:DWORD src1_sel:BYTE_3
	v_sub_u16_sdwa v200, v200, v202 dst_sel:DWORD dst_unused:UNUSED_PAD src0_sel:WORD_1 src1_sel:WORD_1
	v_ashrrev_i32_e32 v202, s18, v203
	v_or_b32_sdwa v198, v200, v198 dst_sel:WORD_1 dst_unused:UNUSED_PAD src0_sel:BYTE_0 src1_sel:DWORD
	v_ashrrev_i32_e32 v200, s21, v201
	v_lshlrev_b32_e32 v202, 2, v202
	v_or_b32_sdwa v204, v204, v205 dst_sel:DWORD dst_unused:UNUSED_PAD src0_sel:BYTE_0 src1_sel:DWORD
	v_and_b32_e32 v201, 0x3030303, v200
	v_bfe_u32 v200, v200, 24, 2
	v_and_b32_e32 v202, 0x4040404, v202
	v_or_b32_sdwa v198, v204, v198 dst_sel:DWORD dst_unused:UNUSED_PAD src0_sel:WORD_0 src1_sel:DWORD
	v_sub_u16_e32 v203, v201, v202
	v_sub_u16_sdwa v204, v201, v202 dst_sel:BYTE_1 dst_unused:UNUSED_PAD src0_sel:BYTE_1 src1_sel:BYTE_1
	v_sub_u16_sdwa v200, v200, v202 dst_sel:BYTE_1 dst_unused:UNUSED_PAD src0_sel:DWORD src1_sel:BYTE_3
	v_sub_u16_sdwa v201, v201, v202 dst_sel:DWORD dst_unused:UNUSED_PAD src0_sel:WORD_1 src1_sel:WORD_1
	v_or_b32_sdwa v203, v203, v204 dst_sel:DWORD dst_unused:UNUSED_PAD src0_sel:BYTE_0 src1_sel:DWORD
	v_or_b32_sdwa v200, v201, v200 dst_sel:WORD_1 dst_unused:UNUSED_PAD src0_sel:BYTE_0 src1_sel:DWORD
	v_add_u32_e32 v204, 0x4208, v208
	v_or_b32_sdwa v200, v203, v200 dst_sel:DWORD dst_unused:UNUSED_PAD src0_sel:WORD_0 src1_sel:DWORD
	ds_read2_b32 v[202:203], v87 offset0:2 offset1:3
	ds_read2_b32 v[204:205], v204 offset1:1
	s_waitcnt lgkmcnt(1)
	v_ashrrev_i32_e32 v201, s21, v202
	s_waitcnt lgkmcnt(0)
	v_ashrrev_i32_e32 v204, s18, v204
	v_lshlrev_b32_e32 v204, 2, v204
	v_and_b32_e32 v202, 0x3030303, v201
	v_bfe_u32 v201, v201, 24, 2
	v_and_b32_e32 v204, 0x4040404, v204
	v_sub_u16_e32 v206, v202, v204
	v_sub_u16_sdwa v207, v202, v204 dst_sel:BYTE_1 dst_unused:UNUSED_PAD src0_sel:BYTE_1 src1_sel:BYTE_1
	v_sub_u16_sdwa v201, v201, v204 dst_sel:BYTE_1 dst_unused:UNUSED_PAD src0_sel:DWORD src1_sel:BYTE_3
	v_sub_u16_sdwa v202, v202, v204 dst_sel:DWORD dst_unused:UNUSED_PAD src0_sel:WORD_1 src1_sel:WORD_1
	v_ashrrev_i32_e32 v204, s18, v205
	v_or_b32_sdwa v201, v202, v201 dst_sel:WORD_1 dst_unused:UNUSED_PAD src0_sel:BYTE_0 src1_sel:DWORD
	v_ashrrev_i32_e32 v202, s21, v203
	v_lshlrev_b32_e32 v204, 2, v204
	v_or_b32_sdwa v206, v206, v207 dst_sel:DWORD dst_unused:UNUSED_PAD src0_sel:BYTE_0 src1_sel:DWORD
	v_and_b32_e32 v203, 0x3030303, v202
	v_bfe_u32 v202, v202, 24, 2
	v_and_b32_e32 v204, 0x4040404, v204
	v_or_b32_sdwa v201, v206, v201 dst_sel:DWORD dst_unused:UNUSED_PAD src0_sel:WORD_0 src1_sel:DWORD
	v_sub_u16_e32 v205, v203, v204
	v_sub_u16_sdwa v206, v203, v204 dst_sel:BYTE_1 dst_unused:UNUSED_PAD src0_sel:BYTE_1 src1_sel:BYTE_1
	v_sub_u16_sdwa v202, v202, v204 dst_sel:BYTE_1 dst_unused:UNUSED_PAD src0_sel:DWORD src1_sel:BYTE_3
	v_sub_u16_sdwa v203, v203, v204 dst_sel:DWORD dst_unused:UNUSED_PAD src0_sel:WORD_1 src1_sel:WORD_1
	v_or_b32_sdwa v205, v205, v206 dst_sel:DWORD dst_unused:UNUSED_PAD src0_sel:BYTE_0 src1_sel:DWORD
	v_or_b32_sdwa v202, v203, v202 dst_sel:WORD_1 dst_unused:UNUSED_PAD src0_sel:BYTE_0 src1_sel:DWORD
	v_add_u32_e32 v206, 0x4210, v208
	v_or_b32_sdwa v202, v205, v202 dst_sel:DWORD dst_unused:UNUSED_PAD src0_sel:WORD_0 src1_sel:DWORD
	ds_read2_b32 v[204:205], v87 offset0:4 offset1:5
	ds_read2_b32 v[206:207], v206 offset1:1
	s_waitcnt lgkmcnt(1)
	v_ashrrev_i32_e32 v203, s21, v204
	s_waitcnt lgkmcnt(0)
	v_ashrrev_i32_e32 v206, s18, v206
	v_lshlrev_b32_e32 v206, 2, v206
	v_and_b32_e32 v204, 0x3030303, v203
	v_bfe_u32 v203, v203, 24, 2
	v_and_b32_e32 v206, 0x4040404, v206
	v_sub_u16_e32 v209, v204, v206
	v_sub_u16_sdwa v210, v204, v206 dst_sel:BYTE_1 dst_unused:UNUSED_PAD src0_sel:BYTE_1 src1_sel:BYTE_1
	v_sub_u16_sdwa v203, v203, v206 dst_sel:BYTE_1 dst_unused:UNUSED_PAD src0_sel:DWORD src1_sel:BYTE_3
	v_sub_u16_sdwa v204, v204, v206 dst_sel:DWORD dst_unused:UNUSED_PAD src0_sel:WORD_1 src1_sel:WORD_1
	v_ashrrev_i32_e32 v206, s18, v207
	v_or_b32_sdwa v203, v204, v203 dst_sel:WORD_1 dst_unused:UNUSED_PAD src0_sel:BYTE_0 src1_sel:DWORD
	v_ashrrev_i32_e32 v204, s21, v205
	v_lshlrev_b32_e32 v206, 2, v206
	v_or_b32_sdwa v209, v209, v210 dst_sel:DWORD dst_unused:UNUSED_PAD src0_sel:BYTE_0 src1_sel:DWORD
	v_and_b32_e32 v205, 0x3030303, v204
	v_bfe_u32 v204, v204, 24, 2
	v_and_b32_e32 v206, 0x4040404, v206
	v_or_b32_sdwa v203, v209, v203 dst_sel:DWORD dst_unused:UNUSED_PAD src0_sel:WORD_0 src1_sel:DWORD
	v_sub_u16_e32 v207, v205, v206
	v_sub_u16_sdwa v209, v205, v206 dst_sel:BYTE_1 dst_unused:UNUSED_PAD src0_sel:BYTE_1 src1_sel:BYTE_1
	v_sub_u16_sdwa v204, v204, v206 dst_sel:BYTE_1 dst_unused:UNUSED_PAD src0_sel:DWORD src1_sel:BYTE_3
	v_sub_u16_sdwa v205, v205, v206 dst_sel:DWORD dst_unused:UNUSED_PAD src0_sel:WORD_1 src1_sel:WORD_1
	v_or_b32_sdwa v207, v207, v209 dst_sel:DWORD dst_unused:UNUSED_PAD src0_sel:BYTE_0 src1_sel:DWORD
	v_or_b32_sdwa v204, v205, v204 dst_sel:WORD_1 dst_unused:UNUSED_PAD src0_sel:BYTE_0 src1_sel:DWORD
	v_or_b32_sdwa v205, v207, v204 dst_sel:DWORD dst_unused:UNUSED_PAD src0_sel:WORD_0 src1_sel:DWORD
	ds_read2_b32 v[206:207], v87 offset0:6 offset1:7
	s_waitcnt lgkmcnt(0)
	v_ashrrev_i32_e32 v87, s21, v206
	v_add_u32_e32 v206, 0x4218, v208
	ds_read2_b32 v[208:209], v206 offset1:1
	v_and_b32_e32 v204, 0x3030303, v87
	v_bfe_u32 v87, v87, 24, 2
	s_waitcnt lgkmcnt(0)
	v_ashrrev_i32_e32 v206, s18, v208
	v_lshlrev_b32_e32 v206, 2, v206
	v_and_b32_e32 v206, 0x4040404, v206
	v_sub_u16_e32 v208, v204, v206
	v_sub_u16_sdwa v210, v204, v206 dst_sel:BYTE_1 dst_unused:UNUSED_PAD src0_sel:BYTE_1 src1_sel:BYTE_1
	v_sub_u16_sdwa v87, v87, v206 dst_sel:BYTE_1 dst_unused:UNUSED_PAD src0_sel:DWORD src1_sel:BYTE_3
	v_sub_u16_sdwa v204, v204, v206 dst_sel:DWORD dst_unused:UNUSED_PAD src0_sel:WORD_1 src1_sel:WORD_1
	v_or_b32_sdwa v208, v208, v210 dst_sel:DWORD dst_unused:UNUSED_PAD src0_sel:BYTE_0 src1_sel:DWORD
	v_or_b32_sdwa v87, v204, v87 dst_sel:WORD_1 dst_unused:UNUSED_PAD src0_sel:BYTE_0 src1_sel:DWORD
	v_or_b32_sdwa v206, v208, v87 dst_sel:DWORD dst_unused:UNUSED_PAD src0_sel:WORD_0 src1_sel:DWORD
	v_ashrrev_i32_e32 v87, s21, v207
	v_ashrrev_i32_e32 v207, s18, v209
	v_lshlrev_b32_e32 v207, 2, v207
	v_and_b32_e32 v204, 0x3030303, v87
	v_bfe_u32 v87, v87, 24, 2
	v_and_b32_e32 v207, 0x4040404, v207
	v_sub_u16_e32 v208, v204, v207
	v_sub_u16_sdwa v209, v204, v207 dst_sel:BYTE_1 dst_unused:UNUSED_PAD src0_sel:BYTE_1 src1_sel:BYTE_1
	v_sub_u16_sdwa v87, v87, v207 dst_sel:BYTE_1 dst_unused:UNUSED_PAD src0_sel:DWORD src1_sel:BYTE_3
	v_sub_u16_sdwa v204, v204, v207 dst_sel:DWORD dst_unused:UNUSED_PAD src0_sel:WORD_1 src1_sel:WORD_1
	v_or_b32_sdwa v208, v208, v209 dst_sel:DWORD dst_unused:UNUSED_PAD src0_sel:BYTE_0 src1_sel:DWORD
	v_or_b32_sdwa v87, v204, v87 dst_sel:WORD_1 dst_unused:UNUSED_PAD src0_sel:BYTE_0 src1_sel:DWORD
	v_or_b32_sdwa v207, v208, v87 dst_sel:DWORD dst_unused:UNUSED_PAD src0_sel:WORD_0 src1_sel:DWORD
	v_add_u32_e32 v87, s24, v137
	ds_read_b32 v204, v87
	v_mov_b32_e32 v87, 0
	v_dot4c_i32_i8_e32 v87, v198, v4
	ds_read_u16 v4, v86 offset:36594
	v_dot4c_i32_i8_e32 v87, v200, v5
	v_dot4c_i32_i8_e32 v87, v201, v6
	v_mov_b32_e32 v6, 0
	v_dot4c_i32_i8_e32 v6, v203, v0
	v_dot4c_i32_i8_e32 v6, v205, v1
	;; [unrolled: 1-line block ×3, first 2 shown]
	s_waitcnt lgkmcnt(0)
	v_lshrrev_b16_e32 v5, 8, v4
	v_bfe_i32 v208, v4, 0, 8
	v_dot4c_i32_i8_e32 v6, v206, v2
	v_mul_lo_u32 v4, v87, v208
	v_dot4c_i32_i8_e32 v6, v207, v3
	v_bfe_i32 v209, v5, 0, 8
	v_mov_b32_e32 v86, 0
	s_add_i32 s18, s18, 1
	v_mad_u64_u32 v[0:1], s[20:21], v6, v209, v[4:5]
	v_cvt_f32_i32_e32 v0, v0
	v_mul_f32_e32 v1, v84, v204
	v_mov_b32_e32 v84, 0
	s_cmp_lt_u32 s19, 30
	v_fmac_f32_e32 v102, v1, v0
	ds_read_b128 v[0:3], v164 offset:1024
	ds_read_b128 v[4:7], v164 offset:1040
	s_waitcnt lgkmcnt(1)
	v_dot4c_i32_i8_e32 v84, v166, v0
	v_dot4c_i32_i8_e32 v84, v167, v1
	s_waitcnt lgkmcnt(0)
	v_dot4c_i32_i8_e32 v86, v171, v4
	v_dot4c_i32_i8_e32 v84, v168, v2
	;; [unrolled: 1-line block ×6, first 2 shown]
	s_nop 0
	v_mul_lo_u32 v84, v84, v175
	s_nop 0
	v_mad_u64_u32 v[86:87], s[20:21], v86, v177, v[84:85]
	v_cvt_f32_i32_e32 v86, v86
	v_mul_f32_e32 v84, v170, v85
	v_fmac_f32_e32 v99, v84, v86
	v_mov_b32_e32 v84, 0
	v_dot4c_i32_i8_e32 v84, v176, v0
	v_mov_b32_e32 v86, 0
	v_dot4c_i32_i8_e32 v84, v178, v1
	v_dot4c_i32_i8_e32 v86, v181, v4
	;; [unrolled: 1-line block ×7, first 2 shown]
	s_nop 0
	v_mul_lo_u32 v84, v84, v186
	s_nop 0
	v_mad_u64_u32 v[86:87], s[20:21], v86, v188, v[84:85]
	v_cvt_f32_i32_e32 v86, v86
	v_mul_f32_e32 v84, v182, v85
	v_fmac_f32_e32 v98, v84, v86
	v_mov_b32_e32 v84, 0
	v_dot4c_i32_i8_e32 v84, v187, v0
	v_mov_b32_e32 v86, 0
	v_dot4c_i32_i8_e32 v84, v189, v1
	v_dot4c_i32_i8_e32 v86, v192, v4
	v_dot4c_i32_i8_e32 v84, v190, v2
	v_dot4c_i32_i8_e32 v86, v194, v5
	v_dot4c_i32_i8_e32 v84, v191, v3
	v_dot4c_i32_i8_e32 v86, v195, v6
	v_dot4c_i32_i8_e32 v86, v196, v7
	s_nop 0
	v_mul_lo_u32 v84, v84, v197
	s_nop 0
	v_mad_u64_u32 v[86:87], s[20:21], v86, v199, v[84:85]
	v_cvt_f32_i32_e32 v86, v86
	v_mul_f32_e32 v84, v193, v85
	v_mov_b32_e32 v87, 0
	v_fmac_f32_e32 v83, v84, v86
	v_mov_b32_e32 v84, 0
	v_dot4c_i32_i8_e32 v84, v198, v0
	v_dot4c_i32_i8_e32 v84, v200, v1
	v_mov_b32_e32 v1, 0
	v_dot4c_i32_i8_e32 v1, v203, v4
	v_dot4c_i32_i8_e32 v84, v201, v2
	v_dot4c_i32_i8_e32 v1, v205, v5
	v_dot4c_i32_i8_e32 v84, v202, v3
	v_dot4c_i32_i8_e32 v1, v206, v6
	v_dot4c_i32_i8_e32 v1, v207, v7
	v_mov_b32_e32 v86, 0
	v_mul_lo_u32 v0, v84, v208
	s_nop 0
	v_mad_u64_u32 v[0:1], s[20:21], v1, v209, v[0:1]
	v_cvt_f32_i32_e32 v0, v0
	v_mul_f32_e32 v1, v204, v85
	v_fmac_f32_e32 v75, v1, v0
	ds_read2_b32 v[84:85], v165 offset0:64 offset1:96
	ds_read_b128 v[0:3], v164 offset:2048
	ds_read_b128 v[4:7], v164 offset:2064
	s_waitcnt lgkmcnt(1)
	v_dot4c_i32_i8_e32 v86, v166, v0
	v_dot4c_i32_i8_e32 v86, v167, v1
	s_waitcnt lgkmcnt(0)
	v_dot4c_i32_i8_e32 v87, v171, v4
	v_dot4c_i32_i8_e32 v86, v168, v2
	;; [unrolled: 1-line block ×6, first 2 shown]
	s_nop 0
	v_mul_lo_u32 v86, v86, v175
	s_nop 0
	v_mad_u64_u32 v[86:87], s[20:21], v87, v177, v[86:87]
	v_cvt_f32_i32_e32 v86, v86
	v_mul_f32_e32 v87, v170, v84
	v_fmac_f32_e32 v59, v87, v86
	v_mov_b32_e32 v86, 0
	v_dot4c_i32_i8_e32 v86, v176, v0
	v_mov_b32_e32 v87, 0
	v_dot4c_i32_i8_e32 v86, v178, v1
	v_dot4c_i32_i8_e32 v87, v181, v4
	v_dot4c_i32_i8_e32 v86, v179, v2
	v_dot4c_i32_i8_e32 v87, v183, v5
	v_dot4c_i32_i8_e32 v86, v180, v3
	v_dot4c_i32_i8_e32 v87, v184, v6
	v_dot4c_i32_i8_e32 v87, v185, v7
	s_nop 0
	v_mul_lo_u32 v86, v86, v186
	s_nop 0
	v_mad_u64_u32 v[86:87], s[20:21], v87, v188, v[86:87]
	v_cvt_f32_i32_e32 v86, v86
	v_mul_f32_e32 v87, v182, v84
	v_fmac_f32_e32 v57, v87, v86
	v_mov_b32_e32 v86, 0
	v_dot4c_i32_i8_e32 v86, v187, v0
	v_mov_b32_e32 v87, 0
	v_dot4c_i32_i8_e32 v86, v189, v1
	v_dot4c_i32_i8_e32 v87, v192, v4
	;; [unrolled: 1-line block ×7, first 2 shown]
	s_nop 0
	v_mul_lo_u32 v86, v86, v197
	s_nop 0
	v_mad_u64_u32 v[86:87], s[20:21], v87, v199, v[86:87]
	v_cvt_f32_i32_e32 v86, v86
	v_mul_f32_e32 v87, v193, v84
	v_fmac_f32_e32 v55, v87, v86
	v_mov_b32_e32 v86, 0
	v_dot4c_i32_i8_e32 v86, v198, v0
	v_dot4c_i32_i8_e32 v86, v200, v1
	v_mov_b32_e32 v1, 0
	v_dot4c_i32_i8_e32 v1, v203, v4
	v_dot4c_i32_i8_e32 v86, v201, v2
	;; [unrolled: 1-line block ×6, first 2 shown]
	s_nop 0
	v_mul_lo_u32 v0, v86, v208
	v_mov_b32_e32 v86, 0
	v_mad_u64_u32 v[0:1], s[20:21], v1, v209, v[0:1]
	v_cvt_f32_i32_e32 v0, v0
	v_mul_f32_e32 v1, v204, v84
	v_mov_b32_e32 v84, 0
	v_fmac_f32_e32 v53, v1, v0
	ds_read_b128 v[0:3], v164 offset:3072
	ds_read_b128 v[4:7], v164 offset:3088
	s_waitcnt lgkmcnt(1)
	v_dot4c_i32_i8_e32 v84, v166, v0
	v_dot4c_i32_i8_e32 v84, v167, v1
	s_waitcnt lgkmcnt(0)
	v_dot4c_i32_i8_e32 v86, v171, v4
	v_dot4c_i32_i8_e32 v84, v168, v2
	;; [unrolled: 1-line block ×6, first 2 shown]
	s_nop 0
	v_mul_lo_u32 v84, v84, v175
	s_nop 0
	v_mad_u64_u32 v[86:87], s[20:21], v86, v177, v[84:85]
	v_cvt_f32_i32_e32 v86, v86
	v_mul_f32_e32 v84, v170, v85
	v_fmac_f32_e32 v49, v84, v86
	v_mov_b32_e32 v84, 0
	v_dot4c_i32_i8_e32 v84, v176, v0
	v_mov_b32_e32 v86, 0
	v_dot4c_i32_i8_e32 v84, v178, v1
	v_dot4c_i32_i8_e32 v86, v181, v4
	v_dot4c_i32_i8_e32 v84, v179, v2
	v_dot4c_i32_i8_e32 v86, v183, v5
	v_dot4c_i32_i8_e32 v84, v180, v3
	v_dot4c_i32_i8_e32 v86, v184, v6
	v_dot4c_i32_i8_e32 v86, v185, v7
	s_nop 0
	v_mul_lo_u32 v84, v84, v186
	s_nop 0
	v_mad_u64_u32 v[86:87], s[20:21], v86, v188, v[84:85]
	v_cvt_f32_i32_e32 v86, v86
	v_mul_f32_e32 v84, v182, v85
	v_fmac_f32_e32 v45, v84, v86
	v_mov_b32_e32 v84, 0
	v_dot4c_i32_i8_e32 v84, v187, v0
	v_mov_b32_e32 v86, 0
	v_dot4c_i32_i8_e32 v84, v189, v1
	v_dot4c_i32_i8_e32 v86, v192, v4
	;; [unrolled: 1-line block ×7, first 2 shown]
	s_nop 0
	v_mul_lo_u32 v84, v84, v197
	s_nop 0
	v_mad_u64_u32 v[86:87], s[20:21], v86, v199, v[84:85]
	v_cvt_f32_i32_e32 v86, v86
	v_mul_f32_e32 v84, v193, v85
	v_mov_b32_e32 v87, 0
	v_fmac_f32_e32 v43, v84, v86
	v_mov_b32_e32 v84, 0
	v_dot4c_i32_i8_e32 v84, v198, v0
	v_dot4c_i32_i8_e32 v84, v200, v1
	v_mov_b32_e32 v1, 0
	v_dot4c_i32_i8_e32 v1, v203, v4
	v_dot4c_i32_i8_e32 v84, v201, v2
	;; [unrolled: 1-line block ×6, first 2 shown]
	v_mov_b32_e32 v86, 0
	v_mul_lo_u32 v0, v84, v208
	s_nop 0
	v_mad_u64_u32 v[0:1], s[20:21], v1, v209, v[0:1]
	v_cvt_f32_i32_e32 v0, v0
	v_mul_f32_e32 v1, v204, v85
	v_fmac_f32_e32 v41, v1, v0
	ds_read2_b32 v[84:85], v165 offset0:128 offset1:160
	ds_read_b128 v[0:3], v164 offset:4096
	ds_read_b128 v[4:7], v164 offset:4112
	s_waitcnt lgkmcnt(1)
	v_dot4c_i32_i8_e32 v86, v166, v0
	v_dot4c_i32_i8_e32 v86, v167, v1
	s_waitcnt lgkmcnt(0)
	v_dot4c_i32_i8_e32 v87, v171, v4
	v_dot4c_i32_i8_e32 v86, v168, v2
	;; [unrolled: 1-line block ×6, first 2 shown]
	s_nop 0
	v_mul_lo_u32 v86, v86, v175
	s_nop 0
	v_mad_u64_u32 v[86:87], s[20:21], v87, v177, v[86:87]
	v_cvt_f32_i32_e32 v86, v86
	v_mul_f32_e32 v87, v170, v84
	v_fmac_f32_e32 v39, v87, v86
	v_mov_b32_e32 v86, 0
	v_dot4c_i32_i8_e32 v86, v176, v0
	v_mov_b32_e32 v87, 0
	v_dot4c_i32_i8_e32 v86, v178, v1
	v_dot4c_i32_i8_e32 v87, v181, v4
	;; [unrolled: 1-line block ×7, first 2 shown]
	s_nop 0
	v_mul_lo_u32 v86, v86, v186
	s_nop 0
	v_mad_u64_u32 v[86:87], s[20:21], v87, v188, v[86:87]
	v_cvt_f32_i32_e32 v86, v86
	v_mul_f32_e32 v87, v182, v84
	v_fmac_f32_e32 v37, v87, v86
	v_mov_b32_e32 v86, 0
	v_dot4c_i32_i8_e32 v86, v187, v0
	v_mov_b32_e32 v87, 0
	v_dot4c_i32_i8_e32 v86, v189, v1
	v_dot4c_i32_i8_e32 v87, v192, v4
	;; [unrolled: 1-line block ×7, first 2 shown]
	s_nop 0
	v_mul_lo_u32 v86, v86, v197
	s_nop 0
	v_mad_u64_u32 v[86:87], s[20:21], v87, v199, v[86:87]
	v_cvt_f32_i32_e32 v86, v86
	v_mul_f32_e32 v87, v193, v84
	v_fmac_f32_e32 v35, v87, v86
	v_mov_b32_e32 v86, 0
	v_dot4c_i32_i8_e32 v86, v198, v0
	v_dot4c_i32_i8_e32 v86, v200, v1
	v_mov_b32_e32 v1, 0
	v_dot4c_i32_i8_e32 v1, v203, v4
	v_dot4c_i32_i8_e32 v86, v201, v2
	;; [unrolled: 1-line block ×6, first 2 shown]
	s_nop 0
	v_mul_lo_u32 v0, v86, v208
	v_mov_b32_e32 v86, 0
	v_mad_u64_u32 v[0:1], s[20:21], v1, v209, v[0:1]
	v_cvt_f32_i32_e32 v0, v0
	v_mul_f32_e32 v1, v204, v84
	v_mov_b32_e32 v84, 0
	v_fmac_f32_e32 v33, v1, v0
	ds_read_b128 v[0:3], v164 offset:5120
	ds_read_b128 v[4:7], v164 offset:5136
	s_waitcnt lgkmcnt(1)
	v_dot4c_i32_i8_e32 v84, v166, v0
	v_dot4c_i32_i8_e32 v84, v167, v1
	s_waitcnt lgkmcnt(0)
	v_dot4c_i32_i8_e32 v86, v171, v4
	v_dot4c_i32_i8_e32 v84, v168, v2
	;; [unrolled: 1-line block ×6, first 2 shown]
	s_nop 0
	v_mul_lo_u32 v84, v84, v175
	s_nop 0
	v_mad_u64_u32 v[86:87], s[20:21], v86, v177, v[84:85]
	v_cvt_f32_i32_e32 v86, v86
	v_mul_f32_e32 v84, v170, v85
	v_fmac_f32_e32 v31, v84, v86
	v_mov_b32_e32 v84, 0
	v_dot4c_i32_i8_e32 v84, v176, v0
	v_mov_b32_e32 v86, 0
	v_dot4c_i32_i8_e32 v84, v178, v1
	v_dot4c_i32_i8_e32 v86, v181, v4
	;; [unrolled: 1-line block ×7, first 2 shown]
	s_nop 0
	v_mul_lo_u32 v84, v84, v186
	s_nop 0
	v_mad_u64_u32 v[86:87], s[20:21], v86, v188, v[84:85]
	v_cvt_f32_i32_e32 v86, v86
	v_mul_f32_e32 v84, v182, v85
	v_fmac_f32_e32 v29, v84, v86
	v_mov_b32_e32 v84, 0
	v_dot4c_i32_i8_e32 v84, v187, v0
	v_mov_b32_e32 v86, 0
	v_dot4c_i32_i8_e32 v84, v189, v1
	v_dot4c_i32_i8_e32 v86, v192, v4
	;; [unrolled: 1-line block ×7, first 2 shown]
	s_nop 0
	v_mul_lo_u32 v84, v84, v197
	s_nop 0
	v_mad_u64_u32 v[86:87], s[20:21], v86, v199, v[84:85]
	v_cvt_f32_i32_e32 v86, v86
	v_mul_f32_e32 v84, v193, v85
	v_mov_b32_e32 v87, 0
	v_fmac_f32_e32 v27, v84, v86
	v_mov_b32_e32 v84, 0
	v_dot4c_i32_i8_e32 v84, v198, v0
	v_dot4c_i32_i8_e32 v84, v200, v1
	v_mov_b32_e32 v1, 0
	v_dot4c_i32_i8_e32 v1, v203, v4
	v_dot4c_i32_i8_e32 v84, v201, v2
	;; [unrolled: 1-line block ×6, first 2 shown]
	v_mov_b32_e32 v86, 0
	v_mul_lo_u32 v0, v84, v208
	s_nop 0
	v_mad_u64_u32 v[0:1], s[20:21], v1, v209, v[0:1]
	v_cvt_f32_i32_e32 v0, v0
	v_mul_f32_e32 v1, v204, v85
	v_fmac_f32_e32 v25, v1, v0
	ds_read2_b32 v[84:85], v165 offset0:192 offset1:224
	ds_read_b128 v[4:7], v164 offset:6144
	ds_read_b128 v[0:3], v164 offset:6160
	v_add_u32_e32 v165, 4, v165
	s_waitcnt lgkmcnt(1)
	v_dot4c_i32_i8_e32 v86, v166, v4
	v_dot4c_i32_i8_e32 v86, v167, v5
	s_waitcnt lgkmcnt(0)
	v_dot4c_i32_i8_e32 v87, v171, v0
	v_dot4c_i32_i8_e32 v86, v168, v6
	;; [unrolled: 1-line block ×6, first 2 shown]
	s_nop 0
	v_mul_lo_u32 v86, v86, v175
	s_nop 0
	v_mad_u64_u32 v[86:87], s[20:21], v87, v177, v[86:87]
	v_cvt_f32_i32_e32 v86, v86
	v_mul_f32_e32 v87, v170, v84
	v_fmac_f32_e32 v23, v87, v86
	v_mov_b32_e32 v86, 0
	v_dot4c_i32_i8_e32 v86, v176, v4
	v_mov_b32_e32 v87, 0
	v_dot4c_i32_i8_e32 v86, v178, v5
	v_dot4c_i32_i8_e32 v87, v181, v0
	;; [unrolled: 1-line block ×7, first 2 shown]
	s_nop 0
	v_mul_lo_u32 v86, v86, v186
	s_nop 0
	v_mad_u64_u32 v[86:87], s[20:21], v87, v188, v[86:87]
	v_cvt_f32_i32_e32 v86, v86
	v_mul_f32_e32 v87, v182, v84
	v_fmac_f32_e32 v21, v87, v86
	v_mov_b32_e32 v86, 0
	v_dot4c_i32_i8_e32 v86, v187, v4
	v_mov_b32_e32 v87, 0
	v_dot4c_i32_i8_e32 v86, v189, v5
	v_dot4c_i32_i8_e32 v87, v192, v0
	;; [unrolled: 1-line block ×7, first 2 shown]
	s_nop 0
	v_mul_lo_u32 v86, v86, v197
	s_nop 0
	v_mad_u64_u32 v[86:87], s[20:21], v87, v199, v[86:87]
	v_cvt_f32_i32_e32 v86, v86
	v_mul_f32_e32 v87, v193, v84
	v_fmac_f32_e32 v19, v87, v86
	v_mov_b32_e32 v86, 0
	v_dot4c_i32_i8_e32 v86, v198, v4
	v_dot4c_i32_i8_e32 v86, v200, v5
	v_mov_b32_e32 v5, 0
	v_dot4c_i32_i8_e32 v5, v203, v0
	v_dot4c_i32_i8_e32 v86, v201, v6
	;; [unrolled: 1-line block ×6, first 2 shown]
	s_nop 0
	v_mul_lo_u32 v4, v86, v208
	v_mov_b32_e32 v86, 0
	v_mad_u64_u32 v[0:1], s[20:21], v5, v209, v[4:5]
	v_cvt_f32_i32_e32 v0, v0
	v_mul_f32_e32 v1, v204, v84
	v_mov_b32_e32 v84, 0
	v_fmac_f32_e32 v17, v1, v0
	ds_read_b128 v[0:3], v164 offset:7168
	ds_read_b128 v[4:7], v164 offset:7184
	v_add_u32_e32 v164, 32, v164
	s_waitcnt lgkmcnt(1)
	v_dot4c_i32_i8_e32 v84, v166, v0
	v_dot4c_i32_i8_e32 v84, v167, v1
	s_waitcnt lgkmcnt(0)
	v_dot4c_i32_i8_e32 v86, v171, v4
	v_dot4c_i32_i8_e32 v84, v168, v2
	;; [unrolled: 1-line block ×6, first 2 shown]
	s_nop 0
	v_mul_lo_u32 v84, v84, v175
	s_nop 0
	v_mad_u64_u32 v[86:87], s[20:21], v86, v177, v[84:85]
	v_cvt_f32_i32_e32 v86, v86
	v_mul_f32_e32 v84, v170, v85
	v_fmac_f32_e32 v15, v84, v86
	v_mov_b32_e32 v84, 0
	v_dot4c_i32_i8_e32 v84, v176, v0
	v_mov_b32_e32 v86, 0
	v_dot4c_i32_i8_e32 v84, v178, v1
	v_dot4c_i32_i8_e32 v86, v181, v4
	;; [unrolled: 1-line block ×7, first 2 shown]
	s_nop 0
	v_mul_lo_u32 v84, v84, v186
	s_nop 0
	v_mad_u64_u32 v[86:87], s[20:21], v86, v188, v[84:85]
	v_cvt_f32_i32_e32 v86, v86
	v_mul_f32_e32 v84, v182, v85
	v_fmac_f32_e32 v13, v84, v86
	v_mov_b32_e32 v84, 0
	v_dot4c_i32_i8_e32 v84, v187, v0
	v_mov_b32_e32 v86, 0
	v_dot4c_i32_i8_e32 v84, v189, v1
	v_dot4c_i32_i8_e32 v86, v192, v4
	;; [unrolled: 1-line block ×7, first 2 shown]
	s_nop 0
	v_mul_lo_u32 v84, v84, v197
	s_nop 0
	v_mad_u64_u32 v[86:87], s[20:21], v86, v199, v[84:85]
	v_cvt_f32_i32_e32 v86, v86
	v_mul_f32_e32 v84, v193, v85
	v_fmac_f32_e32 v11, v84, v86
	v_mov_b32_e32 v84, 0
	v_dot4c_i32_i8_e32 v84, v198, v0
	v_dot4c_i32_i8_e32 v84, v200, v1
	v_mov_b32_e32 v1, 0
	v_dot4c_i32_i8_e32 v1, v203, v4
	v_dot4c_i32_i8_e32 v84, v201, v2
	;; [unrolled: 1-line block ×6, first 2 shown]
	s_nop 0
	v_mul_lo_u32 v0, v84, v208
	s_nop 0
	v_mad_u64_u32 v[0:1], s[20:21], v1, v209, v[0:1]
	v_cvt_f32_i32_e32 v0, v0
	v_mul_f32_e32 v1, v204, v85
	s_mov_b32 s20, s19
	v_fmac_f32_e32 v9, v1, v0
	s_cbranch_scc1 .LBB169_14
; %bb.15:                               ;   in Loop: Header=BB169_6 Depth=1
	s_barrier
	s_branch .LBB169_5
.LBB169_16:
	v_mov_b32_e32 v1, v51
.LBB169_17:
	v_cmp_gt_u32_e32 vcc, s8, v89
	s_and_saveexec_b64 s[0:1], vcc
	s_cbranch_execz .LBB169_68
; %bb.18:
	v_add_u32_e32 v0, s6, v47
	v_mul_lo_u32 v5, v89, s10
	v_cmp_gt_u32_e32 vcc, s10, v0
	s_and_saveexec_b64 s[2:3], vcc
	s_cbranch_execz .LBB169_20
; %bb.19:
	v_bfe_u32 v2, v120, 16, 1
	s_movk_i32 s0, 0x7fff
	v_add3_u32 v2, v120, v2, s0
	v_lshrrev_b32_e32 v2, 16, v2
	v_mov_b32_e32 v3, 0x7fc0
	v_cmp_o_f32_e64 s[0:1], v120, v120
	v_cndmask_b32_e64 v4, v3, v2, s[0:1]
	v_add_u32_e32 v2, v0, v5
	v_mov_b32_e32 v3, 0
	v_lshlrev_b64 v[2:3], 1, v[2:3]
	s_waitcnt lgkmcnt(0)
	v_mov_b32_e32 v6, s13
	v_add_co_u32_e64 v2, s[0:1], s12, v2
	v_addc_co_u32_e64 v3, s[0:1], v6, v3, s[0:1]
	global_store_short v[2:3], v4, off
.LBB169_20:
	s_or_b64 exec, exec, s[2:3]
	v_add_u32_e32 v2, 32, v0
	v_cmp_gt_u32_e64 s[0:1], s10, v2
	s_and_saveexec_b64 s[4:5], s[0:1]
	s_cbranch_execz .LBB169_22
; %bb.21:
	v_bfe_u32 v3, v109, 16, 1
	s_movk_i32 s2, 0x7fff
	v_add3_u32 v3, v109, v3, s2
	v_add_u32_e32 v6, v2, v5
	v_mov_b32_e32 v7, 0
	v_lshrrev_b32_e32 v3, 16, v3
	v_mov_b32_e32 v4, 0x7fc0
	v_cmp_o_f32_e64 s[2:3], v109, v109
	v_lshlrev_b64 v[6:7], 1, v[6:7]
	v_cndmask_b32_e64 v3, v4, v3, s[2:3]
	s_waitcnt lgkmcnt(0)
	v_mov_b32_e32 v4, s13
	v_add_co_u32_e64 v6, s[2:3], s12, v6
	v_addc_co_u32_e64 v7, s[2:3], v4, v7, s[2:3]
	global_store_short v[6:7], v3, off
.LBB169_22:
	s_or_b64 exec, exec, s[4:5]
	v_add_u32_e32 v3, 64, v0
	v_cmp_gt_u32_e64 s[2:3], s10, v3
	s_and_saveexec_b64 s[6:7], s[2:3]
	s_cbranch_execz .LBB169_24
; %bb.23:
	v_bfe_u32 v4, v104, 16, 1
	s_movk_i32 s4, 0x7fff
	v_add3_u32 v4, v104, v4, s4
	v_lshrrev_b32_e32 v4, 16, v4
	v_mov_b32_e32 v6, 0x7fc0
	v_cmp_o_f32_e64 s[4:5], v104, v104
	v_cndmask_b32_e64 v4, v6, v4, s[4:5]
	v_add_u32_e32 v6, v3, v5
	v_mov_b32_e32 v7, 0
	v_lshlrev_b64 v[6:7], 1, v[6:7]
	s_waitcnt lgkmcnt(0)
	v_mov_b32_e32 v8, s13
	v_add_co_u32_e64 v6, s[4:5], s12, v6
	v_addc_co_u32_e64 v7, s[4:5], v8, v7, s[4:5]
	global_store_short v[6:7], v4, off
.LBB169_24:
	s_or_b64 exec, exec, s[6:7]
	v_add_u32_e32 v4, 0x60, v0
	v_cmp_gt_u32_e64 s[4:5], s10, v4
	s_and_saveexec_b64 s[14:15], s[4:5]
	s_cbranch_execz .LBB169_26
; %bb.25:
	v_bfe_u32 v6, v102, 16, 1
	s_movk_i32 s6, 0x7fff
	v_add3_u32 v6, v102, v6, s6
	v_lshrrev_b32_e32 v6, 16, v6
	v_mov_b32_e32 v7, 0x7fc0
	v_cmp_o_f32_e64 s[6:7], v102, v102
	v_cndmask_b32_e64 v8, v7, v6, s[6:7]
	v_add_u32_e32 v6, v4, v5
	v_mov_b32_e32 v7, 0
	v_lshlrev_b64 v[6:7], 1, v[6:7]
	s_waitcnt lgkmcnt(0)
	v_mov_b32_e32 v5, s13
	v_add_co_u32_e64 v6, s[6:7], s12, v6
	v_addc_co_u32_e64 v7, s[6:7], v5, v7, s[6:7]
	global_store_short v[6:7], v8, off
.LBB169_26:
	s_or_b64 exec, exec, s[14:15]
	v_add3_u32 v5, v1, s11, 8
	v_cmp_gt_u32_e64 s[6:7], s8, v5
	s_and_b64 exec, exec, s[6:7]
	s_cbranch_execz .LBB169_68
; %bb.27:
	v_mul_lo_u32 v5, v5, s10
	s_and_saveexec_b64 s[14:15], vcc
	s_cbranch_execnz .LBB169_69
; %bb.28:
	s_or_b64 exec, exec, s[14:15]
	s_and_saveexec_b64 s[14:15], s[0:1]
	s_cbranch_execnz .LBB169_70
.LBB169_29:
	s_or_b64 exec, exec, s[14:15]
	s_and_saveexec_b64 s[14:15], s[2:3]
	s_cbranch_execnz .LBB169_71
.LBB169_30:
	s_or_b64 exec, exec, s[14:15]
	s_and_saveexec_b64 s[14:15], s[4:5]
	s_cbranch_execz .LBB169_32
.LBB169_31:
	v_bfe_u32 v6, v75, 16, 1
	s_movk_i32 s6, 0x7fff
	v_add3_u32 v6, v75, v6, s6
	v_lshrrev_b32_e32 v6, 16, v6
	v_mov_b32_e32 v7, 0x7fc0
	v_cmp_o_f32_e64 s[6:7], v75, v75
	v_cndmask_b32_e64 v8, v7, v6, s[6:7]
	v_add_u32_e32 v6, v5, v4
	v_mov_b32_e32 v7, 0
	v_lshlrev_b64 v[6:7], 1, v[6:7]
	s_waitcnt lgkmcnt(0)
	v_mov_b32_e32 v5, s13
	v_add_co_u32_e64 v6, s[6:7], s12, v6
	v_addc_co_u32_e64 v7, s[6:7], v5, v7, s[6:7]
	global_store_short v[6:7], v8, off
.LBB169_32:
	s_or_b64 exec, exec, s[14:15]
	v_add3_u32 v5, v1, s11, 16
	v_cmp_gt_u32_e64 s[6:7], s8, v5
	s_and_b64 exec, exec, s[6:7]
	s_cbranch_execz .LBB169_68
; %bb.33:
	v_mul_lo_u32 v5, v5, s10
	s_and_saveexec_b64 s[14:15], vcc
	s_cbranch_execnz .LBB169_72
; %bb.34:
	s_or_b64 exec, exec, s[14:15]
	s_and_saveexec_b64 s[14:15], s[0:1]
	s_cbranch_execnz .LBB169_73
.LBB169_35:
	s_or_b64 exec, exec, s[14:15]
	s_and_saveexec_b64 s[14:15], s[2:3]
	s_cbranch_execnz .LBB169_74
.LBB169_36:
	s_or_b64 exec, exec, s[14:15]
	s_and_saveexec_b64 s[14:15], s[4:5]
	s_cbranch_execz .LBB169_38
.LBB169_37:
	v_bfe_u32 v6, v53, 16, 1
	s_movk_i32 s6, 0x7fff
	v_add3_u32 v6, v53, v6, s6
	v_lshrrev_b32_e32 v6, 16, v6
	v_mov_b32_e32 v7, 0x7fc0
	v_cmp_o_f32_e64 s[6:7], v53, v53
	v_cndmask_b32_e64 v8, v7, v6, s[6:7]
	v_add_u32_e32 v6, v5, v4
	v_mov_b32_e32 v7, 0
	v_lshlrev_b64 v[6:7], 1, v[6:7]
	s_waitcnt lgkmcnt(0)
	v_mov_b32_e32 v5, s13
	v_add_co_u32_e64 v6, s[6:7], s12, v6
	v_addc_co_u32_e64 v7, s[6:7], v5, v7, s[6:7]
	global_store_short v[6:7], v8, off
.LBB169_38:
	s_or_b64 exec, exec, s[14:15]
	v_add3_u32 v5, v1, s11, 24
	v_cmp_gt_u32_e64 s[6:7], s8, v5
	s_and_b64 exec, exec, s[6:7]
	s_cbranch_execz .LBB169_68
; %bb.39:
	v_mul_lo_u32 v5, v5, s10
	s_and_saveexec_b64 s[14:15], vcc
	s_cbranch_execnz .LBB169_75
; %bb.40:
	s_or_b64 exec, exec, s[14:15]
	s_and_saveexec_b64 s[14:15], s[0:1]
	s_cbranch_execnz .LBB169_76
.LBB169_41:
	s_or_b64 exec, exec, s[14:15]
	s_and_saveexec_b64 s[14:15], s[2:3]
	s_cbranch_execnz .LBB169_77
.LBB169_42:
	s_or_b64 exec, exec, s[14:15]
	s_and_saveexec_b64 s[14:15], s[4:5]
	s_cbranch_execz .LBB169_44
.LBB169_43:
	v_bfe_u32 v6, v41, 16, 1
	s_movk_i32 s6, 0x7fff
	v_add3_u32 v6, v41, v6, s6
	v_lshrrev_b32_e32 v6, 16, v6
	v_mov_b32_e32 v7, 0x7fc0
	v_cmp_o_f32_e64 s[6:7], v41, v41
	v_cndmask_b32_e64 v8, v7, v6, s[6:7]
	v_add_u32_e32 v6, v5, v4
	v_mov_b32_e32 v7, 0
	v_lshlrev_b64 v[6:7], 1, v[6:7]
	s_waitcnt lgkmcnt(0)
	v_mov_b32_e32 v5, s13
	v_add_co_u32_e64 v6, s[6:7], s12, v6
	v_addc_co_u32_e64 v7, s[6:7], v5, v7, s[6:7]
	global_store_short v[6:7], v8, off
.LBB169_44:
	s_or_b64 exec, exec, s[14:15]
	v_add3_u32 v5, v1, s11, 32
	v_cmp_gt_u32_e64 s[6:7], s8, v5
	s_and_b64 exec, exec, s[6:7]
	s_cbranch_execz .LBB169_68
; %bb.45:
	v_mul_lo_u32 v5, v5, s10
	s_and_saveexec_b64 s[14:15], vcc
	s_cbranch_execnz .LBB169_78
; %bb.46:
	s_or_b64 exec, exec, s[14:15]
	s_and_saveexec_b64 s[14:15], s[0:1]
	s_cbranch_execnz .LBB169_79
.LBB169_47:
	s_or_b64 exec, exec, s[14:15]
	s_and_saveexec_b64 s[14:15], s[2:3]
	s_cbranch_execnz .LBB169_80
.LBB169_48:
	s_or_b64 exec, exec, s[14:15]
	s_and_saveexec_b64 s[14:15], s[4:5]
	s_cbranch_execz .LBB169_50
.LBB169_49:
	v_bfe_u32 v6, v33, 16, 1
	s_movk_i32 s6, 0x7fff
	v_add3_u32 v6, v33, v6, s6
	v_lshrrev_b32_e32 v6, 16, v6
	v_mov_b32_e32 v7, 0x7fc0
	v_cmp_o_f32_e64 s[6:7], v33, v33
	v_cndmask_b32_e64 v8, v7, v6, s[6:7]
	v_add_u32_e32 v6, v5, v4
	v_mov_b32_e32 v7, 0
	v_lshlrev_b64 v[6:7], 1, v[6:7]
	s_waitcnt lgkmcnt(0)
	v_mov_b32_e32 v5, s13
	v_add_co_u32_e64 v6, s[6:7], s12, v6
	v_addc_co_u32_e64 v7, s[6:7], v5, v7, s[6:7]
	global_store_short v[6:7], v8, off
.LBB169_50:
	s_or_b64 exec, exec, s[14:15]
	v_add3_u32 v5, v1, s11, 40
	v_cmp_gt_u32_e64 s[6:7], s8, v5
	s_and_b64 exec, exec, s[6:7]
	s_cbranch_execz .LBB169_68
; %bb.51:
	v_mul_lo_u32 v5, v5, s10
	s_and_saveexec_b64 s[14:15], vcc
	s_cbranch_execnz .LBB169_81
; %bb.52:
	s_or_b64 exec, exec, s[14:15]
	s_and_saveexec_b64 s[14:15], s[0:1]
	s_cbranch_execnz .LBB169_82
.LBB169_53:
	s_or_b64 exec, exec, s[14:15]
	s_and_saveexec_b64 s[14:15], s[2:3]
	s_cbranch_execnz .LBB169_83
.LBB169_54:
	s_or_b64 exec, exec, s[14:15]
	s_and_saveexec_b64 s[14:15], s[4:5]
	s_cbranch_execz .LBB169_56
.LBB169_55:
	v_bfe_u32 v6, v25, 16, 1
	s_movk_i32 s6, 0x7fff
	v_add3_u32 v6, v25, v6, s6
	v_lshrrev_b32_e32 v6, 16, v6
	v_mov_b32_e32 v7, 0x7fc0
	v_cmp_o_f32_e64 s[6:7], v25, v25
	v_cndmask_b32_e64 v8, v7, v6, s[6:7]
	v_add_u32_e32 v6, v5, v4
	v_mov_b32_e32 v7, 0
	v_lshlrev_b64 v[6:7], 1, v[6:7]
	s_waitcnt lgkmcnt(0)
	v_mov_b32_e32 v5, s13
	v_add_co_u32_e64 v6, s[6:7], s12, v6
	v_addc_co_u32_e64 v7, s[6:7], v5, v7, s[6:7]
	global_store_short v[6:7], v8, off
.LBB169_56:
	s_or_b64 exec, exec, s[14:15]
	v_add3_u32 v5, v1, s11, 48
	v_cmp_gt_u32_e64 s[6:7], s8, v5
	s_and_b64 exec, exec, s[6:7]
	s_cbranch_execz .LBB169_68
; %bb.57:
	v_mul_lo_u32 v5, v5, s10
	s_and_saveexec_b64 s[14:15], vcc
	s_cbranch_execnz .LBB169_84
; %bb.58:
	s_or_b64 exec, exec, s[14:15]
	s_and_saveexec_b64 s[14:15], s[0:1]
	s_cbranch_execnz .LBB169_85
.LBB169_59:
	s_or_b64 exec, exec, s[14:15]
	s_and_saveexec_b64 s[14:15], s[2:3]
	s_cbranch_execnz .LBB169_86
.LBB169_60:
	s_or_b64 exec, exec, s[14:15]
	s_and_saveexec_b64 s[14:15], s[4:5]
	s_cbranch_execz .LBB169_62
.LBB169_61:
	v_bfe_u32 v6, v17, 16, 1
	s_movk_i32 s6, 0x7fff
	v_add3_u32 v6, v17, v6, s6
	v_lshrrev_b32_e32 v6, 16, v6
	v_mov_b32_e32 v7, 0x7fc0
	v_cmp_o_f32_e64 s[6:7], v17, v17
	v_cndmask_b32_e64 v8, v7, v6, s[6:7]
	v_add_u32_e32 v6, v5, v4
	v_mov_b32_e32 v7, 0
	v_lshlrev_b64 v[6:7], 1, v[6:7]
	s_waitcnt lgkmcnt(0)
	v_mov_b32_e32 v5, s13
	v_add_co_u32_e64 v6, s[6:7], s12, v6
	v_addc_co_u32_e64 v7, s[6:7], v5, v7, s[6:7]
	global_store_short v[6:7], v8, off
.LBB169_62:
	s_or_b64 exec, exec, s[14:15]
	v_add3_u32 v1, v1, s11, 56
	v_cmp_gt_u32_e64 s[6:7], s8, v1
	s_and_b64 exec, exec, s[6:7]
	s_cbranch_execz .LBB169_68
; %bb.63:
	v_mul_lo_u32 v1, v1, s10
	s_and_saveexec_b64 s[6:7], vcc
	s_cbranch_execnz .LBB169_87
; %bb.64:
	s_or_b64 exec, exec, s[6:7]
	s_and_saveexec_b64 s[6:7], s[0:1]
	s_cbranch_execnz .LBB169_88
.LBB169_65:
	s_or_b64 exec, exec, s[6:7]
	s_and_saveexec_b64 s[0:1], s[2:3]
	s_cbranch_execnz .LBB169_89
.LBB169_66:
	s_or_b64 exec, exec, s[0:1]
	s_and_b64 exec, exec, s[4:5]
	s_cbranch_execz .LBB169_68
.LBB169_67:
	v_bfe_u32 v0, v9, 16, 1
	s_movk_i32 s0, 0x7fff
	v_add3_u32 v0, v9, v0, s0
	v_lshrrev_b32_e32 v0, 16, v0
	v_mov_b32_e32 v2, 0x7fc0
	v_cmp_o_f32_e32 vcc, v9, v9
	v_cndmask_b32_e32 v2, v2, v0, vcc
	v_add_u32_e32 v0, v1, v4
	v_mov_b32_e32 v1, 0
	v_lshlrev_b64 v[0:1], 1, v[0:1]
	s_waitcnt lgkmcnt(0)
	v_mov_b32_e32 v3, s13
	v_add_co_u32_e32 v0, vcc, s12, v0
	v_addc_co_u32_e32 v1, vcc, v3, v1, vcc
	global_store_short v[0:1], v2, off
.LBB169_68:
	s_endpgm
.LBB169_69:
	v_bfe_u32 v6, v99, 16, 1
	s_movk_i32 s6, 0x7fff
	v_add3_u32 v6, v99, v6, s6
	v_lshrrev_b32_e32 v6, 16, v6
	v_mov_b32_e32 v7, 0x7fc0
	v_cmp_o_f32_e64 s[6:7], v99, v99
	v_cndmask_b32_e64 v8, v7, v6, s[6:7]
	v_add_u32_e32 v6, v5, v0
	v_mov_b32_e32 v7, 0
	v_lshlrev_b64 v[6:7], 1, v[6:7]
	s_waitcnt lgkmcnt(0)
	v_mov_b32_e32 v10, s13
	v_add_co_u32_e64 v6, s[6:7], s12, v6
	v_addc_co_u32_e64 v7, s[6:7], v10, v7, s[6:7]
	global_store_short v[6:7], v8, off
	s_or_b64 exec, exec, s[14:15]
	s_and_saveexec_b64 s[14:15], s[0:1]
	s_cbranch_execz .LBB169_29
.LBB169_70:
	v_bfe_u32 v6, v98, 16, 1
	s_movk_i32 s6, 0x7fff
	v_add3_u32 v6, v98, v6, s6
	v_lshrrev_b32_e32 v6, 16, v6
	v_mov_b32_e32 v7, 0x7fc0
	v_cmp_o_f32_e64 s[6:7], v98, v98
	v_cndmask_b32_e64 v8, v7, v6, s[6:7]
	v_add_u32_e32 v6, v5, v2
	v_mov_b32_e32 v7, 0
	v_lshlrev_b64 v[6:7], 1, v[6:7]
	s_waitcnt lgkmcnt(0)
	v_mov_b32_e32 v10, s13
	v_add_co_u32_e64 v6, s[6:7], s12, v6
	v_addc_co_u32_e64 v7, s[6:7], v10, v7, s[6:7]
	global_store_short v[6:7], v8, off
	s_or_b64 exec, exec, s[14:15]
	s_and_saveexec_b64 s[14:15], s[2:3]
	s_cbranch_execz .LBB169_30
.LBB169_71:
	v_bfe_u32 v6, v83, 16, 1
	s_movk_i32 s6, 0x7fff
	v_add3_u32 v6, v83, v6, s6
	v_lshrrev_b32_e32 v6, 16, v6
	v_mov_b32_e32 v7, 0x7fc0
	v_cmp_o_f32_e64 s[6:7], v83, v83
	v_cndmask_b32_e64 v8, v7, v6, s[6:7]
	v_add_u32_e32 v6, v5, v3
	v_mov_b32_e32 v7, 0
	v_lshlrev_b64 v[6:7], 1, v[6:7]
	s_waitcnt lgkmcnt(0)
	v_mov_b32_e32 v10, s13
	v_add_co_u32_e64 v6, s[6:7], s12, v6
	v_addc_co_u32_e64 v7, s[6:7], v10, v7, s[6:7]
	global_store_short v[6:7], v8, off
	s_or_b64 exec, exec, s[14:15]
	s_and_saveexec_b64 s[14:15], s[4:5]
	s_cbranch_execnz .LBB169_31
	s_branch .LBB169_32
.LBB169_72:
	v_bfe_u32 v6, v59, 16, 1
	s_movk_i32 s6, 0x7fff
	v_add3_u32 v6, v59, v6, s6
	v_lshrrev_b32_e32 v6, 16, v6
	v_mov_b32_e32 v7, 0x7fc0
	v_cmp_o_f32_e64 s[6:7], v59, v59
	v_cndmask_b32_e64 v8, v7, v6, s[6:7]
	v_add_u32_e32 v6, v5, v0
	v_mov_b32_e32 v7, 0
	v_lshlrev_b64 v[6:7], 1, v[6:7]
	s_waitcnt lgkmcnt(0)
	v_mov_b32_e32 v10, s13
	v_add_co_u32_e64 v6, s[6:7], s12, v6
	v_addc_co_u32_e64 v7, s[6:7], v10, v7, s[6:7]
	global_store_short v[6:7], v8, off
	s_or_b64 exec, exec, s[14:15]
	s_and_saveexec_b64 s[14:15], s[0:1]
	s_cbranch_execz .LBB169_35
.LBB169_73:
	v_bfe_u32 v6, v57, 16, 1
	s_movk_i32 s6, 0x7fff
	v_add3_u32 v6, v57, v6, s6
	v_lshrrev_b32_e32 v6, 16, v6
	v_mov_b32_e32 v7, 0x7fc0
	v_cmp_o_f32_e64 s[6:7], v57, v57
	v_cndmask_b32_e64 v8, v7, v6, s[6:7]
	v_add_u32_e32 v6, v5, v2
	v_mov_b32_e32 v7, 0
	v_lshlrev_b64 v[6:7], 1, v[6:7]
	s_waitcnt lgkmcnt(0)
	v_mov_b32_e32 v10, s13
	v_add_co_u32_e64 v6, s[6:7], s12, v6
	v_addc_co_u32_e64 v7, s[6:7], v10, v7, s[6:7]
	global_store_short v[6:7], v8, off
	s_or_b64 exec, exec, s[14:15]
	s_and_saveexec_b64 s[14:15], s[2:3]
	s_cbranch_execz .LBB169_36
.LBB169_74:
	v_bfe_u32 v6, v55, 16, 1
	s_movk_i32 s6, 0x7fff
	v_add3_u32 v6, v55, v6, s6
	v_lshrrev_b32_e32 v6, 16, v6
	v_mov_b32_e32 v7, 0x7fc0
	v_cmp_o_f32_e64 s[6:7], v55, v55
	v_cndmask_b32_e64 v8, v7, v6, s[6:7]
	v_add_u32_e32 v6, v5, v3
	v_mov_b32_e32 v7, 0
	v_lshlrev_b64 v[6:7], 1, v[6:7]
	s_waitcnt lgkmcnt(0)
	v_mov_b32_e32 v10, s13
	v_add_co_u32_e64 v6, s[6:7], s12, v6
	v_addc_co_u32_e64 v7, s[6:7], v10, v7, s[6:7]
	global_store_short v[6:7], v8, off
	s_or_b64 exec, exec, s[14:15]
	s_and_saveexec_b64 s[14:15], s[4:5]
	s_cbranch_execnz .LBB169_37
	s_branch .LBB169_38
.LBB169_75:
	v_bfe_u32 v6, v49, 16, 1
	s_movk_i32 s6, 0x7fff
	v_add3_u32 v6, v49, v6, s6
	v_lshrrev_b32_e32 v6, 16, v6
	v_mov_b32_e32 v7, 0x7fc0
	v_cmp_o_f32_e64 s[6:7], v49, v49
	v_cndmask_b32_e64 v8, v7, v6, s[6:7]
	v_add_u32_e32 v6, v5, v0
	v_mov_b32_e32 v7, 0
	v_lshlrev_b64 v[6:7], 1, v[6:7]
	s_waitcnt lgkmcnt(0)
	v_mov_b32_e32 v10, s13
	v_add_co_u32_e64 v6, s[6:7], s12, v6
	v_addc_co_u32_e64 v7, s[6:7], v10, v7, s[6:7]
	global_store_short v[6:7], v8, off
	s_or_b64 exec, exec, s[14:15]
	s_and_saveexec_b64 s[14:15], s[0:1]
	s_cbranch_execz .LBB169_41
.LBB169_76:
	v_bfe_u32 v6, v45, 16, 1
	s_movk_i32 s6, 0x7fff
	v_add3_u32 v6, v45, v6, s6
	v_lshrrev_b32_e32 v6, 16, v6
	v_mov_b32_e32 v7, 0x7fc0
	v_cmp_o_f32_e64 s[6:7], v45, v45
	v_cndmask_b32_e64 v8, v7, v6, s[6:7]
	v_add_u32_e32 v6, v5, v2
	v_mov_b32_e32 v7, 0
	v_lshlrev_b64 v[6:7], 1, v[6:7]
	s_waitcnt lgkmcnt(0)
	v_mov_b32_e32 v10, s13
	v_add_co_u32_e64 v6, s[6:7], s12, v6
	v_addc_co_u32_e64 v7, s[6:7], v10, v7, s[6:7]
	global_store_short v[6:7], v8, off
	s_or_b64 exec, exec, s[14:15]
	s_and_saveexec_b64 s[14:15], s[2:3]
	s_cbranch_execz .LBB169_42
.LBB169_77:
	v_bfe_u32 v6, v43, 16, 1
	s_movk_i32 s6, 0x7fff
	v_add3_u32 v6, v43, v6, s6
	v_lshrrev_b32_e32 v6, 16, v6
	v_mov_b32_e32 v7, 0x7fc0
	v_cmp_o_f32_e64 s[6:7], v43, v43
	v_cndmask_b32_e64 v8, v7, v6, s[6:7]
	v_add_u32_e32 v6, v5, v3
	v_mov_b32_e32 v7, 0
	v_lshlrev_b64 v[6:7], 1, v[6:7]
	s_waitcnt lgkmcnt(0)
	v_mov_b32_e32 v10, s13
	v_add_co_u32_e64 v6, s[6:7], s12, v6
	v_addc_co_u32_e64 v7, s[6:7], v10, v7, s[6:7]
	global_store_short v[6:7], v8, off
	s_or_b64 exec, exec, s[14:15]
	s_and_saveexec_b64 s[14:15], s[4:5]
	s_cbranch_execnz .LBB169_43
	s_branch .LBB169_44
.LBB169_78:
	v_bfe_u32 v6, v39, 16, 1
	s_movk_i32 s6, 0x7fff
	v_add3_u32 v6, v39, v6, s6
	v_lshrrev_b32_e32 v6, 16, v6
	v_mov_b32_e32 v7, 0x7fc0
	v_cmp_o_f32_e64 s[6:7], v39, v39
	v_cndmask_b32_e64 v8, v7, v6, s[6:7]
	v_add_u32_e32 v6, v5, v0
	v_mov_b32_e32 v7, 0
	v_lshlrev_b64 v[6:7], 1, v[6:7]
	s_waitcnt lgkmcnt(0)
	v_mov_b32_e32 v10, s13
	v_add_co_u32_e64 v6, s[6:7], s12, v6
	v_addc_co_u32_e64 v7, s[6:7], v10, v7, s[6:7]
	global_store_short v[6:7], v8, off
	s_or_b64 exec, exec, s[14:15]
	s_and_saveexec_b64 s[14:15], s[0:1]
	s_cbranch_execz .LBB169_47
.LBB169_79:
	v_bfe_u32 v6, v37, 16, 1
	s_movk_i32 s6, 0x7fff
	v_add3_u32 v6, v37, v6, s6
	v_lshrrev_b32_e32 v6, 16, v6
	v_mov_b32_e32 v7, 0x7fc0
	v_cmp_o_f32_e64 s[6:7], v37, v37
	v_cndmask_b32_e64 v8, v7, v6, s[6:7]
	v_add_u32_e32 v6, v5, v2
	v_mov_b32_e32 v7, 0
	v_lshlrev_b64 v[6:7], 1, v[6:7]
	s_waitcnt lgkmcnt(0)
	v_mov_b32_e32 v10, s13
	v_add_co_u32_e64 v6, s[6:7], s12, v6
	v_addc_co_u32_e64 v7, s[6:7], v10, v7, s[6:7]
	global_store_short v[6:7], v8, off
	s_or_b64 exec, exec, s[14:15]
	s_and_saveexec_b64 s[14:15], s[2:3]
	s_cbranch_execz .LBB169_48
.LBB169_80:
	v_bfe_u32 v6, v35, 16, 1
	s_movk_i32 s6, 0x7fff
	v_add3_u32 v6, v35, v6, s6
	v_lshrrev_b32_e32 v6, 16, v6
	v_mov_b32_e32 v7, 0x7fc0
	v_cmp_o_f32_e64 s[6:7], v35, v35
	v_cndmask_b32_e64 v8, v7, v6, s[6:7]
	v_add_u32_e32 v6, v5, v3
	v_mov_b32_e32 v7, 0
	v_lshlrev_b64 v[6:7], 1, v[6:7]
	s_waitcnt lgkmcnt(0)
	v_mov_b32_e32 v10, s13
	v_add_co_u32_e64 v6, s[6:7], s12, v6
	v_addc_co_u32_e64 v7, s[6:7], v10, v7, s[6:7]
	global_store_short v[6:7], v8, off
	s_or_b64 exec, exec, s[14:15]
	s_and_saveexec_b64 s[14:15], s[4:5]
	s_cbranch_execnz .LBB169_49
	s_branch .LBB169_50
.LBB169_81:
	v_bfe_u32 v6, v31, 16, 1
	s_movk_i32 s6, 0x7fff
	v_add3_u32 v6, v31, v6, s6
	v_lshrrev_b32_e32 v6, 16, v6
	v_mov_b32_e32 v7, 0x7fc0
	v_cmp_o_f32_e64 s[6:7], v31, v31
	v_cndmask_b32_e64 v8, v7, v6, s[6:7]
	v_add_u32_e32 v6, v5, v0
	v_mov_b32_e32 v7, 0
	v_lshlrev_b64 v[6:7], 1, v[6:7]
	s_waitcnt lgkmcnt(0)
	v_mov_b32_e32 v10, s13
	v_add_co_u32_e64 v6, s[6:7], s12, v6
	v_addc_co_u32_e64 v7, s[6:7], v10, v7, s[6:7]
	global_store_short v[6:7], v8, off
	s_or_b64 exec, exec, s[14:15]
	s_and_saveexec_b64 s[14:15], s[0:1]
	s_cbranch_execz .LBB169_53
.LBB169_82:
	v_bfe_u32 v6, v29, 16, 1
	s_movk_i32 s6, 0x7fff
	v_add3_u32 v6, v29, v6, s6
	v_lshrrev_b32_e32 v6, 16, v6
	v_mov_b32_e32 v7, 0x7fc0
	v_cmp_o_f32_e64 s[6:7], v29, v29
	v_cndmask_b32_e64 v8, v7, v6, s[6:7]
	v_add_u32_e32 v6, v5, v2
	v_mov_b32_e32 v7, 0
	v_lshlrev_b64 v[6:7], 1, v[6:7]
	s_waitcnt lgkmcnt(0)
	v_mov_b32_e32 v10, s13
	v_add_co_u32_e64 v6, s[6:7], s12, v6
	v_addc_co_u32_e64 v7, s[6:7], v10, v7, s[6:7]
	global_store_short v[6:7], v8, off
	s_or_b64 exec, exec, s[14:15]
	s_and_saveexec_b64 s[14:15], s[2:3]
	s_cbranch_execz .LBB169_54
.LBB169_83:
	v_bfe_u32 v6, v27, 16, 1
	s_movk_i32 s6, 0x7fff
	v_add3_u32 v6, v27, v6, s6
	v_lshrrev_b32_e32 v6, 16, v6
	v_mov_b32_e32 v7, 0x7fc0
	v_cmp_o_f32_e64 s[6:7], v27, v27
	v_cndmask_b32_e64 v8, v7, v6, s[6:7]
	v_add_u32_e32 v6, v5, v3
	v_mov_b32_e32 v7, 0
	v_lshlrev_b64 v[6:7], 1, v[6:7]
	s_waitcnt lgkmcnt(0)
	v_mov_b32_e32 v10, s13
	v_add_co_u32_e64 v6, s[6:7], s12, v6
	v_addc_co_u32_e64 v7, s[6:7], v10, v7, s[6:7]
	global_store_short v[6:7], v8, off
	s_or_b64 exec, exec, s[14:15]
	s_and_saveexec_b64 s[14:15], s[4:5]
	s_cbranch_execnz .LBB169_55
	s_branch .LBB169_56
.LBB169_84:
	v_bfe_u32 v6, v23, 16, 1
	s_movk_i32 s6, 0x7fff
	v_add3_u32 v6, v23, v6, s6
	v_lshrrev_b32_e32 v6, 16, v6
	v_mov_b32_e32 v7, 0x7fc0
	v_cmp_o_f32_e64 s[6:7], v23, v23
	v_cndmask_b32_e64 v8, v7, v6, s[6:7]
	v_add_u32_e32 v6, v5, v0
	v_mov_b32_e32 v7, 0
	v_lshlrev_b64 v[6:7], 1, v[6:7]
	s_waitcnt lgkmcnt(0)
	v_mov_b32_e32 v10, s13
	v_add_co_u32_e64 v6, s[6:7], s12, v6
	v_addc_co_u32_e64 v7, s[6:7], v10, v7, s[6:7]
	global_store_short v[6:7], v8, off
	s_or_b64 exec, exec, s[14:15]
	s_and_saveexec_b64 s[14:15], s[0:1]
	s_cbranch_execz .LBB169_59
.LBB169_85:
	v_bfe_u32 v6, v21, 16, 1
	s_movk_i32 s6, 0x7fff
	v_add3_u32 v6, v21, v6, s6
	v_lshrrev_b32_e32 v6, 16, v6
	v_mov_b32_e32 v7, 0x7fc0
	v_cmp_o_f32_e64 s[6:7], v21, v21
	v_cndmask_b32_e64 v8, v7, v6, s[6:7]
	v_add_u32_e32 v6, v5, v2
	v_mov_b32_e32 v7, 0
	v_lshlrev_b64 v[6:7], 1, v[6:7]
	s_waitcnt lgkmcnt(0)
	v_mov_b32_e32 v10, s13
	v_add_co_u32_e64 v6, s[6:7], s12, v6
	v_addc_co_u32_e64 v7, s[6:7], v10, v7, s[6:7]
	global_store_short v[6:7], v8, off
	s_or_b64 exec, exec, s[14:15]
	s_and_saveexec_b64 s[14:15], s[2:3]
	s_cbranch_execz .LBB169_60
.LBB169_86:
	v_bfe_u32 v6, v19, 16, 1
	s_movk_i32 s6, 0x7fff
	v_add3_u32 v6, v19, v6, s6
	v_lshrrev_b32_e32 v6, 16, v6
	v_mov_b32_e32 v7, 0x7fc0
	v_cmp_o_f32_e64 s[6:7], v19, v19
	v_cndmask_b32_e64 v8, v7, v6, s[6:7]
	v_add_u32_e32 v6, v5, v3
	v_mov_b32_e32 v7, 0
	v_lshlrev_b64 v[6:7], 1, v[6:7]
	s_waitcnt lgkmcnt(0)
	v_mov_b32_e32 v10, s13
	v_add_co_u32_e64 v6, s[6:7], s12, v6
	v_addc_co_u32_e64 v7, s[6:7], v10, v7, s[6:7]
	global_store_short v[6:7], v8, off
	s_or_b64 exec, exec, s[14:15]
	s_and_saveexec_b64 s[14:15], s[4:5]
	s_cbranch_execnz .LBB169_61
	s_branch .LBB169_62
.LBB169_87:
	v_bfe_u32 v5, v15, 16, 1
	s_movk_i32 s8, 0x7fff
	v_add3_u32 v5, v15, v5, s8
	v_lshrrev_b32_e32 v5, 16, v5
	v_mov_b32_e32 v6, 0x7fc0
	v_cmp_o_f32_e32 vcc, v15, v15
	v_cndmask_b32_e32 v5, v6, v5, vcc
	v_add_u32_e32 v6, v1, v0
	v_mov_b32_e32 v7, 0
	v_lshlrev_b64 v[6:7], 1, v[6:7]
	s_waitcnt lgkmcnt(0)
	v_mov_b32_e32 v0, s13
	v_add_co_u32_e32 v6, vcc, s12, v6
	v_addc_co_u32_e32 v7, vcc, v0, v7, vcc
	global_store_short v[6:7], v5, off
	s_or_b64 exec, exec, s[6:7]
	s_and_saveexec_b64 s[6:7], s[0:1]
	s_cbranch_execz .LBB169_65
.LBB169_88:
	v_bfe_u32 v0, v13, 16, 1
	s_movk_i32 s0, 0x7fff
	v_add3_u32 v0, v13, v0, s0
	v_add_u32_e32 v6, v1, v2
	v_mov_b32_e32 v7, 0
	v_lshrrev_b32_e32 v0, 16, v0
	v_mov_b32_e32 v5, 0x7fc0
	v_cmp_o_f32_e32 vcc, v13, v13
	v_lshlrev_b64 v[6:7], 1, v[6:7]
	v_cndmask_b32_e32 v0, v5, v0, vcc
	s_waitcnt lgkmcnt(0)
	v_mov_b32_e32 v2, s13
	v_add_co_u32_e32 v6, vcc, s12, v6
	v_addc_co_u32_e32 v7, vcc, v2, v7, vcc
	global_store_short v[6:7], v0, off
	s_or_b64 exec, exec, s[6:7]
	s_and_saveexec_b64 s[0:1], s[2:3]
	s_cbranch_execz .LBB169_66
.LBB169_89:
	v_bfe_u32 v0, v11, 16, 1
	s_movk_i32 s2, 0x7fff
	v_add3_u32 v0, v11, v0, s2
	v_lshrrev_b32_e32 v0, 16, v0
	v_mov_b32_e32 v2, 0x7fc0
	v_cmp_o_f32_e32 vcc, v11, v11
	v_cndmask_b32_e32 v0, v2, v0, vcc
	v_add_u32_e32 v2, v1, v3
	v_mov_b32_e32 v3, 0
	v_lshlrev_b64 v[2:3], 1, v[2:3]
	s_waitcnt lgkmcnt(0)
	v_mov_b32_e32 v5, s13
	v_add_co_u32_e32 v2, vcc, s12, v2
	v_addc_co_u32_e32 v3, vcc, v5, v3, vcc
	global_store_short v[2:3], v0, off
	s_or_b64 exec, exec, s[0:1]
	s_and_b64 exec, exec, s[4:5]
	s_cbranch_execnz .LBB169_67
	s_branch .LBB169_68
	.section	.rodata,"a",@progbits
	.p2align	6, 0x0
	.amdhsa_kernel _ZL12mul_mat_q3_KIN3c108BFloat16ELb0EEvPKvS3_PT_iiiii
		.amdhsa_group_segment_fixed_size 39840
		.amdhsa_private_segment_fixed_size 0
		.amdhsa_kernarg_size 44
		.amdhsa_user_sgpr_count 6
		.amdhsa_user_sgpr_private_segment_buffer 1
		.amdhsa_user_sgpr_dispatch_ptr 0
		.amdhsa_user_sgpr_queue_ptr 0
		.amdhsa_user_sgpr_kernarg_segment_ptr 1
		.amdhsa_user_sgpr_dispatch_id 0
		.amdhsa_user_sgpr_flat_scratch_init 0
		.amdhsa_user_sgpr_kernarg_preload_length 0
		.amdhsa_user_sgpr_kernarg_preload_offset 0
		.amdhsa_user_sgpr_private_segment_size 0
		.amdhsa_uses_dynamic_stack 0
		.amdhsa_system_sgpr_private_segment_wavefront_offset 0
		.amdhsa_system_sgpr_workgroup_id_x 1
		.amdhsa_system_sgpr_workgroup_id_y 1
		.amdhsa_system_sgpr_workgroup_id_z 0
		.amdhsa_system_sgpr_workgroup_info 0
		.amdhsa_system_vgpr_workitem_id 1
		.amdhsa_next_free_vgpr 214
		.amdhsa_next_free_sgpr 28
		.amdhsa_accum_offset 216
		.amdhsa_reserve_vcc 1
		.amdhsa_reserve_flat_scratch 0
		.amdhsa_float_round_mode_32 0
		.amdhsa_float_round_mode_16_64 0
		.amdhsa_float_denorm_mode_32 3
		.amdhsa_float_denorm_mode_16_64 3
		.amdhsa_dx10_clamp 1
		.amdhsa_ieee_mode 1
		.amdhsa_fp16_overflow 0
		.amdhsa_tg_split 0
		.amdhsa_exception_fp_ieee_invalid_op 0
		.amdhsa_exception_fp_denorm_src 0
		.amdhsa_exception_fp_ieee_div_zero 0
		.amdhsa_exception_fp_ieee_overflow 0
		.amdhsa_exception_fp_ieee_underflow 0
		.amdhsa_exception_fp_ieee_inexact 0
		.amdhsa_exception_int_div_zero 0
	.end_amdhsa_kernel
	.section	.text._ZL12mul_mat_q3_KIN3c108BFloat16ELb0EEvPKvS3_PT_iiiii,"axG",@progbits,_ZL12mul_mat_q3_KIN3c108BFloat16ELb0EEvPKvS3_PT_iiiii,comdat
.Lfunc_end169:
	.size	_ZL12mul_mat_q3_KIN3c108BFloat16ELb0EEvPKvS3_PT_iiiii, .Lfunc_end169-_ZL12mul_mat_q3_KIN3c108BFloat16ELb0EEvPKvS3_PT_iiiii
                                        ; -- End function
	.section	.AMDGPU.csdata,"",@progbits
; Kernel info:
; codeLenInByte = 33872
; NumSgprs: 32
; NumVgprs: 214
; NumAgprs: 0
; TotalNumVgprs: 214
; ScratchSize: 0
; MemoryBound: 0
; FloatMode: 240
; IeeeMode: 1
; LDSByteSize: 39840 bytes/workgroup (compile time only)
; SGPRBlocks: 3
; VGPRBlocks: 26
; NumSGPRsForWavesPerEU: 32
; NumVGPRsForWavesPerEU: 214
; AccumOffset: 216
; Occupancy: 1
; WaveLimiterHint : 0
; COMPUTE_PGM_RSRC2:SCRATCH_EN: 0
; COMPUTE_PGM_RSRC2:USER_SGPR: 6
; COMPUTE_PGM_RSRC2:TRAP_HANDLER: 0
; COMPUTE_PGM_RSRC2:TGID_X_EN: 1
; COMPUTE_PGM_RSRC2:TGID_Y_EN: 1
; COMPUTE_PGM_RSRC2:TGID_Z_EN: 0
; COMPUTE_PGM_RSRC2:TIDIG_COMP_CNT: 1
; COMPUTE_PGM_RSRC3_GFX90A:ACCUM_OFFSET: 53
; COMPUTE_PGM_RSRC3_GFX90A:TG_SPLIT: 0
	.section	.text._ZL12mul_mat_q3_KIN3c108BFloat16ELb1EEvPKvS3_PT_iiiii,"axG",@progbits,_ZL12mul_mat_q3_KIN3c108BFloat16ELb1EEvPKvS3_PT_iiiii,comdat
	.globl	_ZL12mul_mat_q3_KIN3c108BFloat16ELb1EEvPKvS3_PT_iiiii ; -- Begin function _ZL12mul_mat_q3_KIN3c108BFloat16ELb1EEvPKvS3_PT_iiiii
	.p2align	8
	.type	_ZL12mul_mat_q3_KIN3c108BFloat16ELb1EEvPKvS3_PT_iiiii,@function
_ZL12mul_mat_q3_KIN3c108BFloat16ELb1EEvPKvS3_PT_iiiii: ; @_ZL12mul_mat_q3_KIN3c108BFloat16ELb1EEvPKvS3_PT_iiiii
; %bb.0:
	s_load_dwordx4 s[8:11], s[4:5], 0x18
	s_load_dword s14, s[4:5], 0x28
	s_lshl_b32 s15, s7, 6
	v_bfe_u32 v49, v0, 10, 10
	s_waitcnt lgkmcnt(0)
	s_cmpk_gt_i32 s8, 0xff
	s_cbranch_scc1 .LBB170_2
; %bb.1:
	v_bfe_u32 v1, v0, 10, 10
	v_and_b32_e32 v45, 0x3ff, v0
	v_add_u32_e32 v67, s15, v1
	s_mov_b64 s[0:1], 0
	s_mov_b32 s2, 0
	s_branch .LBB170_3
.LBB170_2:
	s_mov_b64 s[0:1], -1
                                        ; implicit-def: $sgpr2
                                        ; implicit-def: $vgpr1
                                        ; implicit-def: $vgpr45
                                        ; implicit-def: $vgpr67
.LBB170_3:
	s_load_dwordx2 s[12:13], s[4:5], 0x10
	s_lshl_b32 s6, s6, 7
	s_andn2_b64 vcc, exec, s[0:1]
	v_mov_b32_e32 v9, s2
	v_mov_b32_e32 v17, s2
	;; [unrolled: 1-line block ×32, first 2 shown]
	s_cbranch_vccnz .LBB170_17
; %bb.4:
	s_load_dwordx4 s[0:3], s[4:5], 0x0
	s_ashr_i32 s4, s8, 31
	s_lshr_b32 s4, s4, 24
	s_add_i32 s4, s8, s4
	s_ashr_i32 s5, s11, 31
	s_ashr_i32 s4, s4, 8
	s_lshr_b32 s5, s5, 27
	s_add_i32 s5, s11, s5
	s_mul_i32 s7, s4, s6
	s_ashr_i32 s11, s5, 5
	s_mul_hi_i32 s8, s7, 0x6e
	s_mulk_i32 s7, 0x6e
	s_waitcnt lgkmcnt(0)
	s_add_u32 s0, s0, s7
	s_addc_u32 s1, s1, s8
	s_not_b32 s17, s6
	s_add_i32 s17, s17, s9
	v_and_b32_e32 v45, 0x3ff, v0
	v_and_b32_e32 v1, 15, v45
	v_min_i32_e32 v2, s17, v49
	v_lshlrev_b32_e32 v0, 2, v45
	s_movk_i32 s9, 0x84
	v_add_u32_e32 v3, 8, v49
	v_mul_lo_u32 v12, v2, s4
	v_mad_u64_u32 v[14:15], s[18:19], v2, s9, v[0:1]
	v_min_i32_e32 v2, s17, v3
	v_add_u32_e32 v6, 16, v49
	v_mul_lo_u32 v16, v2, s4
	v_mad_u64_u32 v[18:19], s[18:19], v2, s9, v[0:1]
	v_min_i32_e32 v2, s17, v6
	;; [unrolled: 4-line block ×7, first 2 shown]
	v_mul_lo_u32 v40, v2, s4
	v_mad_u64_u32 v[42:43], s[18:19], v2, s9, v[0:1]
	v_add_u32_e32 v2, 64, v49
	v_min_i32_e32 v2, s17, v2
	v_mul_lo_u32 v44, v2, s4
	v_mad_u64_u32 v[46:47], s[18:19], v2, s9, v[0:1]
	v_add_u32_e32 v2, 0x48, v49
	v_min_i32_e32 v2, s17, v2
	;; [unrolled: 4-line block ×8, first 2 shown]
	v_lshlrev_b32_e32 v63, 4, v49
	v_lshrrev_b32_e32 v17, 1, v45
	v_mul_lo_u32 v72, v2, s4
	v_mad_u64_u32 v[74:75], s[18:19], v2, s9, v[0:1]
	v_add_u32_e32 v2, v17, v63
	v_and_b32_e32 v2, 0x7f, v2
	v_min_i32_e32 v2, s17, v2
	v_ashrrev_i32_e32 v4, 31, v2
	v_lshrrev_b32_e32 v4, 28, v4
	v_add_u32_e32 v4, v2, v4
	v_lshrrev_b32_e32 v8, 4, v45
	v_and_b32_e32 v76, 1, v45
	v_ashrrev_i32_e32 v4, 4, v4
	v_mul_lo_u32 v78, v2, s4
	v_lshlrev_b32_e32 v4, 2, v4
	v_lshlrev_b32_e32 v5, 2, v76
	s_mov_b32 s16, 0x9380
	v_lshlrev_b32_e32 v21, 3, v2
	v_lshl_add_u32 v2, v49, 1, v8
	v_add3_u32 v19, v4, v5, s16
	v_min_i32_e32 v4, s17, v2
	v_lshrrev_b32_e32 v5, 31, v4
	v_mul_lo_u32 v84, v4, s4
	v_add_lshl_u32 v5, v4, v5, 1
	v_lshlrev_b32_e32 v25, 6, v4
	v_add_u32_e32 v4, 16, v2
	v_lshlrev_b32_e32 v10, 2, v1
	v_and_b32_e32 v5, -4, v5
	s_movk_i32 s18, 0x4200
	v_min_i32_e32 v4, s17, v4
	v_add3_u32 v23, v5, v10, s18
	v_lshrrev_b32_e32 v5, 31, v4
	v_mul_lo_u32 v86, v4, s4
	v_add_lshl_u32 v5, v4, v5, 1
	v_lshlrev_b32_e32 v29, 6, v4
	v_add_u32_e32 v4, 32, v2
	v_and_b32_e32 v5, -4, v5
	v_min_i32_e32 v4, s17, v4
	v_add3_u32 v27, v5, v10, s18
	v_lshrrev_b32_e32 v5, 31, v4
	v_mul_lo_u32 v88, v4, s4
	v_add_lshl_u32 v5, v4, v5, 1
	v_lshlrev_b32_e32 v33, 6, v4
	v_add_u32_e32 v4, 48, v2
	v_and_b32_e32 v5, -4, v5
	;; [unrolled: 8-line block ×5, first 2 shown]
	v_min_i32_e32 v4, s17, v4
	v_add_u32_e32 v2, 0x70, v2
	v_add3_u32 v43, v5, v10, s18
	v_lshrrev_b32_e32 v5, 31, v4
	v_min_i32_e32 v2, s17, v2
	v_cmp_lt_u32_e32 vcc, 7, v1
	v_and_b32_e32 v1, 7, v45
	v_mul_lo_u32 v96, v4, s4
	v_add_lshl_u32 v5, v4, v5, 1
	v_lshlrev_b32_e32 v53, 6, v4
	v_lshrrev_b32_e32 v4, 31, v2
	v_cndmask_b32_e64 v80, 0, 1, vcc
	v_mul_lo_u32 v98, v2, s4
	v_add_lshl_u32 v4, v2, v4, 1
	v_lshlrev_b32_e32 v57, 6, v2
	v_cmp_lt_u32_e32 vcc, 3, v1
	v_and_b32_e32 v2, 3, v45
	v_lshlrev_b32_e32 v82, 2, v1
	v_cndmask_b32_e64 v100, 0, 1, vcc
	v_add_u16_e32 v1, -2, v2
	v_cmp_gt_u32_e32 vcc, 2, v2
	v_and_b32_e32 v5, -4, v5
	v_cndmask_b32_e32 v1, v1, v2, vcc
	v_cmp_lt_u32_e32 vcc, 1, v2
	v_add3_u32 v51, v5, v10, s18
	v_and_b32_e32 v4, -4, v4
	v_lshrrev_b32_e32 v73, 3, v45
	v_cndmask_b32_e64 v5, 0, 1, vcc
	v_add3_u32 v55, v4, v10, s18
	v_lshl_add_u32 v4, v49, 2, v73
	v_lshlrev_b32_e32 v77, 2, v5
	v_mov_b32_e32 v5, 2
	v_lshlrev_b32_sdwa v102, v5, v1 dst_sel:DWORD dst_unused:UNUSED_PAD src0_sel:DWORD src1_sel:BYTE_0
	v_min_i32_e32 v1, s17, v4
	v_ashrrev_i32_e32 v5, 31, v1
	v_lshrrev_b32_e32 v5, 30, v5
	v_mul_lo_u32 v104, v1, s4
	v_add_u32_e32 v5, v1, v5
	v_lshlrev_b32_e32 v61, 5, v1
	v_add_u32_e32 v1, 32, v4
	v_and_b32_e32 v5, -4, v5
	s_mov_b32 s18, 0x8300
	v_min_i32_e32 v1, s17, v1
	v_add3_u32 v59, v5, v82, s18
	v_ashrrev_i32_e32 v5, 31, v1
	v_lshrrev_b32_e32 v5, 30, v5
	v_mul_lo_u32 v106, v1, s4
	v_add_u32_e32 v5, v1, v5
	v_lshlrev_b32_e32 v69, 5, v1
	v_add_u32_e32 v1, 64, v4
	v_and_b32_e32 v5, -4, v5
	v_min_i32_e32 v1, s17, v1
	v_add3_u32 v65, v5, v82, s18
	v_ashrrev_i32_e32 v5, 31, v1
	v_lshrrev_b32_e32 v5, 30, v5
	v_mul_lo_u32 v108, v1, s4
	v_add_u32_e32 v5, v1, v5
	v_lshlrev_b32_e32 v75, 5, v1
	v_add_u32_e32 v1, 0x60, v4
	v_min_i32_e32 v1, s17, v1
	v_and_b32_e32 v0, 28, v0
	v_ashrrev_i32_e32 v4, 31, v1
	v_add_co_u32_e32 v112, vcc, s2, v0
	v_lshrrev_b32_e32 v0, 2, v45
	v_lshrrev_b32_e32 v4, 30, v4
	v_lshl_add_u32 v0, v49, 3, v0
	v_mul_lo_u32 v110, v1, s4
	v_add_u32_e32 v4, v1, v4
	v_lshlrev_b32_e32 v83, 5, v1
	v_mov_b32_e32 v1, s3
	v_and_b32_e32 v0, 63, v0
	s_add_i32 s17, s10, -1
	v_addc_co_u32_e32 v113, vcc, 0, v1, vcc
	v_or_b32_e32 v1, s15, v0
	v_and_b32_e32 v5, -4, v5
	v_and_b32_e32 v4, -4, v4
	v_min_i32_e32 v1, s17, v1
	v_add3_u32 v71, v5, v82, s18
	v_add3_u32 v81, v4, v82, s18
	v_mad_u64_u32 v[114:115], s[18:19], v1, s11, v[2:3]
	v_lshlrev_b32_e32 v1, 2, v2
	v_add_u32_e32 v67, s15, v49
	v_lshl_or_b32 v0, v0, 4, v1
	v_cvt_f64_i32_e32 v[4:5], s17
	v_add_u32_e32 v85, 0x97a0, v0
	v_cvt_f64_u32_e32 v[0:1], v67
	v_and_b32_e32 v89, 31, v45
	v_min_f64 v[0:1], v[0:1], v[4:5]
	v_lshlrev_b32_e32 v79, 1, v2
	v_cvt_i32_f64_e32 v0, v[0:1]
	v_lshlrev_b32_e32 v2, 2, v89
	v_lshlrev_b32_e32 v89, 7, v49
	v_mul_lo_u32 v87, s11, v0
	v_or_b32_e32 v0, v89, v2
	v_add_u32_e32 v91, 0x6300, v0
	v_add_u32_e32 v0, 8, v67
	v_cvt_f64_u32_e32 v[0:1], v0
	v_min_f64 v[0:1], v[0:1], v[4:5]
	v_cvt_i32_f64_e32 v0, v[0:1]
	v_mul_lo_u32 v93, s11, v0
	v_lshl_or_b32 v0, v3, 7, v2
	v_add_u32_e32 v95, 0x6300, v0
	v_add_u32_e32 v0, 16, v67
	v_cvt_f64_u32_e32 v[0:1], v0
	v_min_f64 v[0:1], v[0:1], v[4:5]
	v_cvt_i32_f64_e32 v0, v[0:1]
	v_mul_lo_u32 v99, s11, v0
	v_lshl_or_b32 v0, v6, 7, v2
	;; [unrolled: 7-line block ×7, first 2 shown]
	v_add_u32_e32 v123, 0x6300, v0
	v_add_u32_e32 v0, 32, v45
	v_lshrrev_b32_e32 v1, 1, v0
	v_lshl_add_u32 v128, v0, 4, v1
	v_mov_b32_e32 v1, 0x1080
	v_lshlrev_b32_e32 v6, 2, v8
	v_lshlrev_b32_e32 v7, 3, v45
	v_mad_u32_u24 v129, v45, s9, v1
	v_lshrrev_b32_e32 v1, 2, v0
	v_add3_u32 v127, v6, v7, s16
	v_and_b32_e32 v1, 0x7c, v1
	v_lshlrev_b32_e32 v6, 3, v0
	v_add_u32_e32 v2, 64, v45
	v_add3_u32 v130, v6, v1, s16
	v_mov_b32_e32 v1, 0x2100
	v_lshrrev_b32_e32 v3, 1, v2
	v_mad_u32_u24 v132, v45, s9, v1
	v_lshrrev_b32_e32 v1, 2, v2
	v_lshl_add_u32 v131, v2, 4, v3
	v_and_b32_e32 v1, 0x7c, v1
	v_lshlrev_b32_e32 v3, 3, v2
	v_add_u32_e32 v4, 0x60, v45
	v_add3_u32 v133, v3, v1, s16
	v_mov_b32_e32 v1, 0x3180
	v_mad_u32_u24 v135, v45, s9, v1
	v_lshrrev_b32_e32 v1, 2, v4
	v_lshrrev_b32_e32 v5, 1, v4
	v_and_b32_e32 v1, 0x7c, v1
	v_lshlrev_b32_e32 v3, 3, v4
	v_and_b32_e32 v140, 0xfc, v45
	v_and_b32_e32 v142, 0x1fc, v0
	v_and_b32_e32 v144, 0x1fc, v2
	v_and_b32_e32 v146, 0x1fc, v4
	s_movk_i32 s5, 0x6e
	s_mov_b32 s7, 0
	s_movk_i32 s8, 0x60
	v_lshlrev_b32_e32 v124, 5, v45
	v_lshl_add_u32 v125, v45, 4, v17
	v_mul_u32_u24_e32 v126, 0x84, v45
	v_lshl_add_u32 v134, v4, 4, v5
	v_add3_u32 v136, v3, v1, s16
	v_lshrrev_b32_e32 v137, 3, v0
	v_lshrrev_b32_e32 v138, 3, v2
	v_lshrrev_b32_e32 v139, 3, v4
	v_or_b32_e32 v141, 0x6300, v140
	v_add_u32_e32 v143, 0x6300, v142
	v_add_u32_e32 v145, 0x6300, v144
	;; [unrolled: 1-line block ×14, first 2 shown]
	s_mov_b32 s9, 0x30303030
	s_movk_i32 s11, 0x3f00
	s_movk_i32 s16, 0xe000
	v_add_u32_e32 v159, v59, v61
	v_add_u32_e32 v160, v65, v69
	;; [unrolled: 1-line block ×4, first 2 shown]
	v_mov_b32_e32 v163, 8
	v_mov_b32_e32 v97, 0
	;; [unrolled: 1-line block ×33, first 2 shown]
	s_branch .LBB170_6
.LBB170_5:                              ;   in Loop: Header=BB170_6 Depth=1
	s_add_i32 s7, s7, 2
	s_cmp_ge_i32 s7, s4
	s_cbranch_scc1 .LBB170_16
.LBB170_6:                              ; =>This Loop Header: Depth=1
                                        ;     Child Loop BB170_7 Depth 2
                                        ;     Child Loop BB170_9 Depth 2
                                        ;     Child Loop BB170_12 Depth 2
                                        ;     Child Loop BB170_14 Depth 2
	s_mul_i32 s18, s7, 0x6e
	s_mul_hi_u32 s17, s7, 0x6e
	s_add_u32 s18, s0, s18
	s_addc_u32 s19, s1, s17
	v_pk_mov_b32 v[0:1], s[18:19], s[18:19] op_sel:[0,1]
	v_mad_u64_u32 v[2:3], s[18:19], v8, s5, v[0:1]
	v_add_co_u32_e32 v2, vcc, v2, v10
	v_addc_co_u32_e32 v3, vcc, 0, v3, vcc
	v_add_co_u32_e32 v2, vcc, 32, v2
	v_addc_co_u32_e32 v3, vcc, 0, v3, vcc
	v_mad_i64_i32 v[4:5], s[18:19], v12, s5, v[2:3]
	v_mad_i64_i32 v[6:7], s[18:19], v16, s5, v[2:3]
	;; [unrolled: 1-line block ×8, first 2 shown]
	global_load_dword v172, v[4:5], off
	global_load_dword v173, v[6:7], off
	;; [unrolled: 1-line block ×7, first 2 shown]
	s_nop 0
	global_load_dword v170, v[170:171], off
	v_mad_i64_i32 v[4:5], s[18:19], v44, s5, v[2:3]
	v_mad_i64_i32 v[6:7], s[18:19], v48, s5, v[2:3]
	;; [unrolled: 1-line block ×8, first 2 shown]
	global_load_dword v171, v[4:5], off
	global_load_dword v179, v[6:7], off
	;; [unrolled: 1-line block ×4, first 2 shown]
	s_nop 0
	global_load_dword v164, v[164:165], off
	s_nop 0
	global_load_dword v165, v[166:167], off
	;; [unrolled: 2-line block ×3, first 2 shown]
	global_load_dword v167, v[2:3], off
	v_mad_i64_i32 v[2:3], s[18:19], v78, s5, v[0:1]
	v_mad_u64_u32 v[2:3], s[18:19], v76, s5, v[2:3]
	global_load_ushort v168, v[2:3], off offset:108
	v_mad_u64_u32 v[4:5], s[18:19], v80, s5, v[0:1]
	v_add_co_u32_e32 v4, vcc, v4, v82
	v_addc_co_u32_e32 v5, vcc, 0, v5, vcc
	v_mad_i64_i32 v[6:7], s[18:19], v84, s5, v[4:5]
	v_mad_i64_i32 v[116:117], s[18:19], v86, s5, v[4:5]
	global_load_dword v169, v[6:7], off
	global_load_dword v182, v[116:117], off
	v_mad_i64_i32 v[2:3], s[18:19], v88, s5, v[4:5]
	v_mad_i64_i32 v[118:119], s[18:19], v90, s5, v[4:5]
	global_load_dword v183, v[2:3], off
	global_load_dword v184, v[118:119], off
	v_mad_i64_i32 v[6:7], s[18:19], v92, s5, v[4:5]
	v_mad_i64_i32 v[2:3], s[18:19], v94, s5, v[4:5]
	global_load_dword v185, v[6:7], off
	global_load_dword v186, v[2:3], off
	v_mad_u64_u32 v[0:1], s[18:19], v100, s5, v[0:1]
	v_mad_i64_i32 v[2:3], s[18:19], v96, s5, v[4:5]
	v_add_co_u32_e32 v0, vcc, s8, v0
	global_load_dword v187, v[2:3], off
	v_mad_i64_i32 v[2:3], s[18:19], v98, s5, v[4:5]
	v_addc_co_u32_e32 v1, vcc, 0, v1, vcc
	global_load_dword v188, v[2:3], off
	v_mad_i64_i32 v[2:3], s[18:19], v104, s5, v[0:1]
	v_add_co_u32_e32 v4, vcc, v2, v102
	v_addc_co_u32_e32 v5, vcc, 0, v3, vcc
	global_load_dword v189, v[4:5], off
	v_mad_i64_i32 v[4:5], s[18:19], v106, s5, v[0:1]
	v_add_co_u32_e32 v6, vcc, v4, v102
	v_addc_co_u32_e32 v7, vcc, 0, v5, vcc
	v_mad_i64_i32 v[116:117], s[18:19], v108, s5, v[0:1]
	v_add_co_u32_e32 v118, vcc, v116, v102
	v_mad_i64_i32 v[0:1], s[18:19], v110, s5, v[0:1]
	v_addc_co_u32_e32 v119, vcc, 0, v117, vcc
	global_load_dword v190, v[0:1], off offset:8
	global_load_dword v191, v[118:119], off
	global_load_dword v192, v[116:117], off offset:8
	global_load_dword v193, v[6:7], off
	global_load_dword v194, v[4:5], off offset:8
	global_load_dword v195, v[2:3], off offset:8
	v_add_co_u32_e32 v0, vcc, v0, v102
	s_waitcnt vmcnt(31)
	ds_write_b32 v14, v172
	s_waitcnt vmcnt(30)
	ds_write_b32 v18, v173
	;; [unrolled: 2-line block ×13, first 2 shown]
	v_addc_co_u32_e32 v1, vcc, 0, v1, vcc
	s_lshl_b32 s17, s7, 3
	v_add_u32_e32 v164, s17, v114
	v_mad_u64_u32 v[170:171], s[18:19], v164, 36, s[2:3]
	s_mov_b32 s21, -2
	s_waitcnt vmcnt(15)
	v_cvt_f32_f16_e32 v2, v168
	ds_write_b32 v66, v165
	ds_write_b32 v70, v166
	;; [unrolled: 1-line block ×4, first 2 shown]
	global_load_dword v172, v[0:1], off
	v_add_u32_e32 v168, s17, v73
	v_add_u32_e32 v0, v168, v87
	;; [unrolled: 1-line block ×5, first 2 shown]
	v_mad_i64_i32 v[0:1], s[18:19], v0, 36, v[112:113]
	s_waitcnt vmcnt(15)
	v_not_b32_e32 v2, v169
	ds_write_b32 v151, v2
	s_waitcnt vmcnt(14)
	v_not_b32_e32 v2, v182
	ds_write_b32 v152, v2
	v_mad_i64_i32 v[4:5], s[18:19], v4, 36, v[112:113]
	s_waitcnt vmcnt(13)
	v_not_b32_e32 v2, v183
	ds_write_b32 v153, v2
	s_waitcnt vmcnt(12)
	v_not_b32_e32 v2, v184
	ds_write_b32 v154, v2
	;; [unrolled: 3-line block ×4, first 2 shown]
	v_add_u32_e32 v2, v168, v93
	v_mad_i64_i32 v[2:3], s[18:19], v2, 36, v[112:113]
	v_mad_i64_i32 v[6:7], s[18:19], v6, 36, v[112:113]
	;; [unrolled: 1-line block ×3, first 2 shown]
	v_add_u32_e32 v118, v168, v111
	v_add_u32_e32 v166, v168, v120
	;; [unrolled: 1-line block ×3, first 2 shown]
	v_mad_i64_i32 v[118:119], s[18:19], v118, 36, v[112:113]
	v_mad_i64_i32 v[166:167], s[18:19], v166, 36, v[112:113]
	;; [unrolled: 1-line block ×3, first 2 shown]
	global_load_dword v0, v[0:1], off offset:4
	s_nop 0
	global_load_dword v1, v[2:3], off offset:4
	s_nop 0
	global_load_dword v2, v[4:5], off offset:4
	global_load_dword v3, v[6:7], off offset:4
	s_nop 0
	global_load_dword v4, v[116:117], off offset:4
	global_load_dword v5, v[170:171], off
	global_load_dword v6, v[118:119], off offset:4
	global_load_dword v7, v[166:167], off offset:4
	s_nop 0
	global_load_dword v116, v[168:169], off offset:4
	s_waitcnt vmcnt(18)
	v_not_b32_e32 v165, v187
	s_waitcnt vmcnt(17)
	v_not_b32_e32 v117, v188
	ds_write_b32 v157, v165
	ds_write_b32 v158, v117
	s_waitcnt vmcnt(16)
	v_ashrrev_i32_e32 v117, v77, v189
	v_and_b32_e32 v117, 0xf0f0f0f, v117
	v_mov_b32_e32 v165, v89
	v_mov_b32_e32 v166, v63
	s_mov_b32 s18, 0
	s_mov_b32 s19, 0
	s_waitcnt vmcnt(10)
	v_ashrrev_i32_e32 v118, v79, v195
	v_lshlrev_b32_e32 v118, 4, v118
	v_and_or_b32 v117, v118, s9, v117
	v_lshlrev_b16_e32 v119, 8, v117
	v_and_b32_e32 v118, 0x3f00, v117
	v_add_u16_e32 v119, 0xe000, v119
	v_or_b32_sdwa v118, v118, v119 dst_sel:DWORD dst_unused:UNUSED_PAD src0_sel:DWORD src1_sel:BYTE_1
	v_and_b32_sdwa v119, v117, s11 dst_sel:DWORD dst_unused:UNUSED_PAD src0_sel:WORD_1 src1_sel:DWORD
	v_lshlrev_b16_sdwa v117, v163, v117 dst_sel:DWORD dst_unused:UNUSED_PAD src0_sel:DWORD src1_sel:WORD_1
	v_add_u16_e32 v117, 0xe000, v117
	v_or_b32_sdwa v117, v119, v117 dst_sel:DWORD dst_unused:UNUSED_PAD src0_sel:DWORD src1_sel:BYTE_1
	v_add_u16_e32 v118, 0xe000, v118
	v_add_u16_sdwa v117, v117, s16 dst_sel:WORD_1 dst_unused:UNUSED_PAD src0_sel:DWORD src1_sel:DWORD
	v_or_b32_e32 v117, v118, v117
	ds_write_b32 v159, v117
	v_ashrrev_i32_e32 v117, v77, v193
	v_ashrrev_i32_e32 v118, v79, v194
	v_and_b32_e32 v117, 0xf0f0f0f, v117
	v_lshlrev_b32_e32 v118, 4, v118
	v_and_or_b32 v117, v118, s9, v117
	v_lshlrev_b16_e32 v119, 8, v117
	v_and_b32_e32 v118, 0x3f00, v117
	v_add_u16_e32 v119, 0xe000, v119
	v_or_b32_sdwa v118, v118, v119 dst_sel:DWORD dst_unused:UNUSED_PAD src0_sel:DWORD src1_sel:BYTE_1
	v_and_b32_sdwa v119, v117, s11 dst_sel:DWORD dst_unused:UNUSED_PAD src0_sel:WORD_1 src1_sel:DWORD
	v_lshlrev_b16_sdwa v117, v163, v117 dst_sel:DWORD dst_unused:UNUSED_PAD src0_sel:DWORD src1_sel:WORD_1
	v_add_u16_e32 v117, 0xe000, v117
	v_or_b32_sdwa v117, v119, v117 dst_sel:DWORD dst_unused:UNUSED_PAD src0_sel:DWORD src1_sel:BYTE_1
	v_add_u16_e32 v118, 0xe000, v118
	v_add_u16_sdwa v117, v117, s16 dst_sel:WORD_1 dst_unused:UNUSED_PAD src0_sel:DWORD src1_sel:DWORD
	v_or_b32_e32 v117, v118, v117
	ds_write_b32 v160, v117
	v_ashrrev_i32_e32 v117, v77, v191
	v_ashrrev_i32_e32 v118, v79, v192
	v_and_b32_e32 v117, 0xf0f0f0f, v117
	v_lshlrev_b32_e32 v118, 4, v118
	v_and_or_b32 v117, v118, s9, v117
	v_lshlrev_b16_e32 v119, 8, v117
	v_and_b32_e32 v118, 0x3f00, v117
	v_add_u16_e32 v119, 0xe000, v119
	v_or_b32_sdwa v118, v118, v119 dst_sel:DWORD dst_unused:UNUSED_PAD src0_sel:DWORD src1_sel:BYTE_1
	v_and_b32_sdwa v119, v117, s11 dst_sel:DWORD dst_unused:UNUSED_PAD src0_sel:WORD_1 src1_sel:DWORD
	v_lshlrev_b16_sdwa v117, v163, v117 dst_sel:DWORD dst_unused:UNUSED_PAD src0_sel:DWORD src1_sel:WORD_1
	v_add_u16_e32 v117, 0xe000, v117
	v_or_b32_sdwa v117, v119, v117 dst_sel:DWORD dst_unused:UNUSED_PAD src0_sel:DWORD src1_sel:BYTE_1
	v_add_u16_e32 v118, 0xe000, v118
	v_add_u16_sdwa v117, v117, s16 dst_sel:WORD_1 dst_unused:UNUSED_PAD src0_sel:DWORD src1_sel:DWORD
	v_or_b32_e32 v117, v118, v117
	ds_write_b32 v161, v117
	s_waitcnt vmcnt(9)
	v_ashrrev_i32_e32 v117, v77, v172
	v_ashrrev_i32_e32 v118, v79, v190
	v_and_b32_e32 v117, 0xf0f0f0f, v117
	v_lshlrev_b32_e32 v118, 4, v118
	v_and_or_b32 v117, v118, s9, v117
	v_lshlrev_b16_e32 v119, 8, v117
	v_and_b32_e32 v118, 0x3f00, v117
	v_add_u16_e32 v119, 0xe000, v119
	v_or_b32_sdwa v118, v118, v119 dst_sel:DWORD dst_unused:UNUSED_PAD src0_sel:DWORD src1_sel:BYTE_1
	v_and_b32_sdwa v119, v117, s11 dst_sel:DWORD dst_unused:UNUSED_PAD src0_sel:WORD_1 src1_sel:DWORD
	v_lshlrev_b16_sdwa v117, v163, v117 dst_sel:DWORD dst_unused:UNUSED_PAD src0_sel:DWORD src1_sel:WORD_1
	v_add_u16_e32 v117, 0xe000, v117
	v_or_b32_sdwa v117, v119, v117 dst_sel:DWORD dst_unused:UNUSED_PAD src0_sel:DWORD src1_sel:BYTE_1
	v_add_u16_e32 v118, 0xe000, v118
	v_add_u16_sdwa v117, v117, s16 dst_sel:WORD_1 dst_unused:UNUSED_PAD src0_sel:DWORD src1_sel:DWORD
	v_or_b32_e32 v117, v118, v117
	ds_write_b32 v162, v117
	s_waitcnt vmcnt(8)
	ds_write_b32 v91, v0
	s_waitcnt vmcnt(7)
	;; [unrolled: 2-line block ×6, first 2 shown]
	v_cvt_f32_f16_e32 v0, v5
	s_waitcnt vmcnt(2)
	ds_write_b32 v115, v6
	s_waitcnt vmcnt(1)
	ds_write_b32 v121, v7
	;; [unrolled: 2-line block ×3, first 2 shown]
	ds_write_b32 v85, v0
	s_waitcnt lgkmcnt(0)
	s_barrier
.LBB170_7:                              ;   Parent Loop BB170_6 Depth=1
                                        ; =>  This Inner Loop Header: Depth=2
	s_add_i32 s20, s21, 2
	s_and_b32 s22, s19, -16
	s_lshr_b32 s24, s20, 4
	v_add_u32_e32 v118, s22, v124
	s_and_b32 s23, s20, 0x3ffffff8
	s_lshl_b32 s22, s24, 3
	s_lshl_b32 s23, s23, 2
	v_add_lshl_u32 v176, v125, s22, 2
	v_add_u32_e32 v0, 0x9600, v166
	v_add_u32_e32 v119, s23, v126
	;; [unrolled: 1-line block ×3, first 2 shown]
	ds_read2_b32 v[116:117], v0 offset0:104 offset1:136
	ds_read_b128 v[4:7], v165 offset:25344
	ds_read_b128 v[0:3], v165 offset:25360
	ds_read2_b32 v[168:169], v119 offset1:1
	ds_read2_b32 v[170:171], v170 offset1:1
	s_lshl_b32 s24, s24, 2
	v_add_lshl_u32 v198, v131, s22, 2
	v_add_lshl_u32 v188, v128, s22, 2
	s_waitcnt lgkmcnt(1)
	v_ashrrev_i32_e32 v167, s20, v168
	s_waitcnt lgkmcnt(0)
	v_ashrrev_i32_e32 v170, s18, v170
	v_lshlrev_b32_e32 v170, 2, v170
	v_and_b32_e32 v168, 0x3030303, v167
	v_bfe_u32 v167, v167, 24, 2
	v_and_b32_e32 v170, 0x4040404, v170
	v_sub_u16_e32 v172, v168, v170
	v_sub_u16_sdwa v173, v168, v170 dst_sel:BYTE_1 dst_unused:UNUSED_PAD src0_sel:BYTE_1 src1_sel:BYTE_1
	v_sub_u16_sdwa v167, v167, v170 dst_sel:BYTE_1 dst_unused:UNUSED_PAD src0_sel:DWORD src1_sel:BYTE_3
	v_sub_u16_sdwa v168, v168, v170 dst_sel:DWORD dst_unused:UNUSED_PAD src0_sel:WORD_1 src1_sel:WORD_1
	v_ashrrev_i32_e32 v170, s18, v171
	v_or_b32_sdwa v167, v168, v167 dst_sel:WORD_1 dst_unused:UNUSED_PAD src0_sel:BYTE_0 src1_sel:DWORD
	v_ashrrev_i32_e32 v168, s20, v169
	v_lshlrev_b32_e32 v170, 2, v170
	v_or_b32_sdwa v172, v172, v173 dst_sel:DWORD dst_unused:UNUSED_PAD src0_sel:BYTE_0 src1_sel:DWORD
	v_and_b32_e32 v169, 0x3030303, v168
	v_bfe_u32 v168, v168, 24, 2
	v_and_b32_e32 v170, 0x4040404, v170
	v_or_b32_sdwa v167, v172, v167 dst_sel:DWORD dst_unused:UNUSED_PAD src0_sel:WORD_0 src1_sel:DWORD
	v_sub_u16_e32 v171, v169, v170
	v_sub_u16_sdwa v172, v169, v170 dst_sel:BYTE_1 dst_unused:UNUSED_PAD src0_sel:BYTE_1 src1_sel:BYTE_1
	v_sub_u16_sdwa v168, v168, v170 dst_sel:BYTE_1 dst_unused:UNUSED_PAD src0_sel:DWORD src1_sel:BYTE_3
	v_sub_u16_sdwa v169, v169, v170 dst_sel:DWORD dst_unused:UNUSED_PAD src0_sel:WORD_1 src1_sel:WORD_1
	v_or_b32_sdwa v171, v171, v172 dst_sel:DWORD dst_unused:UNUSED_PAD src0_sel:BYTE_0 src1_sel:DWORD
	v_or_b32_sdwa v168, v169, v168 dst_sel:WORD_1 dst_unused:UNUSED_PAD src0_sel:BYTE_0 src1_sel:DWORD
	v_add_u32_e32 v172, 0x4208, v176
	v_or_b32_sdwa v168, v171, v168 dst_sel:DWORD dst_unused:UNUSED_PAD src0_sel:WORD_0 src1_sel:DWORD
	ds_read2_b32 v[170:171], v119 offset0:2 offset1:3
	ds_read2_b32 v[172:173], v172 offset1:1
	v_add_u32_e32 v192, 0x4200, v198
	v_add_lshl_u32 v210, v134, s22, 2
	s_add_i32 s19, s19, 2
	s_waitcnt lgkmcnt(1)
	v_ashrrev_i32_e32 v169, s20, v170
	s_waitcnt lgkmcnt(0)
	v_ashrrev_i32_e32 v172, s18, v172
	v_lshlrev_b32_e32 v172, 2, v172
	v_and_b32_e32 v170, 0x3030303, v169
	v_bfe_u32 v169, v169, 24, 2
	v_and_b32_e32 v172, 0x4040404, v172
	v_sub_u16_e32 v174, v170, v172
	v_sub_u16_sdwa v175, v170, v172 dst_sel:BYTE_1 dst_unused:UNUSED_PAD src0_sel:BYTE_1 src1_sel:BYTE_1
	v_sub_u16_sdwa v169, v169, v172 dst_sel:BYTE_1 dst_unused:UNUSED_PAD src0_sel:DWORD src1_sel:BYTE_3
	v_sub_u16_sdwa v170, v170, v172 dst_sel:DWORD dst_unused:UNUSED_PAD src0_sel:WORD_1 src1_sel:WORD_1
	v_ashrrev_i32_e32 v172, s18, v173
	v_or_b32_sdwa v169, v170, v169 dst_sel:WORD_1 dst_unused:UNUSED_PAD src0_sel:BYTE_0 src1_sel:DWORD
	v_ashrrev_i32_e32 v170, s20, v171
	v_lshlrev_b32_e32 v172, 2, v172
	v_or_b32_sdwa v174, v174, v175 dst_sel:DWORD dst_unused:UNUSED_PAD src0_sel:BYTE_0 src1_sel:DWORD
	v_and_b32_e32 v171, 0x3030303, v170
	v_bfe_u32 v170, v170, 24, 2
	v_and_b32_e32 v172, 0x4040404, v172
	v_or_b32_sdwa v169, v174, v169 dst_sel:DWORD dst_unused:UNUSED_PAD src0_sel:WORD_0 src1_sel:DWORD
	v_sub_u16_e32 v173, v171, v172
	v_sub_u16_sdwa v174, v171, v172 dst_sel:BYTE_1 dst_unused:UNUSED_PAD src0_sel:BYTE_1 src1_sel:BYTE_1
	v_sub_u16_sdwa v170, v170, v172 dst_sel:BYTE_1 dst_unused:UNUSED_PAD src0_sel:DWORD src1_sel:BYTE_3
	v_sub_u16_sdwa v171, v171, v172 dst_sel:DWORD dst_unused:UNUSED_PAD src0_sel:WORD_1 src1_sel:WORD_1
	v_or_b32_sdwa v173, v173, v174 dst_sel:DWORD dst_unused:UNUSED_PAD src0_sel:BYTE_0 src1_sel:DWORD
	v_or_b32_sdwa v170, v171, v170 dst_sel:WORD_1 dst_unused:UNUSED_PAD src0_sel:BYTE_0 src1_sel:DWORD
	v_add_u32_e32 v174, 0x4210, v176
	v_or_b32_sdwa v170, v173, v170 dst_sel:DWORD dst_unused:UNUSED_PAD src0_sel:WORD_0 src1_sel:DWORD
	ds_read2_b32 v[172:173], v119 offset0:4 offset1:5
	ds_read2_b32 v[174:175], v174 offset1:1
	ds_read2_b32 v[192:193], v192 offset1:1
	s_waitcnt lgkmcnt(2)
	v_ashrrev_i32_e32 v171, s20, v172
	s_waitcnt lgkmcnt(1)
	v_ashrrev_i32_e32 v174, s18, v174
	v_lshlrev_b32_e32 v174, 2, v174
	v_and_b32_e32 v172, 0x3030303, v171
	v_bfe_u32 v171, v171, 24, 2
	v_and_b32_e32 v174, 0x4040404, v174
	v_sub_u16_e32 v177, v172, v174
	v_sub_u16_sdwa v178, v172, v174 dst_sel:BYTE_1 dst_unused:UNUSED_PAD src0_sel:BYTE_1 src1_sel:BYTE_1
	v_sub_u16_sdwa v171, v171, v174 dst_sel:BYTE_1 dst_unused:UNUSED_PAD src0_sel:DWORD src1_sel:BYTE_3
	v_sub_u16_sdwa v172, v172, v174 dst_sel:DWORD dst_unused:UNUSED_PAD src0_sel:WORD_1 src1_sel:WORD_1
	v_or_b32_sdwa v177, v177, v178 dst_sel:DWORD dst_unused:UNUSED_PAD src0_sel:BYTE_0 src1_sel:DWORD
	v_or_b32_sdwa v171, v172, v171 dst_sel:WORD_1 dst_unused:UNUSED_PAD src0_sel:BYTE_0 src1_sel:DWORD
	v_ashrrev_i32_e32 v174, s18, v175
	v_or_b32_sdwa v172, v177, v171 dst_sel:DWORD dst_unused:UNUSED_PAD src0_sel:WORD_0 src1_sel:DWORD
	v_ashrrev_i32_e32 v171, s20, v173
	v_lshlrev_b32_e32 v174, 2, v174
	v_and_b32_e32 v173, 0x3030303, v171
	v_bfe_u32 v171, v171, 24, 2
	v_and_b32_e32 v174, 0x4040404, v174
	v_sub_u16_e32 v175, v173, v174
	v_sub_u16_sdwa v177, v173, v174 dst_sel:BYTE_1 dst_unused:UNUSED_PAD src0_sel:BYTE_1 src1_sel:BYTE_1
	v_sub_u16_sdwa v171, v171, v174 dst_sel:BYTE_1 dst_unused:UNUSED_PAD src0_sel:DWORD src1_sel:BYTE_3
	v_sub_u16_sdwa v173, v173, v174 dst_sel:DWORD dst_unused:UNUSED_PAD src0_sel:WORD_1 src1_sel:WORD_1
	v_or_b32_sdwa v175, v175, v177 dst_sel:DWORD dst_unused:UNUSED_PAD src0_sel:BYTE_0 src1_sel:DWORD
	v_or_b32_sdwa v171, v173, v171 dst_sel:WORD_1 dst_unused:UNUSED_PAD src0_sel:BYTE_0 src1_sel:DWORD
	v_or_b32_sdwa v173, v175, v171 dst_sel:DWORD dst_unused:UNUSED_PAD src0_sel:WORD_0 src1_sel:DWORD
	ds_read2_b32 v[174:175], v119 offset0:6 offset1:7
	s_waitcnt lgkmcnt(1)
	v_ashrrev_i32_e32 v192, s18, v192
	v_lshlrev_b32_e32 v192, 2, v192
	v_and_b32_e32 v192, 0x4040404, v192
	s_waitcnt lgkmcnt(0)
	v_ashrrev_i32_e32 v119, s20, v174
	v_add_u32_e32 v174, 0x4218, v176
	ds_read2_b32 v[176:177], v174 offset1:1
	v_and_b32_e32 v171, 0x3030303, v119
	v_bfe_u32 v119, v119, 24, 2
	s_waitcnt lgkmcnt(0)
	v_ashrrev_i32_e32 v174, s18, v176
	v_lshlrev_b32_e32 v174, 2, v174
	v_and_b32_e32 v174, 0x4040404, v174
	v_sub_u16_e32 v176, v171, v174
	v_sub_u16_sdwa v178, v171, v174 dst_sel:BYTE_1 dst_unused:UNUSED_PAD src0_sel:BYTE_1 src1_sel:BYTE_1
	v_sub_u16_sdwa v119, v119, v174 dst_sel:BYTE_1 dst_unused:UNUSED_PAD src0_sel:DWORD src1_sel:BYTE_3
	v_sub_u16_sdwa v171, v171, v174 dst_sel:DWORD dst_unused:UNUSED_PAD src0_sel:WORD_1 src1_sel:WORD_1
	v_or_b32_sdwa v176, v176, v178 dst_sel:DWORD dst_unused:UNUSED_PAD src0_sel:BYTE_0 src1_sel:DWORD
	v_or_b32_sdwa v119, v171, v119 dst_sel:WORD_1 dst_unused:UNUSED_PAD src0_sel:BYTE_0 src1_sel:DWORD
	v_or_b32_sdwa v174, v176, v119 dst_sel:DWORD dst_unused:UNUSED_PAD src0_sel:WORD_0 src1_sel:DWORD
	v_ashrrev_i32_e32 v119, s20, v175
	v_ashrrev_i32_e32 v175, s18, v177
	v_lshlrev_b32_e32 v175, 2, v175
	v_and_b32_e32 v171, 0x3030303, v119
	v_bfe_u32 v119, v119, 24, 2
	v_and_b32_e32 v175, 0x4040404, v175
	v_sub_u16_e32 v176, v171, v175
	v_sub_u16_sdwa v177, v171, v175 dst_sel:BYTE_1 dst_unused:UNUSED_PAD src0_sel:BYTE_1 src1_sel:BYTE_1
	v_sub_u16_sdwa v119, v119, v175 dst_sel:BYTE_1 dst_unused:UNUSED_PAD src0_sel:DWORD src1_sel:BYTE_3
	v_sub_u16_sdwa v171, v171, v175 dst_sel:DWORD dst_unused:UNUSED_PAD src0_sel:WORD_1 src1_sel:WORD_1
	v_or_b32_sdwa v176, v176, v177 dst_sel:DWORD dst_unused:UNUSED_PAD src0_sel:BYTE_0 src1_sel:DWORD
	v_or_b32_sdwa v119, v171, v119 dst_sel:WORD_1 dst_unused:UNUSED_PAD src0_sel:BYTE_0 src1_sel:DWORD
	v_or_b32_sdwa v175, v176, v119 dst_sel:DWORD dst_unused:UNUSED_PAD src0_sel:WORD_0 src1_sel:DWORD
	v_add3_u32 v119, v141, s21, v118
	v_add_u32_e32 v171, s24, v127
	ds_read_b32 v171, v171
	ds_read_u16 v119, v119 offset:8194
	v_mov_b32_e32 v177, 0
	v_dot4c_i32_i8_e32 v177, v167, v4
	v_dot4c_i32_i8_e32 v177, v168, v5
	;; [unrolled: 1-line block ×3, first 2 shown]
	s_waitcnt lgkmcnt(0)
	v_lshrrev_b16_e32 v178, 8, v119
	v_bfe_i32 v176, v119, 0, 8
	v_mov_b32_e32 v119, 0
	v_dot4c_i32_i8_e32 v119, v172, v0
	v_dot4c_i32_i8_e32 v119, v173, v1
	;; [unrolled: 1-line block ×5, first 2 shown]
	v_bfe_i32 v178, v178, 0, 8
	v_mul_lo_u32 v180, v177, v176
	s_nop 0
	v_mad_u64_u32 v[180:181], s[26:27], v119, v178, v[180:181]
	v_cvt_f32_i32_e32 v177, v180
	v_mul_f32_e32 v119, v116, v171
	v_fmac_f32_e32 v97, v119, v177
	v_add_u32_e32 v119, s23, v129
	ds_read2_b32 v[180:181], v119 offset1:1
	s_waitcnt lgkmcnt(0)
	v_ashrrev_i32_e32 v177, s20, v180
	v_add_u32_e32 v180, 0x4200, v188
	ds_read2_b32 v[182:183], v180 offset1:1
	v_and_b32_e32 v179, 0x3030303, v177
	v_bfe_u32 v177, v177, 24, 2
	s_waitcnt lgkmcnt(0)
	v_ashrrev_i32_e32 v180, s18, v182
	v_lshlrev_b32_e32 v180, 2, v180
	v_and_b32_e32 v180, 0x4040404, v180
	v_sub_u16_e32 v182, v179, v180
	v_sub_u16_sdwa v184, v179, v180 dst_sel:BYTE_1 dst_unused:UNUSED_PAD src0_sel:BYTE_1 src1_sel:BYTE_1
	v_sub_u16_sdwa v177, v177, v180 dst_sel:BYTE_1 dst_unused:UNUSED_PAD src0_sel:DWORD src1_sel:BYTE_3
	v_sub_u16_sdwa v179, v179, v180 dst_sel:DWORD dst_unused:UNUSED_PAD src0_sel:WORD_1 src1_sel:WORD_1
	v_or_b32_sdwa v177, v179, v177 dst_sel:WORD_1 dst_unused:UNUSED_PAD src0_sel:BYTE_0 src1_sel:DWORD
	v_ashrrev_i32_e32 v179, s20, v181
	v_ashrrev_i32_e32 v181, s18, v183
	v_lshlrev_b32_e32 v181, 2, v181
	v_or_b32_sdwa v182, v182, v184 dst_sel:DWORD dst_unused:UNUSED_PAD src0_sel:BYTE_0 src1_sel:DWORD
	v_and_b32_e32 v180, 0x3030303, v179
	v_bfe_u32 v179, v179, 24, 2
	v_and_b32_e32 v181, 0x4040404, v181
	v_or_b32_sdwa v177, v182, v177 dst_sel:DWORD dst_unused:UNUSED_PAD src0_sel:WORD_0 src1_sel:DWORD
	v_sub_u16_e32 v182, v180, v181
	v_sub_u16_sdwa v183, v180, v181 dst_sel:BYTE_1 dst_unused:UNUSED_PAD src0_sel:BYTE_1 src1_sel:BYTE_1
	v_sub_u16_sdwa v179, v179, v181 dst_sel:BYTE_1 dst_unused:UNUSED_PAD src0_sel:DWORD src1_sel:BYTE_3
	v_sub_u16_sdwa v180, v180, v181 dst_sel:DWORD dst_unused:UNUSED_PAD src0_sel:WORD_1 src1_sel:WORD_1
	v_or_b32_sdwa v182, v182, v183 dst_sel:DWORD dst_unused:UNUSED_PAD src0_sel:BYTE_0 src1_sel:DWORD
	v_or_b32_sdwa v179, v180, v179 dst_sel:WORD_1 dst_unused:UNUSED_PAD src0_sel:BYTE_0 src1_sel:DWORD
	v_or_b32_sdwa v179, v182, v179 dst_sel:DWORD dst_unused:UNUSED_PAD src0_sel:WORD_0 src1_sel:DWORD
	v_add_u32_e32 v182, 0x4208, v188
	ds_read2_b32 v[180:181], v119 offset0:2 offset1:3
	ds_read2_b32 v[182:183], v182 offset1:1
	s_waitcnt lgkmcnt(1)
	v_ashrrev_i32_e32 v180, s20, v180
	s_waitcnt lgkmcnt(0)
	v_ashrrev_i32_e32 v182, s18, v182
	v_lshlrev_b32_e32 v182, 2, v182
	v_and_b32_e32 v184, 0x3030303, v180
	v_bfe_u32 v180, v180, 24, 2
	v_and_b32_e32 v182, 0x4040404, v182
	v_ashrrev_i32_e32 v183, s18, v183
	v_sub_u16_e32 v185, v184, v182
	v_sub_u16_sdwa v186, v184, v182 dst_sel:BYTE_1 dst_unused:UNUSED_PAD src0_sel:BYTE_1 src1_sel:BYTE_1
	v_sub_u16_sdwa v180, v180, v182 dst_sel:BYTE_1 dst_unused:UNUSED_PAD src0_sel:DWORD src1_sel:BYTE_3
	v_sub_u16_sdwa v182, v184, v182 dst_sel:DWORD dst_unused:UNUSED_PAD src0_sel:WORD_1 src1_sel:WORD_1
	v_ashrrev_i32_e32 v181, s20, v181
	v_lshlrev_b32_e32 v183, 2, v183
	v_or_b32_sdwa v185, v185, v186 dst_sel:DWORD dst_unused:UNUSED_PAD src0_sel:BYTE_0 src1_sel:DWORD
	v_or_b32_sdwa v180, v182, v180 dst_sel:WORD_1 dst_unused:UNUSED_PAD src0_sel:BYTE_0 src1_sel:DWORD
	v_and_b32_e32 v182, 0x3030303, v181
	v_bfe_u32 v181, v181, 24, 2
	v_and_b32_e32 v183, 0x4040404, v183
	v_or_b32_sdwa v180, v185, v180 dst_sel:DWORD dst_unused:UNUSED_PAD src0_sel:WORD_0 src1_sel:DWORD
	v_sub_u16_e32 v184, v182, v183
	v_sub_u16_sdwa v185, v182, v183 dst_sel:BYTE_1 dst_unused:UNUSED_PAD src0_sel:BYTE_1 src1_sel:BYTE_1
	v_sub_u16_sdwa v181, v181, v183 dst_sel:BYTE_1 dst_unused:UNUSED_PAD src0_sel:DWORD src1_sel:BYTE_3
	v_sub_u16_sdwa v182, v182, v183 dst_sel:DWORD dst_unused:UNUSED_PAD src0_sel:WORD_1 src1_sel:WORD_1
	v_or_b32_sdwa v184, v184, v185 dst_sel:DWORD dst_unused:UNUSED_PAD src0_sel:BYTE_0 src1_sel:DWORD
	v_or_b32_sdwa v181, v182, v181 dst_sel:WORD_1 dst_unused:UNUSED_PAD src0_sel:BYTE_0 src1_sel:DWORD
	v_or_b32_sdwa v181, v184, v181 dst_sel:DWORD dst_unused:UNUSED_PAD src0_sel:WORD_0 src1_sel:DWORD
	v_add_u32_e32 v184, 0x4210, v188
	ds_read2_b32 v[182:183], v119 offset0:4 offset1:5
	ds_read2_b32 v[184:185], v184 offset1:1
	s_waitcnt lgkmcnt(1)
	v_ashrrev_i32_e32 v182, s20, v182
	s_waitcnt lgkmcnt(0)
	v_ashrrev_i32_e32 v184, s18, v184
	v_lshlrev_b32_e32 v184, 2, v184
	v_and_b32_e32 v186, 0x3030303, v182
	v_bfe_u32 v182, v182, 24, 2
	v_and_b32_e32 v184, 0x4040404, v184
	v_ashrrev_i32_e32 v185, s18, v185
	v_sub_u16_e32 v187, v186, v184
	v_sub_u16_sdwa v189, v186, v184 dst_sel:BYTE_1 dst_unused:UNUSED_PAD src0_sel:BYTE_1 src1_sel:BYTE_1
	v_sub_u16_sdwa v182, v182, v184 dst_sel:BYTE_1 dst_unused:UNUSED_PAD src0_sel:DWORD src1_sel:BYTE_3
	v_sub_u16_sdwa v184, v186, v184 dst_sel:DWORD dst_unused:UNUSED_PAD src0_sel:WORD_1 src1_sel:WORD_1
	v_ashrrev_i32_e32 v183, s20, v183
	v_lshlrev_b32_e32 v185, 2, v185
	v_or_b32_sdwa v187, v187, v189 dst_sel:DWORD dst_unused:UNUSED_PAD src0_sel:BYTE_0 src1_sel:DWORD
	v_or_b32_sdwa v182, v184, v182 dst_sel:WORD_1 dst_unused:UNUSED_PAD src0_sel:BYTE_0 src1_sel:DWORD
	v_and_b32_e32 v184, 0x3030303, v183
	v_bfe_u32 v183, v183, 24, 2
	v_and_b32_e32 v185, 0x4040404, v185
	v_or_b32_sdwa v182, v187, v182 dst_sel:DWORD dst_unused:UNUSED_PAD src0_sel:WORD_0 src1_sel:DWORD
	v_sub_u16_e32 v186, v184, v185
	v_sub_u16_sdwa v187, v184, v185 dst_sel:BYTE_1 dst_unused:UNUSED_PAD src0_sel:BYTE_1 src1_sel:BYTE_1
	v_sub_u16_sdwa v183, v183, v185 dst_sel:BYTE_1 dst_unused:UNUSED_PAD src0_sel:DWORD src1_sel:BYTE_3
	v_sub_u16_sdwa v184, v184, v185 dst_sel:DWORD dst_unused:UNUSED_PAD src0_sel:WORD_1 src1_sel:WORD_1
	v_or_b32_sdwa v186, v186, v187 dst_sel:DWORD dst_unused:UNUSED_PAD src0_sel:BYTE_0 src1_sel:DWORD
	v_or_b32_sdwa v183, v184, v183 dst_sel:WORD_1 dst_unused:UNUSED_PAD src0_sel:BYTE_0 src1_sel:DWORD
	v_add_u32_e32 v185, 0x4218, v188
	v_or_b32_sdwa v184, v186, v183 dst_sel:DWORD dst_unused:UNUSED_PAD src0_sel:WORD_0 src1_sel:DWORD
	ds_read2_b32 v[186:187], v119 offset0:6 offset1:7
	ds_read2_b32 v[188:189], v185 offset1:1
	s_waitcnt lgkmcnt(1)
	v_ashrrev_i32_e32 v119, s20, v186
	s_waitcnt lgkmcnt(0)
	v_ashrrev_i32_e32 v185, s18, v188
	v_lshlrev_b32_e32 v185, 2, v185
	v_and_b32_e32 v183, 0x3030303, v119
	v_bfe_u32 v119, v119, 24, 2
	v_and_b32_e32 v185, 0x4040404, v185
	v_sub_u16_e32 v186, v183, v185
	v_sub_u16_sdwa v188, v183, v185 dst_sel:BYTE_1 dst_unused:UNUSED_PAD src0_sel:BYTE_1 src1_sel:BYTE_1
	v_sub_u16_sdwa v119, v119, v185 dst_sel:BYTE_1 dst_unused:UNUSED_PAD src0_sel:DWORD src1_sel:BYTE_3
	v_sub_u16_sdwa v183, v183, v185 dst_sel:DWORD dst_unused:UNUSED_PAD src0_sel:WORD_1 src1_sel:WORD_1
	v_or_b32_sdwa v186, v186, v188 dst_sel:DWORD dst_unused:UNUSED_PAD src0_sel:BYTE_0 src1_sel:DWORD
	v_or_b32_sdwa v119, v183, v119 dst_sel:WORD_1 dst_unused:UNUSED_PAD src0_sel:BYTE_0 src1_sel:DWORD
	v_or_b32_sdwa v185, v186, v119 dst_sel:DWORD dst_unused:UNUSED_PAD src0_sel:WORD_0 src1_sel:DWORD
	v_ashrrev_i32_e32 v186, s18, v189
	v_ashrrev_i32_e32 v119, s20, v187
	v_lshlrev_b32_e32 v186, 2, v186
	v_and_b32_e32 v183, 0x3030303, v119
	v_bfe_u32 v119, v119, 24, 2
	v_and_b32_e32 v186, 0x4040404, v186
	v_sub_u16_e32 v187, v183, v186
	v_sub_u16_sdwa v188, v183, v186 dst_sel:BYTE_1 dst_unused:UNUSED_PAD src0_sel:BYTE_1 src1_sel:BYTE_1
	v_sub_u16_sdwa v119, v119, v186 dst_sel:BYTE_1 dst_unused:UNUSED_PAD src0_sel:DWORD src1_sel:BYTE_3
	v_sub_u16_sdwa v183, v183, v186 dst_sel:DWORD dst_unused:UNUSED_PAD src0_sel:WORD_1 src1_sel:WORD_1
	v_or_b32_sdwa v187, v187, v188 dst_sel:DWORD dst_unused:UNUSED_PAD src0_sel:BYTE_0 src1_sel:DWORD
	v_or_b32_sdwa v119, v183, v119 dst_sel:WORD_1 dst_unused:UNUSED_PAD src0_sel:BYTE_0 src1_sel:DWORD
	v_or_b32_sdwa v186, v187, v119 dst_sel:DWORD dst_unused:UNUSED_PAD src0_sel:WORD_0 src1_sel:DWORD
	v_add3_u32 v119, v143, s21, v118
	v_add_u32_e32 v183, s24, v130
	ds_read_b32 v183, v183
	ds_read_u16 v119, v119 offset:9218
	v_mov_b32_e32 v188, 0
	v_dot4c_i32_i8_e32 v188, v177, v4
	v_dot4c_i32_i8_e32 v188, v179, v5
	;; [unrolled: 1-line block ×3, first 2 shown]
	s_waitcnt lgkmcnt(0)
	v_lshrrev_b16_e32 v189, 8, v119
	v_bfe_i32 v187, v119, 0, 8
	v_mov_b32_e32 v119, 0
	v_dot4c_i32_i8_e32 v119, v182, v0
	v_dot4c_i32_i8_e32 v119, v184, v1
	;; [unrolled: 1-line block ×5, first 2 shown]
	v_bfe_i32 v189, v189, 0, 8
	v_mul_lo_u32 v188, v188, v187
	s_nop 0
	v_mad_u64_u32 v[190:191], s[26:27], v119, v189, v[188:189]
	v_cvt_f32_i32_e32 v188, v190
	v_mul_f32_e32 v119, v116, v183
	v_fmac_f32_e32 v83, v119, v188
	v_add_u32_e32 v119, s23, v132
	ds_read2_b32 v[190:191], v119 offset1:1
	s_waitcnt lgkmcnt(0)
	v_ashrrev_i32_e32 v188, s20, v190
	v_and_b32_e32 v190, 0x3030303, v188
	v_bfe_u32 v188, v188, 24, 2
	v_sub_u16_e32 v194, v190, v192
	v_sub_u16_sdwa v195, v190, v192 dst_sel:BYTE_1 dst_unused:UNUSED_PAD src0_sel:BYTE_1 src1_sel:BYTE_1
	v_sub_u16_sdwa v188, v188, v192 dst_sel:BYTE_1 dst_unused:UNUSED_PAD src0_sel:DWORD src1_sel:BYTE_3
	v_sub_u16_sdwa v190, v190, v192 dst_sel:DWORD dst_unused:UNUSED_PAD src0_sel:WORD_1 src1_sel:WORD_1
	v_ashrrev_i32_e32 v192, s18, v193
	v_or_b32_sdwa v188, v190, v188 dst_sel:WORD_1 dst_unused:UNUSED_PAD src0_sel:BYTE_0 src1_sel:DWORD
	v_ashrrev_i32_e32 v190, s20, v191
	v_lshlrev_b32_e32 v192, 2, v192
	v_or_b32_sdwa v194, v194, v195 dst_sel:DWORD dst_unused:UNUSED_PAD src0_sel:BYTE_0 src1_sel:DWORD
	v_and_b32_e32 v191, 0x3030303, v190
	v_bfe_u32 v190, v190, 24, 2
	v_and_b32_e32 v192, 0x4040404, v192
	v_or_b32_sdwa v188, v194, v188 dst_sel:DWORD dst_unused:UNUSED_PAD src0_sel:WORD_0 src1_sel:DWORD
	v_sub_u16_e32 v193, v191, v192
	v_sub_u16_sdwa v194, v191, v192 dst_sel:BYTE_1 dst_unused:UNUSED_PAD src0_sel:BYTE_1 src1_sel:BYTE_1
	v_sub_u16_sdwa v190, v190, v192 dst_sel:BYTE_1 dst_unused:UNUSED_PAD src0_sel:DWORD src1_sel:BYTE_3
	v_sub_u16_sdwa v191, v191, v192 dst_sel:DWORD dst_unused:UNUSED_PAD src0_sel:WORD_1 src1_sel:WORD_1
	v_or_b32_sdwa v193, v193, v194 dst_sel:DWORD dst_unused:UNUSED_PAD src0_sel:BYTE_0 src1_sel:DWORD
	v_or_b32_sdwa v190, v191, v190 dst_sel:WORD_1 dst_unused:UNUSED_PAD src0_sel:BYTE_0 src1_sel:DWORD
	v_add_u32_e32 v194, 0x4208, v198
	v_or_b32_sdwa v190, v193, v190 dst_sel:DWORD dst_unused:UNUSED_PAD src0_sel:WORD_0 src1_sel:DWORD
	ds_read2_b32 v[192:193], v119 offset0:2 offset1:3
	ds_read2_b32 v[194:195], v194 offset1:1
	s_waitcnt lgkmcnt(1)
	v_ashrrev_i32_e32 v191, s20, v192
	s_waitcnt lgkmcnt(0)
	v_ashrrev_i32_e32 v194, s18, v194
	v_lshlrev_b32_e32 v194, 2, v194
	v_and_b32_e32 v192, 0x3030303, v191
	v_bfe_u32 v191, v191, 24, 2
	v_and_b32_e32 v194, 0x4040404, v194
	v_sub_u16_e32 v196, v192, v194
	v_sub_u16_sdwa v197, v192, v194 dst_sel:BYTE_1 dst_unused:UNUSED_PAD src0_sel:BYTE_1 src1_sel:BYTE_1
	v_sub_u16_sdwa v191, v191, v194 dst_sel:BYTE_1 dst_unused:UNUSED_PAD src0_sel:DWORD src1_sel:BYTE_3
	v_sub_u16_sdwa v192, v192, v194 dst_sel:DWORD dst_unused:UNUSED_PAD src0_sel:WORD_1 src1_sel:WORD_1
	v_ashrrev_i32_e32 v194, s18, v195
	v_or_b32_sdwa v191, v192, v191 dst_sel:WORD_1 dst_unused:UNUSED_PAD src0_sel:BYTE_0 src1_sel:DWORD
	v_ashrrev_i32_e32 v192, s20, v193
	v_lshlrev_b32_e32 v194, 2, v194
	v_or_b32_sdwa v196, v196, v197 dst_sel:DWORD dst_unused:UNUSED_PAD src0_sel:BYTE_0 src1_sel:DWORD
	v_and_b32_e32 v193, 0x3030303, v192
	v_bfe_u32 v192, v192, 24, 2
	v_and_b32_e32 v194, 0x4040404, v194
	v_or_b32_sdwa v191, v196, v191 dst_sel:DWORD dst_unused:UNUSED_PAD src0_sel:WORD_0 src1_sel:DWORD
	v_sub_u16_e32 v195, v193, v194
	v_sub_u16_sdwa v196, v193, v194 dst_sel:BYTE_1 dst_unused:UNUSED_PAD src0_sel:BYTE_1 src1_sel:BYTE_1
	v_sub_u16_sdwa v192, v192, v194 dst_sel:BYTE_1 dst_unused:UNUSED_PAD src0_sel:DWORD src1_sel:BYTE_3
	v_sub_u16_sdwa v193, v193, v194 dst_sel:DWORD dst_unused:UNUSED_PAD src0_sel:WORD_1 src1_sel:WORD_1
	v_or_b32_sdwa v195, v195, v196 dst_sel:DWORD dst_unused:UNUSED_PAD src0_sel:BYTE_0 src1_sel:DWORD
	v_or_b32_sdwa v192, v193, v192 dst_sel:WORD_1 dst_unused:UNUSED_PAD src0_sel:BYTE_0 src1_sel:DWORD
	v_add_u32_e32 v196, 0x4210, v198
	v_or_b32_sdwa v192, v195, v192 dst_sel:DWORD dst_unused:UNUSED_PAD src0_sel:WORD_0 src1_sel:DWORD
	ds_read2_b32 v[194:195], v119 offset0:4 offset1:5
	ds_read2_b32 v[196:197], v196 offset1:1
	s_waitcnt lgkmcnt(1)
	v_ashrrev_i32_e32 v193, s20, v194
	s_waitcnt lgkmcnt(0)
	v_ashrrev_i32_e32 v196, s18, v196
	v_lshlrev_b32_e32 v196, 2, v196
	v_and_b32_e32 v194, 0x3030303, v193
	v_bfe_u32 v193, v193, 24, 2
	v_and_b32_e32 v196, 0x4040404, v196
	v_sub_u16_e32 v199, v194, v196
	v_sub_u16_sdwa v200, v194, v196 dst_sel:BYTE_1 dst_unused:UNUSED_PAD src0_sel:BYTE_1 src1_sel:BYTE_1
	v_sub_u16_sdwa v193, v193, v196 dst_sel:BYTE_1 dst_unused:UNUSED_PAD src0_sel:DWORD src1_sel:BYTE_3
	v_sub_u16_sdwa v194, v194, v196 dst_sel:DWORD dst_unused:UNUSED_PAD src0_sel:WORD_1 src1_sel:WORD_1
	v_ashrrev_i32_e32 v196, s18, v197
	v_or_b32_sdwa v193, v194, v193 dst_sel:WORD_1 dst_unused:UNUSED_PAD src0_sel:BYTE_0 src1_sel:DWORD
	v_ashrrev_i32_e32 v194, s20, v195
	v_lshlrev_b32_e32 v196, 2, v196
	v_or_b32_sdwa v199, v199, v200 dst_sel:DWORD dst_unused:UNUSED_PAD src0_sel:BYTE_0 src1_sel:DWORD
	v_and_b32_e32 v195, 0x3030303, v194
	v_bfe_u32 v194, v194, 24, 2
	v_and_b32_e32 v196, 0x4040404, v196
	v_or_b32_sdwa v193, v199, v193 dst_sel:DWORD dst_unused:UNUSED_PAD src0_sel:WORD_0 src1_sel:DWORD
	v_sub_u16_e32 v197, v195, v196
	v_sub_u16_sdwa v199, v195, v196 dst_sel:BYTE_1 dst_unused:UNUSED_PAD src0_sel:BYTE_1 src1_sel:BYTE_1
	v_sub_u16_sdwa v194, v194, v196 dst_sel:BYTE_1 dst_unused:UNUSED_PAD src0_sel:DWORD src1_sel:BYTE_3
	v_sub_u16_sdwa v195, v195, v196 dst_sel:DWORD dst_unused:UNUSED_PAD src0_sel:WORD_1 src1_sel:WORD_1
	v_or_b32_sdwa v197, v197, v199 dst_sel:DWORD dst_unused:UNUSED_PAD src0_sel:BYTE_0 src1_sel:DWORD
	v_or_b32_sdwa v194, v195, v194 dst_sel:WORD_1 dst_unused:UNUSED_PAD src0_sel:BYTE_0 src1_sel:DWORD
	v_or_b32_sdwa v195, v197, v194 dst_sel:DWORD dst_unused:UNUSED_PAD src0_sel:WORD_0 src1_sel:DWORD
	ds_read2_b32 v[196:197], v119 offset0:6 offset1:7
	s_waitcnt lgkmcnt(0)
	v_ashrrev_i32_e32 v119, s20, v196
	v_add_u32_e32 v196, 0x4218, v198
	ds_read2_b32 v[198:199], v196 offset1:1
	v_and_b32_e32 v194, 0x3030303, v119
	v_bfe_u32 v119, v119, 24, 2
	s_waitcnt lgkmcnt(0)
	v_ashrrev_i32_e32 v196, s18, v198
	v_lshlrev_b32_e32 v196, 2, v196
	v_and_b32_e32 v196, 0x4040404, v196
	v_sub_u16_e32 v198, v194, v196
	v_sub_u16_sdwa v200, v194, v196 dst_sel:BYTE_1 dst_unused:UNUSED_PAD src0_sel:BYTE_1 src1_sel:BYTE_1
	v_sub_u16_sdwa v119, v119, v196 dst_sel:BYTE_1 dst_unused:UNUSED_PAD src0_sel:DWORD src1_sel:BYTE_3
	v_sub_u16_sdwa v194, v194, v196 dst_sel:DWORD dst_unused:UNUSED_PAD src0_sel:WORD_1 src1_sel:WORD_1
	v_or_b32_sdwa v198, v198, v200 dst_sel:DWORD dst_unused:UNUSED_PAD src0_sel:BYTE_0 src1_sel:DWORD
	v_or_b32_sdwa v119, v194, v119 dst_sel:WORD_1 dst_unused:UNUSED_PAD src0_sel:BYTE_0 src1_sel:DWORD
	v_or_b32_sdwa v196, v198, v119 dst_sel:DWORD dst_unused:UNUSED_PAD src0_sel:WORD_0 src1_sel:DWORD
	v_ashrrev_i32_e32 v119, s20, v197
	v_ashrrev_i32_e32 v197, s18, v199
	v_lshlrev_b32_e32 v197, 2, v197
	v_and_b32_e32 v194, 0x3030303, v119
	v_bfe_u32 v119, v119, 24, 2
	v_and_b32_e32 v197, 0x4040404, v197
	v_sub_u16_e32 v198, v194, v197
	v_sub_u16_sdwa v199, v194, v197 dst_sel:BYTE_1 dst_unused:UNUSED_PAD src0_sel:BYTE_1 src1_sel:BYTE_1
	v_sub_u16_sdwa v119, v119, v197 dst_sel:BYTE_1 dst_unused:UNUSED_PAD src0_sel:DWORD src1_sel:BYTE_3
	v_sub_u16_sdwa v194, v194, v197 dst_sel:DWORD dst_unused:UNUSED_PAD src0_sel:WORD_1 src1_sel:WORD_1
	v_or_b32_sdwa v198, v198, v199 dst_sel:DWORD dst_unused:UNUSED_PAD src0_sel:BYTE_0 src1_sel:DWORD
	v_or_b32_sdwa v119, v194, v119 dst_sel:WORD_1 dst_unused:UNUSED_PAD src0_sel:BYTE_0 src1_sel:DWORD
	v_or_b32_sdwa v197, v198, v119 dst_sel:DWORD dst_unused:UNUSED_PAD src0_sel:WORD_0 src1_sel:DWORD
	v_add3_u32 v119, v145, s21, v118
	v_add_u32_e32 v194, s24, v133
	ds_read_b32 v194, v194
	ds_read_u16 v119, v119 offset:10242
	v_mov_b32_e32 v199, 0
	v_dot4c_i32_i8_e32 v199, v188, v4
	v_dot4c_i32_i8_e32 v199, v190, v5
	;; [unrolled: 1-line block ×3, first 2 shown]
	s_waitcnt lgkmcnt(0)
	v_lshrrev_b16_e32 v200, 8, v119
	v_bfe_i32 v198, v119, 0, 8
	v_mov_b32_e32 v119, 0
	v_dot4c_i32_i8_e32 v119, v193, v0
	v_dot4c_i32_i8_e32 v119, v195, v1
	;; [unrolled: 1-line block ×5, first 2 shown]
	v_bfe_i32 v200, v200, 0, 8
	v_mul_lo_u32 v202, v199, v198
	v_add3_u32 v118, v147, s21, v118
	v_mad_u64_u32 v[202:203], s[26:27], v119, v200, v[202:203]
	v_cvt_f32_i32_e32 v199, v202
	v_mul_f32_e32 v119, v116, v194
	s_mov_b32 s21, s20
	v_fmac_f32_e32 v81, v119, v199
	v_add_u32_e32 v119, s23, v135
	ds_read2_b32 v[202:203], v119 offset1:1
	s_waitcnt lgkmcnt(0)
	v_ashrrev_i32_e32 v199, s20, v202
	v_add_u32_e32 v202, 0x4200, v210
	ds_read2_b32 v[204:205], v202 offset1:1
	v_and_b32_e32 v201, 0x3030303, v199
	v_bfe_u32 v199, v199, 24, 2
	s_waitcnt lgkmcnt(0)
	v_ashrrev_i32_e32 v202, s18, v204
	v_lshlrev_b32_e32 v202, 2, v202
	v_and_b32_e32 v202, 0x4040404, v202
	v_sub_u16_e32 v204, v201, v202
	v_sub_u16_sdwa v206, v201, v202 dst_sel:BYTE_1 dst_unused:UNUSED_PAD src0_sel:BYTE_1 src1_sel:BYTE_1
	v_sub_u16_sdwa v199, v199, v202 dst_sel:BYTE_1 dst_unused:UNUSED_PAD src0_sel:DWORD src1_sel:BYTE_3
	v_sub_u16_sdwa v201, v201, v202 dst_sel:DWORD dst_unused:UNUSED_PAD src0_sel:WORD_1 src1_sel:WORD_1
	v_or_b32_sdwa v199, v201, v199 dst_sel:WORD_1 dst_unused:UNUSED_PAD src0_sel:BYTE_0 src1_sel:DWORD
	v_ashrrev_i32_e32 v201, s20, v203
	v_ashrrev_i32_e32 v203, s18, v205
	v_lshlrev_b32_e32 v203, 2, v203
	v_or_b32_sdwa v204, v204, v206 dst_sel:DWORD dst_unused:UNUSED_PAD src0_sel:BYTE_0 src1_sel:DWORD
	v_and_b32_e32 v202, 0x3030303, v201
	v_bfe_u32 v201, v201, 24, 2
	v_and_b32_e32 v203, 0x4040404, v203
	v_or_b32_sdwa v199, v204, v199 dst_sel:DWORD dst_unused:UNUSED_PAD src0_sel:WORD_0 src1_sel:DWORD
	v_sub_u16_e32 v204, v202, v203
	v_sub_u16_sdwa v205, v202, v203 dst_sel:BYTE_1 dst_unused:UNUSED_PAD src0_sel:BYTE_1 src1_sel:BYTE_1
	v_sub_u16_sdwa v201, v201, v203 dst_sel:BYTE_1 dst_unused:UNUSED_PAD src0_sel:DWORD src1_sel:BYTE_3
	v_sub_u16_sdwa v202, v202, v203 dst_sel:DWORD dst_unused:UNUSED_PAD src0_sel:WORD_1 src1_sel:WORD_1
	v_or_b32_sdwa v204, v204, v205 dst_sel:DWORD dst_unused:UNUSED_PAD src0_sel:BYTE_0 src1_sel:DWORD
	v_or_b32_sdwa v201, v202, v201 dst_sel:WORD_1 dst_unused:UNUSED_PAD src0_sel:BYTE_0 src1_sel:DWORD
	v_or_b32_sdwa v201, v204, v201 dst_sel:DWORD dst_unused:UNUSED_PAD src0_sel:WORD_0 src1_sel:DWORD
	v_add_u32_e32 v204, 0x4208, v210
	ds_read2_b32 v[202:203], v119 offset0:2 offset1:3
	ds_read2_b32 v[204:205], v204 offset1:1
	s_waitcnt lgkmcnt(1)
	v_ashrrev_i32_e32 v202, s20, v202
	s_waitcnt lgkmcnt(0)
	v_ashrrev_i32_e32 v204, s18, v204
	v_lshlrev_b32_e32 v204, 2, v204
	v_and_b32_e32 v206, 0x3030303, v202
	v_bfe_u32 v202, v202, 24, 2
	v_and_b32_e32 v204, 0x4040404, v204
	v_ashrrev_i32_e32 v205, s18, v205
	v_sub_u16_e32 v207, v206, v204
	v_sub_u16_sdwa v208, v206, v204 dst_sel:BYTE_1 dst_unused:UNUSED_PAD src0_sel:BYTE_1 src1_sel:BYTE_1
	v_sub_u16_sdwa v202, v202, v204 dst_sel:BYTE_1 dst_unused:UNUSED_PAD src0_sel:DWORD src1_sel:BYTE_3
	v_sub_u16_sdwa v204, v206, v204 dst_sel:DWORD dst_unused:UNUSED_PAD src0_sel:WORD_1 src1_sel:WORD_1
	v_ashrrev_i32_e32 v203, s20, v203
	v_lshlrev_b32_e32 v205, 2, v205
	v_or_b32_sdwa v207, v207, v208 dst_sel:DWORD dst_unused:UNUSED_PAD src0_sel:BYTE_0 src1_sel:DWORD
	v_or_b32_sdwa v202, v204, v202 dst_sel:WORD_1 dst_unused:UNUSED_PAD src0_sel:BYTE_0 src1_sel:DWORD
	v_and_b32_e32 v204, 0x3030303, v203
	v_bfe_u32 v203, v203, 24, 2
	v_and_b32_e32 v205, 0x4040404, v205
	v_or_b32_sdwa v202, v207, v202 dst_sel:DWORD dst_unused:UNUSED_PAD src0_sel:WORD_0 src1_sel:DWORD
	v_sub_u16_e32 v206, v204, v205
	v_sub_u16_sdwa v207, v204, v205 dst_sel:BYTE_1 dst_unused:UNUSED_PAD src0_sel:BYTE_1 src1_sel:BYTE_1
	v_sub_u16_sdwa v203, v203, v205 dst_sel:BYTE_1 dst_unused:UNUSED_PAD src0_sel:DWORD src1_sel:BYTE_3
	v_sub_u16_sdwa v204, v204, v205 dst_sel:DWORD dst_unused:UNUSED_PAD src0_sel:WORD_1 src1_sel:WORD_1
	v_or_b32_sdwa v206, v206, v207 dst_sel:DWORD dst_unused:UNUSED_PAD src0_sel:BYTE_0 src1_sel:DWORD
	v_or_b32_sdwa v203, v204, v203 dst_sel:WORD_1 dst_unused:UNUSED_PAD src0_sel:BYTE_0 src1_sel:DWORD
	v_or_b32_sdwa v203, v206, v203 dst_sel:DWORD dst_unused:UNUSED_PAD src0_sel:WORD_0 src1_sel:DWORD
	v_add_u32_e32 v206, 0x4210, v210
	ds_read2_b32 v[204:205], v119 offset0:4 offset1:5
	ds_read2_b32 v[206:207], v206 offset1:1
	s_waitcnt lgkmcnt(1)
	v_ashrrev_i32_e32 v204, s20, v204
	s_waitcnt lgkmcnt(0)
	v_ashrrev_i32_e32 v206, s18, v206
	v_lshlrev_b32_e32 v206, 2, v206
	v_and_b32_e32 v208, 0x3030303, v204
	v_bfe_u32 v204, v204, 24, 2
	v_and_b32_e32 v206, 0x4040404, v206
	v_ashrrev_i32_e32 v207, s18, v207
	v_sub_u16_e32 v209, v208, v206
	v_sub_u16_sdwa v211, v208, v206 dst_sel:BYTE_1 dst_unused:UNUSED_PAD src0_sel:BYTE_1 src1_sel:BYTE_1
	v_sub_u16_sdwa v204, v204, v206 dst_sel:BYTE_1 dst_unused:UNUSED_PAD src0_sel:DWORD src1_sel:BYTE_3
	v_sub_u16_sdwa v206, v208, v206 dst_sel:DWORD dst_unused:UNUSED_PAD src0_sel:WORD_1 src1_sel:WORD_1
	v_ashrrev_i32_e32 v205, s20, v205
	v_lshlrev_b32_e32 v207, 2, v207
	v_or_b32_sdwa v209, v209, v211 dst_sel:DWORD dst_unused:UNUSED_PAD src0_sel:BYTE_0 src1_sel:DWORD
	v_or_b32_sdwa v204, v206, v204 dst_sel:WORD_1 dst_unused:UNUSED_PAD src0_sel:BYTE_0 src1_sel:DWORD
	v_and_b32_e32 v206, 0x3030303, v205
	v_bfe_u32 v205, v205, 24, 2
	v_and_b32_e32 v207, 0x4040404, v207
	v_or_b32_sdwa v204, v209, v204 dst_sel:DWORD dst_unused:UNUSED_PAD src0_sel:WORD_0 src1_sel:DWORD
	v_sub_u16_e32 v208, v206, v207
	v_sub_u16_sdwa v209, v206, v207 dst_sel:BYTE_1 dst_unused:UNUSED_PAD src0_sel:BYTE_1 src1_sel:BYTE_1
	v_sub_u16_sdwa v205, v205, v207 dst_sel:BYTE_1 dst_unused:UNUSED_PAD src0_sel:DWORD src1_sel:BYTE_3
	v_sub_u16_sdwa v206, v206, v207 dst_sel:DWORD dst_unused:UNUSED_PAD src0_sel:WORD_1 src1_sel:WORD_1
	v_or_b32_sdwa v208, v208, v209 dst_sel:DWORD dst_unused:UNUSED_PAD src0_sel:BYTE_0 src1_sel:DWORD
	v_or_b32_sdwa v205, v206, v205 dst_sel:WORD_1 dst_unused:UNUSED_PAD src0_sel:BYTE_0 src1_sel:DWORD
	v_add_u32_e32 v207, 0x4218, v210
	v_or_b32_sdwa v206, v208, v205 dst_sel:DWORD dst_unused:UNUSED_PAD src0_sel:WORD_0 src1_sel:DWORD
	ds_read2_b32 v[208:209], v119 offset0:6 offset1:7
	ds_read2_b32 v[210:211], v207 offset1:1
	s_waitcnt lgkmcnt(1)
	v_ashrrev_i32_e32 v119, s20, v208
	s_waitcnt lgkmcnt(0)
	v_ashrrev_i32_e32 v207, s18, v210
	v_lshlrev_b32_e32 v207, 2, v207
	v_and_b32_e32 v205, 0x3030303, v119
	v_bfe_u32 v119, v119, 24, 2
	v_and_b32_e32 v207, 0x4040404, v207
	v_sub_u16_e32 v208, v205, v207
	v_sub_u16_sdwa v210, v205, v207 dst_sel:BYTE_1 dst_unused:UNUSED_PAD src0_sel:BYTE_1 src1_sel:BYTE_1
	v_sub_u16_sdwa v119, v119, v207 dst_sel:BYTE_1 dst_unused:UNUSED_PAD src0_sel:DWORD src1_sel:BYTE_3
	v_sub_u16_sdwa v205, v205, v207 dst_sel:DWORD dst_unused:UNUSED_PAD src0_sel:WORD_1 src1_sel:WORD_1
	v_or_b32_sdwa v208, v208, v210 dst_sel:DWORD dst_unused:UNUSED_PAD src0_sel:BYTE_0 src1_sel:DWORD
	v_or_b32_sdwa v119, v205, v119 dst_sel:WORD_1 dst_unused:UNUSED_PAD src0_sel:BYTE_0 src1_sel:DWORD
	v_or_b32_sdwa v207, v208, v119 dst_sel:DWORD dst_unused:UNUSED_PAD src0_sel:WORD_0 src1_sel:DWORD
	v_ashrrev_i32_e32 v208, s18, v211
	v_ashrrev_i32_e32 v119, s20, v209
	v_lshlrev_b32_e32 v208, 2, v208
	v_and_b32_e32 v205, 0x3030303, v119
	v_bfe_u32 v119, v119, 24, 2
	v_and_b32_e32 v208, 0x4040404, v208
	v_sub_u16_e32 v209, v205, v208
	v_sub_u16_sdwa v210, v205, v208 dst_sel:BYTE_1 dst_unused:UNUSED_PAD src0_sel:BYTE_1 src1_sel:BYTE_1
	v_sub_u16_sdwa v119, v119, v208 dst_sel:BYTE_1 dst_unused:UNUSED_PAD src0_sel:DWORD src1_sel:BYTE_3
	v_sub_u16_sdwa v205, v205, v208 dst_sel:DWORD dst_unused:UNUSED_PAD src0_sel:WORD_1 src1_sel:WORD_1
	v_or_b32_sdwa v209, v209, v210 dst_sel:DWORD dst_unused:UNUSED_PAD src0_sel:BYTE_0 src1_sel:DWORD
	v_or_b32_sdwa v119, v205, v119 dst_sel:WORD_1 dst_unused:UNUSED_PAD src0_sel:BYTE_0 src1_sel:DWORD
	v_or_b32_sdwa v208, v209, v119 dst_sel:DWORD dst_unused:UNUSED_PAD src0_sel:WORD_0 src1_sel:DWORD
	v_add_u32_e32 v119, s24, v136
	ds_read_b32 v205, v119
	v_mov_b32_e32 v119, 0
	v_dot4c_i32_i8_e32 v119, v199, v4
	ds_read_u16 v4, v118 offset:11266
	v_dot4c_i32_i8_e32 v119, v201, v5
	v_dot4c_i32_i8_e32 v119, v202, v6
	v_mov_b32_e32 v6, 0
	v_dot4c_i32_i8_e32 v6, v204, v0
	v_dot4c_i32_i8_e32 v6, v206, v1
	;; [unrolled: 1-line block ×3, first 2 shown]
	s_waitcnt lgkmcnt(0)
	v_lshrrev_b16_e32 v5, 8, v4
	v_bfe_i32 v209, v4, 0, 8
	v_dot4c_i32_i8_e32 v6, v207, v2
	v_mul_lo_u32 v4, v119, v209
	v_dot4c_i32_i8_e32 v6, v208, v3
	v_bfe_i32 v210, v5, 0, 8
	v_mov_b32_e32 v118, 0
	s_add_i32 s18, s18, 1
	v_mad_u64_u32 v[0:1], s[22:23], v6, v210, v[4:5]
	v_cvt_f32_i32_e32 v0, v0
	v_mul_f32_e32 v1, v116, v205
	v_mov_b32_e32 v116, 0
	s_cmp_lt_u32 s20, 6
	v_fmac_f32_e32 v75, v1, v0
	ds_read_b128 v[0:3], v165 offset:26368
	ds_read_b128 v[4:7], v165 offset:26384
	s_waitcnt lgkmcnt(1)
	v_dot4c_i32_i8_e32 v116, v167, v0
	v_dot4c_i32_i8_e32 v116, v168, v1
	s_waitcnt lgkmcnt(0)
	v_dot4c_i32_i8_e32 v118, v172, v4
	v_dot4c_i32_i8_e32 v116, v169, v2
	;; [unrolled: 1-line block ×6, first 2 shown]
	s_nop 0
	v_mul_lo_u32 v116, v116, v176
	s_nop 0
	v_mad_u64_u32 v[118:119], s[22:23], v118, v178, v[116:117]
	v_cvt_f32_i32_e32 v118, v118
	v_mul_f32_e32 v116, v171, v117
	v_fmac_f32_e32 v71, v116, v118
	v_mov_b32_e32 v116, 0
	v_dot4c_i32_i8_e32 v116, v177, v0
	v_mov_b32_e32 v118, 0
	v_dot4c_i32_i8_e32 v116, v179, v1
	v_dot4c_i32_i8_e32 v118, v182, v4
	;; [unrolled: 1-line block ×7, first 2 shown]
	s_nop 0
	v_mul_lo_u32 v116, v116, v187
	s_nop 0
	v_mad_u64_u32 v[118:119], s[22:23], v118, v189, v[116:117]
	v_cvt_f32_i32_e32 v118, v118
	v_mul_f32_e32 v116, v183, v117
	v_fmac_f32_e32 v69, v116, v118
	v_mov_b32_e32 v116, 0
	v_dot4c_i32_i8_e32 v116, v188, v0
	v_mov_b32_e32 v118, 0
	v_dot4c_i32_i8_e32 v116, v190, v1
	v_dot4c_i32_i8_e32 v118, v193, v4
	;; [unrolled: 1-line block ×7, first 2 shown]
	s_nop 0
	v_mul_lo_u32 v116, v116, v198
	s_nop 0
	v_mad_u64_u32 v[118:119], s[22:23], v118, v200, v[116:117]
	v_cvt_f32_i32_e32 v118, v118
	v_mul_f32_e32 v116, v194, v117
	v_fmac_f32_e32 v65, v116, v118
	v_mov_b32_e32 v116, 0
	v_dot4c_i32_i8_e32 v116, v199, v0
	v_dot4c_i32_i8_e32 v116, v201, v1
	v_mov_b32_e32 v1, 0
	v_dot4c_i32_i8_e32 v1, v204, v4
	v_dot4c_i32_i8_e32 v116, v202, v2
	;; [unrolled: 1-line block ×6, first 2 shown]
	s_nop 0
	v_mul_lo_u32 v0, v116, v209
	s_nop 0
	v_mad_u64_u32 v[0:1], s[22:23], v1, v210, v[0:1]
	v_cvt_f32_i32_e32 v0, v0
	v_mul_f32_e32 v1, v205, v117
	v_fmac_f32_e32 v61, v1, v0
	v_add_u32_e32 v0, 0x9800, v166
	ds_read2_b32 v[6:7], v0 offset0:40 offset1:72
	ds_read_b128 v[2:5], v165 offset:27392
	ds_read_b128 v[116:119], v165 offset:27408
	v_mov_b32_e32 v1, 0
	v_add_u32_e32 v166, 4, v166
	s_waitcnt lgkmcnt(1)
	v_dot4c_i32_i8_e32 v1, v167, v2
	v_dot4c_i32_i8_e32 v1, v168, v3
	;; [unrolled: 1-line block ×4, first 2 shown]
	s_nop 2
	v_mul_lo_u32 v212, v1, v176
	v_mov_b32_e32 v1, 0
	s_waitcnt lgkmcnt(0)
	v_dot4c_i32_i8_e32 v1, v172, v116
	v_dot4c_i32_i8_e32 v1, v173, v117
	;; [unrolled: 1-line block ×4, first 2 shown]
	s_nop 2
	v_mad_u64_u32 v[212:213], s[22:23], v1, v178, v[212:213]
	v_cvt_f32_i32_e32 v211, v212
	v_mul_f32_e32 v1, v171, v6
	v_fmac_f32_e32 v59, v1, v211
	v_mov_b32_e32 v1, 0
	v_dot4c_i32_i8_e32 v1, v177, v2
	v_dot4c_i32_i8_e32 v1, v179, v3
	;; [unrolled: 1-line block ×4, first 2 shown]
	s_nop 2
	v_mul_lo_u32 v212, v1, v187
	v_mov_b32_e32 v1, 0
	v_dot4c_i32_i8_e32 v1, v182, v116
	v_dot4c_i32_i8_e32 v1, v184, v117
	;; [unrolled: 1-line block ×4, first 2 shown]
	s_nop 2
	v_mad_u64_u32 v[212:213], s[22:23], v1, v189, v[212:213]
	v_cvt_f32_i32_e32 v211, v212
	v_mul_f32_e32 v1, v183, v6
	v_fmac_f32_e32 v57, v1, v211
	v_mov_b32_e32 v1, 0
	v_dot4c_i32_i8_e32 v1, v188, v2
	v_dot4c_i32_i8_e32 v1, v190, v3
	;; [unrolled: 1-line block ×4, first 2 shown]
	s_nop 2
	v_mul_lo_u32 v212, v1, v198
	v_mov_b32_e32 v1, 0
	v_dot4c_i32_i8_e32 v1, v193, v116
	v_dot4c_i32_i8_e32 v1, v195, v117
	;; [unrolled: 1-line block ×4, first 2 shown]
	s_nop 2
	v_mad_u64_u32 v[212:213], s[22:23], v1, v200, v[212:213]
	v_cvt_f32_i32_e32 v211, v212
	v_mul_f32_e32 v1, v194, v6
	v_fmac_f32_e32 v55, v1, v211
	v_mov_b32_e32 v1, 0
	v_dot4c_i32_i8_e32 v1, v199, v2
	v_dot4c_i32_i8_e32 v1, v201, v3
	;; [unrolled: 1-line block ×4, first 2 shown]
                                        ; kill: def $vgpr3 killed $sgpr0 killed $exec
	s_nop 2
	v_mul_lo_u32 v2, v1, v209
	v_mov_b32_e32 v1, 0
	v_dot4c_i32_i8_e32 v1, v204, v116
	v_dot4c_i32_i8_e32 v1, v206, v117
	;; [unrolled: 1-line block ×4, first 2 shown]
	s_nop 2
	v_mad_u64_u32 v[2:3], s[22:23], v1, v210, v[2:3]
	v_cvt_f32_i32_e32 v2, v2
	v_mul_f32_e32 v1, v205, v6
	v_fmac_f32_e32 v53, v1, v2
	ds_read_b128 v[2:5], v165 offset:28416
	ds_read_b128 v[116:119], v165 offset:28432
	v_mov_b32_e32 v1, 0
	s_waitcnt lgkmcnt(1)
	v_dot4c_i32_i8_e32 v1, v167, v2
	v_dot4c_i32_i8_e32 v1, v168, v3
	;; [unrolled: 1-line block ×4, first 2 shown]
	s_nop 2
	v_mul_lo_u32 v6, v1, v176
	v_mov_b32_e32 v1, 0
	s_waitcnt lgkmcnt(0)
	v_dot4c_i32_i8_e32 v1, v172, v116
	v_dot4c_i32_i8_e32 v1, v173, v117
	;; [unrolled: 1-line block ×4, first 2 shown]
	s_nop 2
	v_mad_u64_u32 v[212:213], s[22:23], v1, v178, v[6:7]
	v_cvt_f32_i32_e32 v6, v212
	v_mul_f32_e32 v1, v171, v7
	v_fmac_f32_e32 v51, v1, v6
	v_mov_b32_e32 v1, 0
	v_dot4c_i32_i8_e32 v1, v177, v2
	v_dot4c_i32_i8_e32 v1, v179, v3
	;; [unrolled: 1-line block ×4, first 2 shown]
	s_nop 2
	v_mul_lo_u32 v6, v1, v187
	v_mov_b32_e32 v1, 0
	v_dot4c_i32_i8_e32 v1, v182, v116
	v_dot4c_i32_i8_e32 v1, v184, v117
	;; [unrolled: 1-line block ×4, first 2 shown]
	s_nop 2
	v_mad_u64_u32 v[212:213], s[22:23], v1, v189, v[6:7]
	v_cvt_f32_i32_e32 v6, v212
	v_mul_f32_e32 v1, v183, v7
	v_fmac_f32_e32 v47, v1, v6
	v_mov_b32_e32 v1, 0
	v_dot4c_i32_i8_e32 v1, v188, v2
	v_dot4c_i32_i8_e32 v1, v190, v3
	;; [unrolled: 1-line block ×4, first 2 shown]
	s_nop 2
	v_mul_lo_u32 v6, v1, v198
	v_mov_b32_e32 v1, 0
	v_dot4c_i32_i8_e32 v1, v193, v116
	v_dot4c_i32_i8_e32 v1, v195, v117
	;; [unrolled: 1-line block ×4, first 2 shown]
	s_nop 2
	v_mad_u64_u32 v[212:213], s[22:23], v1, v200, v[6:7]
	v_cvt_f32_i32_e32 v6, v212
	v_mul_f32_e32 v1, v194, v7
	v_fmac_f32_e32 v43, v1, v6
	v_mov_b32_e32 v1, 0
	v_dot4c_i32_i8_e32 v1, v199, v2
	v_dot4c_i32_i8_e32 v1, v201, v3
	;; [unrolled: 1-line block ×4, first 2 shown]
                                        ; kill: def $vgpr3 killed $sgpr0 killed $exec
	s_nop 2
	v_mul_lo_u32 v2, v1, v209
	v_mov_b32_e32 v1, 0
	v_dot4c_i32_i8_e32 v1, v204, v116
	v_dot4c_i32_i8_e32 v1, v206, v117
	v_dot4c_i32_i8_e32 v1, v207, v118
	v_dot4c_i32_i8_e32 v1, v208, v119
	s_nop 2
	v_mad_u64_u32 v[2:3], s[22:23], v1, v210, v[2:3]
	v_cvt_f32_i32_e32 v2, v2
	v_mul_f32_e32 v1, v205, v7
	v_fmac_f32_e32 v41, v1, v2
	ds_read2_b32 v[6:7], v0 offset0:104 offset1:136
	ds_read_b128 v[2:5], v165 offset:29440
	ds_read_b128 v[116:119], v165 offset:29456
	v_mov_b32_e32 v1, 0
	s_waitcnt lgkmcnt(1)
	v_dot4c_i32_i8_e32 v1, v167, v2
	v_dot4c_i32_i8_e32 v1, v168, v3
	;; [unrolled: 1-line block ×4, first 2 shown]
	s_nop 2
	v_mul_lo_u32 v212, v1, v176
	v_mov_b32_e32 v1, 0
	s_waitcnt lgkmcnt(0)
	v_dot4c_i32_i8_e32 v1, v172, v116
	v_dot4c_i32_i8_e32 v1, v173, v117
	;; [unrolled: 1-line block ×4, first 2 shown]
	s_nop 2
	v_mad_u64_u32 v[212:213], s[22:23], v1, v178, v[212:213]
	v_cvt_f32_i32_e32 v211, v212
	v_mul_f32_e32 v1, v171, v6
	v_fmac_f32_e32 v39, v1, v211
	v_mov_b32_e32 v1, 0
	v_dot4c_i32_i8_e32 v1, v177, v2
	v_dot4c_i32_i8_e32 v1, v179, v3
	;; [unrolled: 1-line block ×4, first 2 shown]
	s_nop 2
	v_mul_lo_u32 v212, v1, v187
	v_mov_b32_e32 v1, 0
	v_dot4c_i32_i8_e32 v1, v182, v116
	v_dot4c_i32_i8_e32 v1, v184, v117
	;; [unrolled: 1-line block ×4, first 2 shown]
	s_nop 2
	v_mad_u64_u32 v[212:213], s[22:23], v1, v189, v[212:213]
	v_cvt_f32_i32_e32 v211, v212
	v_mul_f32_e32 v1, v183, v6
	v_fmac_f32_e32 v37, v1, v211
	v_mov_b32_e32 v1, 0
	v_dot4c_i32_i8_e32 v1, v188, v2
	v_dot4c_i32_i8_e32 v1, v190, v3
	;; [unrolled: 1-line block ×4, first 2 shown]
	s_nop 2
	v_mul_lo_u32 v212, v1, v198
	v_mov_b32_e32 v1, 0
	v_dot4c_i32_i8_e32 v1, v193, v116
	v_dot4c_i32_i8_e32 v1, v195, v117
	;; [unrolled: 1-line block ×4, first 2 shown]
	s_nop 2
	v_mad_u64_u32 v[212:213], s[22:23], v1, v200, v[212:213]
	v_cvt_f32_i32_e32 v211, v212
	v_mul_f32_e32 v1, v194, v6
	v_fmac_f32_e32 v35, v1, v211
	v_mov_b32_e32 v1, 0
	v_dot4c_i32_i8_e32 v1, v199, v2
	v_dot4c_i32_i8_e32 v1, v201, v3
	;; [unrolled: 1-line block ×4, first 2 shown]
                                        ; kill: def $vgpr3 killed $sgpr0 killed $exec
	s_nop 2
	v_mul_lo_u32 v2, v1, v209
	v_mov_b32_e32 v1, 0
	v_dot4c_i32_i8_e32 v1, v204, v116
	v_dot4c_i32_i8_e32 v1, v206, v117
	;; [unrolled: 1-line block ×4, first 2 shown]
	s_nop 2
	v_mad_u64_u32 v[2:3], s[22:23], v1, v210, v[2:3]
	v_cvt_f32_i32_e32 v2, v2
	v_mul_f32_e32 v1, v205, v6
	v_fmac_f32_e32 v33, v1, v2
	ds_read_b128 v[2:5], v165 offset:30464
	ds_read_b128 v[116:119], v165 offset:30480
	v_mov_b32_e32 v1, 0
	s_waitcnt lgkmcnt(1)
	v_dot4c_i32_i8_e32 v1, v167, v2
	v_dot4c_i32_i8_e32 v1, v168, v3
	;; [unrolled: 1-line block ×4, first 2 shown]
	s_nop 2
	v_mul_lo_u32 v6, v1, v176
	v_mov_b32_e32 v1, 0
	s_waitcnt lgkmcnt(0)
	v_dot4c_i32_i8_e32 v1, v172, v116
	v_dot4c_i32_i8_e32 v1, v173, v117
	;; [unrolled: 1-line block ×4, first 2 shown]
	s_nop 2
	v_mad_u64_u32 v[212:213], s[22:23], v1, v178, v[6:7]
	v_cvt_f32_i32_e32 v6, v212
	v_mul_f32_e32 v1, v171, v7
	v_fmac_f32_e32 v31, v1, v6
	v_mov_b32_e32 v1, 0
	v_dot4c_i32_i8_e32 v1, v177, v2
	v_dot4c_i32_i8_e32 v1, v179, v3
	;; [unrolled: 1-line block ×4, first 2 shown]
	s_nop 2
	v_mul_lo_u32 v6, v1, v187
	v_mov_b32_e32 v1, 0
	v_dot4c_i32_i8_e32 v1, v182, v116
	v_dot4c_i32_i8_e32 v1, v184, v117
	;; [unrolled: 1-line block ×4, first 2 shown]
	s_nop 2
	v_mad_u64_u32 v[212:213], s[22:23], v1, v189, v[6:7]
	v_cvt_f32_i32_e32 v6, v212
	v_mul_f32_e32 v1, v183, v7
	v_fmac_f32_e32 v29, v1, v6
	v_mov_b32_e32 v1, 0
	v_dot4c_i32_i8_e32 v1, v188, v2
	v_dot4c_i32_i8_e32 v1, v190, v3
	;; [unrolled: 1-line block ×4, first 2 shown]
	s_nop 2
	v_mul_lo_u32 v6, v1, v198
	v_mov_b32_e32 v1, 0
	v_dot4c_i32_i8_e32 v1, v193, v116
	v_dot4c_i32_i8_e32 v1, v195, v117
	;; [unrolled: 1-line block ×4, first 2 shown]
	s_nop 2
	v_mad_u64_u32 v[212:213], s[22:23], v1, v200, v[6:7]
	v_cvt_f32_i32_e32 v6, v212
	v_mul_f32_e32 v1, v194, v7
	v_fmac_f32_e32 v27, v1, v6
	v_mov_b32_e32 v1, 0
	v_dot4c_i32_i8_e32 v1, v199, v2
	v_dot4c_i32_i8_e32 v1, v201, v3
	;; [unrolled: 1-line block ×4, first 2 shown]
                                        ; kill: def $vgpr3 killed $sgpr0 killed $exec
	s_nop 2
	v_mul_lo_u32 v2, v1, v209
	v_mov_b32_e32 v1, 0
	v_dot4c_i32_i8_e32 v1, v204, v116
	v_dot4c_i32_i8_e32 v1, v206, v117
	;; [unrolled: 1-line block ×4, first 2 shown]
	v_mov_b32_e32 v118, 0
	v_mov_b32_e32 v119, 0
	s_nop 0
	v_mad_u64_u32 v[2:3], s[22:23], v1, v210, v[2:3]
	v_cvt_f32_i32_e32 v2, v2
	v_mul_f32_e32 v1, v205, v7
	v_fmac_f32_e32 v25, v1, v2
	ds_read2_b32 v[116:117], v0 offset0:168 offset1:200
	ds_read_b128 v[4:7], v165 offset:31488
	ds_read_b128 v[0:3], v165 offset:31504
	s_waitcnt lgkmcnt(1)
	v_dot4c_i32_i8_e32 v118, v167, v4
	v_dot4c_i32_i8_e32 v118, v168, v5
	s_waitcnt lgkmcnt(0)
	v_dot4c_i32_i8_e32 v119, v172, v0
	v_dot4c_i32_i8_e32 v118, v169, v6
	;; [unrolled: 1-line block ×6, first 2 shown]
	s_nop 0
	v_mul_lo_u32 v118, v118, v176
	s_nop 0
	v_mad_u64_u32 v[118:119], s[22:23], v119, v178, v[118:119]
	v_cvt_f32_i32_e32 v118, v118
	v_mul_f32_e32 v119, v171, v116
	v_fmac_f32_e32 v23, v119, v118
	v_mov_b32_e32 v118, 0
	v_dot4c_i32_i8_e32 v118, v177, v4
	v_mov_b32_e32 v119, 0
	v_dot4c_i32_i8_e32 v118, v179, v5
	v_dot4c_i32_i8_e32 v119, v182, v0
	;; [unrolled: 1-line block ×7, first 2 shown]
	s_nop 0
	v_mul_lo_u32 v118, v118, v187
	s_nop 0
	v_mad_u64_u32 v[118:119], s[22:23], v119, v189, v[118:119]
	v_cvt_f32_i32_e32 v118, v118
	v_mul_f32_e32 v119, v183, v116
	v_fmac_f32_e32 v21, v119, v118
	v_mov_b32_e32 v118, 0
	v_dot4c_i32_i8_e32 v118, v188, v4
	v_mov_b32_e32 v119, 0
	v_dot4c_i32_i8_e32 v118, v190, v5
	v_dot4c_i32_i8_e32 v119, v193, v0
	;; [unrolled: 1-line block ×7, first 2 shown]
	s_nop 0
	v_mul_lo_u32 v118, v118, v198
	s_nop 0
	v_mad_u64_u32 v[118:119], s[22:23], v119, v200, v[118:119]
	v_cvt_f32_i32_e32 v118, v118
	v_mul_f32_e32 v119, v194, v116
	v_fmac_f32_e32 v19, v119, v118
	v_mov_b32_e32 v118, 0
	v_dot4c_i32_i8_e32 v118, v199, v4
	v_dot4c_i32_i8_e32 v118, v201, v5
	v_mov_b32_e32 v5, 0
	v_dot4c_i32_i8_e32 v5, v204, v0
	v_dot4c_i32_i8_e32 v118, v202, v6
	;; [unrolled: 1-line block ×6, first 2 shown]
	s_nop 0
	v_mul_lo_u32 v4, v118, v209
	v_mov_b32_e32 v118, 0
	v_mad_u64_u32 v[0:1], s[22:23], v5, v210, v[4:5]
	v_cvt_f32_i32_e32 v0, v0
	v_mul_f32_e32 v1, v205, v116
	v_mov_b32_e32 v116, 0
	v_fmac_f32_e32 v17, v1, v0
	ds_read_b128 v[0:3], v165 offset:32512
	ds_read_b128 v[4:7], v165 offset:32528
	v_add_u32_e32 v165, 32, v165
	s_waitcnt lgkmcnt(1)
	v_dot4c_i32_i8_e32 v116, v167, v0
	v_dot4c_i32_i8_e32 v116, v168, v1
	s_waitcnt lgkmcnt(0)
	v_dot4c_i32_i8_e32 v118, v172, v4
	v_dot4c_i32_i8_e32 v116, v169, v2
	;; [unrolled: 1-line block ×6, first 2 shown]
	s_nop 0
	v_mul_lo_u32 v116, v116, v176
	s_nop 0
	v_mad_u64_u32 v[118:119], s[22:23], v118, v178, v[116:117]
	v_cvt_f32_i32_e32 v118, v118
	v_mul_f32_e32 v116, v171, v117
	v_fmac_f32_e32 v15, v116, v118
	v_mov_b32_e32 v116, 0
	v_dot4c_i32_i8_e32 v116, v177, v0
	v_mov_b32_e32 v118, 0
	v_dot4c_i32_i8_e32 v116, v179, v1
	v_dot4c_i32_i8_e32 v118, v182, v4
	;; [unrolled: 1-line block ×7, first 2 shown]
	s_nop 0
	v_mul_lo_u32 v116, v116, v187
	s_nop 0
	v_mad_u64_u32 v[118:119], s[22:23], v118, v189, v[116:117]
	v_cvt_f32_i32_e32 v118, v118
	v_mul_f32_e32 v116, v183, v117
	v_fmac_f32_e32 v13, v116, v118
	v_mov_b32_e32 v116, 0
	v_dot4c_i32_i8_e32 v116, v188, v0
	v_mov_b32_e32 v118, 0
	v_dot4c_i32_i8_e32 v116, v190, v1
	v_dot4c_i32_i8_e32 v118, v193, v4
	;; [unrolled: 1-line block ×7, first 2 shown]
	s_nop 0
	v_mul_lo_u32 v116, v116, v198
	s_nop 0
	v_mad_u64_u32 v[118:119], s[22:23], v118, v200, v[116:117]
	v_cvt_f32_i32_e32 v118, v118
	v_mul_f32_e32 v116, v194, v117
	v_fmac_f32_e32 v11, v116, v118
	v_mov_b32_e32 v116, 0
	v_dot4c_i32_i8_e32 v116, v199, v0
	v_dot4c_i32_i8_e32 v116, v201, v1
	v_mov_b32_e32 v1, 0
	v_dot4c_i32_i8_e32 v1, v204, v4
	v_dot4c_i32_i8_e32 v116, v202, v2
	;; [unrolled: 1-line block ×6, first 2 shown]
	s_nop 0
	v_mul_lo_u32 v0, v116, v209
	s_nop 0
	v_mad_u64_u32 v[0:1], s[22:23], v1, v210, v[0:1]
	v_cvt_f32_i32_e32 v0, v0
	v_mul_f32_e32 v1, v205, v117
	v_fmac_f32_e32 v9, v1, v0
	s_cbranch_scc1 .LBB170_7
; %bb.8:                                ;   in Loop: Header=BB170_6 Depth=1
	v_add_u32_e32 v165, s17, v137
	v_add_u32_e32 v0, v165, v87
	;; [unrolled: 1-line block ×9, first 2 shown]
	v_mad_i64_i32 v[168:169], s[18:19], v165, 36, v[112:113]
	v_add_u32_e32 v165, 4, v164
	v_mad_i64_i32 v[0:1], s[18:19], v0, 36, v[112:113]
	v_mad_i64_i32 v[2:3], s[18:19], v2, 36, v[112:113]
	;; [unrolled: 1-line block ×4, first 2 shown]
	v_mad_u64_u32 v[170:171], s[18:19], v165, 36, s[2:3]
	s_barrier
	v_mad_i64_i32 v[116:117], s[18:19], v116, 36, v[112:113]
	v_mad_i64_i32 v[118:119], s[18:19], v118, 36, v[112:113]
	;; [unrolled: 1-line block ×3, first 2 shown]
	global_load_dword v170, v[170:171], off
	s_nop 0
	global_load_dword v0, v[0:1], off offset:4
	s_nop 0
	global_load_dword v1, v[2:3], off offset:4
	s_nop 0
	global_load_dword v2, v[4:5], off offset:4
	global_load_dword v3, v[6:7], off offset:4
	s_nop 0
	global_load_dword v4, v[116:117], off offset:4
	global_load_dword v5, v[118:119], off offset:4
	;; [unrolled: 1-line block ×4, first 2 shown]
	s_mov_b32 s18, 4
	s_mov_b32 s19, 8
	;; [unrolled: 1-line block ×3, first 2 shown]
	v_mov_b32_e32 v165, v89
	v_mov_b32_e32 v166, v63
	s_waitcnt vmcnt(8)
	v_cvt_f32_f16_e32 v116, v170
	s_waitcnt vmcnt(7)
	ds_write_b32 v91, v0
	s_waitcnt vmcnt(6)
	ds_write_b32 v95, v1
	;; [unrolled: 2-line block ×8, first 2 shown]
	ds_write_b32 v85, v116
	s_waitcnt lgkmcnt(0)
	s_barrier
.LBB170_9:                              ;   Parent Loop BB170_6 Depth=1
                                        ; =>  This Inner Loop Header: Depth=2
	s_and_b32 s20, s19, -16
	v_add_u32_e32 v118, s20, v124
	s_add_i32 s20, s21, 2
	s_lshr_b32 s25, s20, 4
	s_and_b32 s24, s20, 0x3ffffff8
	s_lshl_b32 s23, s25, 3
	s_lshl_b32 s24, s24, 2
	v_add_lshl_u32 v176, v125, s23, 2
	v_add_u32_e32 v0, 0x9600, v166
	v_add_u32_e32 v119, s24, v126
	;; [unrolled: 1-line block ×3, first 2 shown]
	ds_read2_b32 v[116:117], v0 offset0:104 offset1:136
	ds_read_b128 v[4:7], v165 offset:25344
	ds_read_b128 v[0:3], v165 offset:25360
	ds_read2_b32 v[168:169], v119 offset1:1
	ds_read2_b32 v[170:171], v170 offset1:1
	s_add_i32 s22, s21, -6
	s_lshl_b32 s25, s25, 2
	v_add_lshl_u32 v198, v131, s23, 2
	s_waitcnt lgkmcnt(1)
	v_ashrrev_i32_e32 v167, s22, v168
	s_waitcnt lgkmcnt(0)
	v_ashrrev_i32_e32 v170, s18, v170
	v_lshlrev_b32_e32 v170, 2, v170
	v_and_b32_e32 v168, 0x3030303, v167
	v_bfe_u32 v167, v167, 24, 2
	v_and_b32_e32 v170, 0x4040404, v170
	v_sub_u16_e32 v172, v168, v170
	v_sub_u16_sdwa v173, v168, v170 dst_sel:BYTE_1 dst_unused:UNUSED_PAD src0_sel:BYTE_1 src1_sel:BYTE_1
	v_sub_u16_sdwa v167, v167, v170 dst_sel:BYTE_1 dst_unused:UNUSED_PAD src0_sel:DWORD src1_sel:BYTE_3
	v_sub_u16_sdwa v168, v168, v170 dst_sel:DWORD dst_unused:UNUSED_PAD src0_sel:WORD_1 src1_sel:WORD_1
	v_ashrrev_i32_e32 v170, s18, v171
	v_or_b32_sdwa v167, v168, v167 dst_sel:WORD_1 dst_unused:UNUSED_PAD src0_sel:BYTE_0 src1_sel:DWORD
	v_ashrrev_i32_e32 v168, s22, v169
	v_lshlrev_b32_e32 v170, 2, v170
	v_or_b32_sdwa v172, v172, v173 dst_sel:DWORD dst_unused:UNUSED_PAD src0_sel:BYTE_0 src1_sel:DWORD
	v_and_b32_e32 v169, 0x3030303, v168
	v_bfe_u32 v168, v168, 24, 2
	v_and_b32_e32 v170, 0x4040404, v170
	v_or_b32_sdwa v167, v172, v167 dst_sel:DWORD dst_unused:UNUSED_PAD src0_sel:WORD_0 src1_sel:DWORD
	v_sub_u16_e32 v171, v169, v170
	v_sub_u16_sdwa v172, v169, v170 dst_sel:BYTE_1 dst_unused:UNUSED_PAD src0_sel:BYTE_1 src1_sel:BYTE_1
	v_sub_u16_sdwa v168, v168, v170 dst_sel:BYTE_1 dst_unused:UNUSED_PAD src0_sel:DWORD src1_sel:BYTE_3
	v_sub_u16_sdwa v169, v169, v170 dst_sel:DWORD dst_unused:UNUSED_PAD src0_sel:WORD_1 src1_sel:WORD_1
	v_or_b32_sdwa v171, v171, v172 dst_sel:DWORD dst_unused:UNUSED_PAD src0_sel:BYTE_0 src1_sel:DWORD
	v_or_b32_sdwa v168, v169, v168 dst_sel:WORD_1 dst_unused:UNUSED_PAD src0_sel:BYTE_0 src1_sel:DWORD
	v_add_u32_e32 v172, 0x4208, v176
	v_or_b32_sdwa v168, v171, v168 dst_sel:DWORD dst_unused:UNUSED_PAD src0_sel:WORD_0 src1_sel:DWORD
	ds_read2_b32 v[170:171], v119 offset0:2 offset1:3
	ds_read2_b32 v[172:173], v172 offset1:1
	v_add_lshl_u32 v188, v128, s23, 2
	v_add_u32_e32 v192, 0x4200, v198
	v_add_lshl_u32 v210, v134, s23, 2
	s_waitcnt lgkmcnt(1)
	v_ashrrev_i32_e32 v169, s22, v170
	s_waitcnt lgkmcnt(0)
	v_ashrrev_i32_e32 v172, s18, v172
	v_lshlrev_b32_e32 v172, 2, v172
	v_and_b32_e32 v170, 0x3030303, v169
	v_bfe_u32 v169, v169, 24, 2
	v_and_b32_e32 v172, 0x4040404, v172
	v_sub_u16_e32 v174, v170, v172
	v_sub_u16_sdwa v175, v170, v172 dst_sel:BYTE_1 dst_unused:UNUSED_PAD src0_sel:BYTE_1 src1_sel:BYTE_1
	v_sub_u16_sdwa v169, v169, v172 dst_sel:BYTE_1 dst_unused:UNUSED_PAD src0_sel:DWORD src1_sel:BYTE_3
	v_sub_u16_sdwa v170, v170, v172 dst_sel:DWORD dst_unused:UNUSED_PAD src0_sel:WORD_1 src1_sel:WORD_1
	v_ashrrev_i32_e32 v172, s18, v173
	v_or_b32_sdwa v169, v170, v169 dst_sel:WORD_1 dst_unused:UNUSED_PAD src0_sel:BYTE_0 src1_sel:DWORD
	v_ashrrev_i32_e32 v170, s22, v171
	v_lshlrev_b32_e32 v172, 2, v172
	v_or_b32_sdwa v174, v174, v175 dst_sel:DWORD dst_unused:UNUSED_PAD src0_sel:BYTE_0 src1_sel:DWORD
	v_and_b32_e32 v171, 0x3030303, v170
	v_bfe_u32 v170, v170, 24, 2
	v_and_b32_e32 v172, 0x4040404, v172
	v_or_b32_sdwa v169, v174, v169 dst_sel:DWORD dst_unused:UNUSED_PAD src0_sel:WORD_0 src1_sel:DWORD
	v_sub_u16_e32 v173, v171, v172
	v_sub_u16_sdwa v174, v171, v172 dst_sel:BYTE_1 dst_unused:UNUSED_PAD src0_sel:BYTE_1 src1_sel:BYTE_1
	v_sub_u16_sdwa v170, v170, v172 dst_sel:BYTE_1 dst_unused:UNUSED_PAD src0_sel:DWORD src1_sel:BYTE_3
	v_sub_u16_sdwa v171, v171, v172 dst_sel:DWORD dst_unused:UNUSED_PAD src0_sel:WORD_1 src1_sel:WORD_1
	v_or_b32_sdwa v173, v173, v174 dst_sel:DWORD dst_unused:UNUSED_PAD src0_sel:BYTE_0 src1_sel:DWORD
	v_or_b32_sdwa v170, v171, v170 dst_sel:WORD_1 dst_unused:UNUSED_PAD src0_sel:BYTE_0 src1_sel:DWORD
	v_add_u32_e32 v174, 0x4210, v176
	v_or_b32_sdwa v170, v173, v170 dst_sel:DWORD dst_unused:UNUSED_PAD src0_sel:WORD_0 src1_sel:DWORD
	ds_read2_b32 v[172:173], v119 offset0:4 offset1:5
	ds_read2_b32 v[174:175], v174 offset1:1
	s_add_i32 s19, s19, 2
	ds_read2_b32 v[192:193], v192 offset1:1
	s_waitcnt lgkmcnt(2)
	v_ashrrev_i32_e32 v171, s22, v172
	s_waitcnt lgkmcnt(1)
	v_ashrrev_i32_e32 v174, s18, v174
	v_lshlrev_b32_e32 v174, 2, v174
	v_and_b32_e32 v172, 0x3030303, v171
	v_bfe_u32 v171, v171, 24, 2
	v_and_b32_e32 v174, 0x4040404, v174
	v_sub_u16_e32 v177, v172, v174
	v_sub_u16_sdwa v178, v172, v174 dst_sel:BYTE_1 dst_unused:UNUSED_PAD src0_sel:BYTE_1 src1_sel:BYTE_1
	v_sub_u16_sdwa v171, v171, v174 dst_sel:BYTE_1 dst_unused:UNUSED_PAD src0_sel:DWORD src1_sel:BYTE_3
	v_sub_u16_sdwa v172, v172, v174 dst_sel:DWORD dst_unused:UNUSED_PAD src0_sel:WORD_1 src1_sel:WORD_1
	v_or_b32_sdwa v177, v177, v178 dst_sel:DWORD dst_unused:UNUSED_PAD src0_sel:BYTE_0 src1_sel:DWORD
	v_or_b32_sdwa v171, v172, v171 dst_sel:WORD_1 dst_unused:UNUSED_PAD src0_sel:BYTE_0 src1_sel:DWORD
	v_ashrrev_i32_e32 v174, s18, v175
	v_or_b32_sdwa v172, v177, v171 dst_sel:DWORD dst_unused:UNUSED_PAD src0_sel:WORD_0 src1_sel:DWORD
	v_ashrrev_i32_e32 v171, s22, v173
	v_lshlrev_b32_e32 v174, 2, v174
	v_and_b32_e32 v173, 0x3030303, v171
	v_bfe_u32 v171, v171, 24, 2
	v_and_b32_e32 v174, 0x4040404, v174
	v_sub_u16_e32 v175, v173, v174
	v_sub_u16_sdwa v177, v173, v174 dst_sel:BYTE_1 dst_unused:UNUSED_PAD src0_sel:BYTE_1 src1_sel:BYTE_1
	v_sub_u16_sdwa v171, v171, v174 dst_sel:BYTE_1 dst_unused:UNUSED_PAD src0_sel:DWORD src1_sel:BYTE_3
	v_sub_u16_sdwa v173, v173, v174 dst_sel:DWORD dst_unused:UNUSED_PAD src0_sel:WORD_1 src1_sel:WORD_1
	v_or_b32_sdwa v175, v175, v177 dst_sel:DWORD dst_unused:UNUSED_PAD src0_sel:BYTE_0 src1_sel:DWORD
	v_or_b32_sdwa v171, v173, v171 dst_sel:WORD_1 dst_unused:UNUSED_PAD src0_sel:BYTE_0 src1_sel:DWORD
	v_or_b32_sdwa v173, v175, v171 dst_sel:DWORD dst_unused:UNUSED_PAD src0_sel:WORD_0 src1_sel:DWORD
	ds_read2_b32 v[174:175], v119 offset0:6 offset1:7
	s_waitcnt lgkmcnt(1)
	v_ashrrev_i32_e32 v192, s18, v192
	v_lshlrev_b32_e32 v192, 2, v192
	v_and_b32_e32 v192, 0x4040404, v192
	s_waitcnt lgkmcnt(0)
	v_ashrrev_i32_e32 v119, s22, v174
	v_add_u32_e32 v174, 0x4218, v176
	ds_read2_b32 v[176:177], v174 offset1:1
	v_and_b32_e32 v171, 0x3030303, v119
	v_bfe_u32 v119, v119, 24, 2
	s_waitcnt lgkmcnt(0)
	v_ashrrev_i32_e32 v174, s18, v176
	v_lshlrev_b32_e32 v174, 2, v174
	v_and_b32_e32 v174, 0x4040404, v174
	v_sub_u16_e32 v176, v171, v174
	v_sub_u16_sdwa v178, v171, v174 dst_sel:BYTE_1 dst_unused:UNUSED_PAD src0_sel:BYTE_1 src1_sel:BYTE_1
	v_sub_u16_sdwa v119, v119, v174 dst_sel:BYTE_1 dst_unused:UNUSED_PAD src0_sel:DWORD src1_sel:BYTE_3
	v_sub_u16_sdwa v171, v171, v174 dst_sel:DWORD dst_unused:UNUSED_PAD src0_sel:WORD_1 src1_sel:WORD_1
	v_or_b32_sdwa v176, v176, v178 dst_sel:DWORD dst_unused:UNUSED_PAD src0_sel:BYTE_0 src1_sel:DWORD
	v_or_b32_sdwa v119, v171, v119 dst_sel:WORD_1 dst_unused:UNUSED_PAD src0_sel:BYTE_0 src1_sel:DWORD
	v_or_b32_sdwa v174, v176, v119 dst_sel:DWORD dst_unused:UNUSED_PAD src0_sel:WORD_0 src1_sel:DWORD
	v_ashrrev_i32_e32 v119, s22, v175
	v_ashrrev_i32_e32 v175, s18, v177
	v_lshlrev_b32_e32 v175, 2, v175
	v_and_b32_e32 v171, 0x3030303, v119
	v_bfe_u32 v119, v119, 24, 2
	v_and_b32_e32 v175, 0x4040404, v175
	v_sub_u16_e32 v176, v171, v175
	v_sub_u16_sdwa v177, v171, v175 dst_sel:BYTE_1 dst_unused:UNUSED_PAD src0_sel:BYTE_1 src1_sel:BYTE_1
	v_sub_u16_sdwa v119, v119, v175 dst_sel:BYTE_1 dst_unused:UNUSED_PAD src0_sel:DWORD src1_sel:BYTE_3
	v_sub_u16_sdwa v171, v171, v175 dst_sel:DWORD dst_unused:UNUSED_PAD src0_sel:WORD_1 src1_sel:WORD_1
	v_or_b32_sdwa v176, v176, v177 dst_sel:DWORD dst_unused:UNUSED_PAD src0_sel:BYTE_0 src1_sel:DWORD
	v_or_b32_sdwa v119, v171, v119 dst_sel:WORD_1 dst_unused:UNUSED_PAD src0_sel:BYTE_0 src1_sel:DWORD
	v_or_b32_sdwa v175, v176, v119 dst_sel:DWORD dst_unused:UNUSED_PAD src0_sel:WORD_0 src1_sel:DWORD
	v_add3_u32 v119, v141, s21, v118
	v_add_u32_e32 v171, s25, v127
	ds_read_b32 v171, v171
	ds_read_u16 v119, v119 offset:8194
	v_mov_b32_e32 v177, 0
	v_dot4c_i32_i8_e32 v177, v167, v4
	v_dot4c_i32_i8_e32 v177, v168, v5
	;; [unrolled: 1-line block ×3, first 2 shown]
	s_waitcnt lgkmcnt(0)
	v_lshrrev_b16_e32 v178, 8, v119
	v_bfe_i32 v176, v119, 0, 8
	v_mov_b32_e32 v119, 0
	v_dot4c_i32_i8_e32 v119, v172, v0
	v_dot4c_i32_i8_e32 v119, v173, v1
	v_dot4c_i32_i8_e32 v177, v170, v7
	v_dot4c_i32_i8_e32 v119, v174, v2
	v_dot4c_i32_i8_e32 v119, v175, v3
	v_bfe_i32 v178, v178, 0, 8
	v_mul_lo_u32 v180, v177, v176
	s_nop 0
	v_mad_u64_u32 v[180:181], s[26:27], v119, v178, v[180:181]
	v_cvt_f32_i32_e32 v177, v180
	v_mul_f32_e32 v119, v116, v171
	v_fmac_f32_e32 v97, v119, v177
	v_add_u32_e32 v119, s24, v129
	ds_read2_b32 v[180:181], v119 offset1:1
	s_waitcnt lgkmcnt(0)
	v_ashrrev_i32_e32 v177, s22, v180
	v_add_u32_e32 v180, 0x4200, v188
	ds_read2_b32 v[182:183], v180 offset1:1
	v_and_b32_e32 v179, 0x3030303, v177
	v_bfe_u32 v177, v177, 24, 2
	s_waitcnt lgkmcnt(0)
	v_ashrrev_i32_e32 v180, s18, v182
	v_lshlrev_b32_e32 v180, 2, v180
	v_and_b32_e32 v180, 0x4040404, v180
	v_sub_u16_e32 v182, v179, v180
	v_sub_u16_sdwa v184, v179, v180 dst_sel:BYTE_1 dst_unused:UNUSED_PAD src0_sel:BYTE_1 src1_sel:BYTE_1
	v_sub_u16_sdwa v177, v177, v180 dst_sel:BYTE_1 dst_unused:UNUSED_PAD src0_sel:DWORD src1_sel:BYTE_3
	v_sub_u16_sdwa v179, v179, v180 dst_sel:DWORD dst_unused:UNUSED_PAD src0_sel:WORD_1 src1_sel:WORD_1
	v_or_b32_sdwa v177, v179, v177 dst_sel:WORD_1 dst_unused:UNUSED_PAD src0_sel:BYTE_0 src1_sel:DWORD
	v_ashrrev_i32_e32 v179, s22, v181
	v_ashrrev_i32_e32 v181, s18, v183
	v_lshlrev_b32_e32 v181, 2, v181
	v_or_b32_sdwa v182, v182, v184 dst_sel:DWORD dst_unused:UNUSED_PAD src0_sel:BYTE_0 src1_sel:DWORD
	v_and_b32_e32 v180, 0x3030303, v179
	v_bfe_u32 v179, v179, 24, 2
	v_and_b32_e32 v181, 0x4040404, v181
	v_or_b32_sdwa v177, v182, v177 dst_sel:DWORD dst_unused:UNUSED_PAD src0_sel:WORD_0 src1_sel:DWORD
	v_sub_u16_e32 v182, v180, v181
	v_sub_u16_sdwa v183, v180, v181 dst_sel:BYTE_1 dst_unused:UNUSED_PAD src0_sel:BYTE_1 src1_sel:BYTE_1
	v_sub_u16_sdwa v179, v179, v181 dst_sel:BYTE_1 dst_unused:UNUSED_PAD src0_sel:DWORD src1_sel:BYTE_3
	v_sub_u16_sdwa v180, v180, v181 dst_sel:DWORD dst_unused:UNUSED_PAD src0_sel:WORD_1 src1_sel:WORD_1
	v_or_b32_sdwa v182, v182, v183 dst_sel:DWORD dst_unused:UNUSED_PAD src0_sel:BYTE_0 src1_sel:DWORD
	v_or_b32_sdwa v179, v180, v179 dst_sel:WORD_1 dst_unused:UNUSED_PAD src0_sel:BYTE_0 src1_sel:DWORD
	v_or_b32_sdwa v179, v182, v179 dst_sel:DWORD dst_unused:UNUSED_PAD src0_sel:WORD_0 src1_sel:DWORD
	v_add_u32_e32 v182, 0x4208, v188
	ds_read2_b32 v[180:181], v119 offset0:2 offset1:3
	ds_read2_b32 v[182:183], v182 offset1:1
	s_waitcnt lgkmcnt(1)
	v_ashrrev_i32_e32 v180, s22, v180
	s_waitcnt lgkmcnt(0)
	v_ashrrev_i32_e32 v182, s18, v182
	v_lshlrev_b32_e32 v182, 2, v182
	v_and_b32_e32 v184, 0x3030303, v180
	v_bfe_u32 v180, v180, 24, 2
	v_and_b32_e32 v182, 0x4040404, v182
	v_ashrrev_i32_e32 v183, s18, v183
	v_sub_u16_e32 v185, v184, v182
	v_sub_u16_sdwa v186, v184, v182 dst_sel:BYTE_1 dst_unused:UNUSED_PAD src0_sel:BYTE_1 src1_sel:BYTE_1
	v_sub_u16_sdwa v180, v180, v182 dst_sel:BYTE_1 dst_unused:UNUSED_PAD src0_sel:DWORD src1_sel:BYTE_3
	v_sub_u16_sdwa v182, v184, v182 dst_sel:DWORD dst_unused:UNUSED_PAD src0_sel:WORD_1 src1_sel:WORD_1
	v_ashrrev_i32_e32 v181, s22, v181
	v_lshlrev_b32_e32 v183, 2, v183
	v_or_b32_sdwa v185, v185, v186 dst_sel:DWORD dst_unused:UNUSED_PAD src0_sel:BYTE_0 src1_sel:DWORD
	v_or_b32_sdwa v180, v182, v180 dst_sel:WORD_1 dst_unused:UNUSED_PAD src0_sel:BYTE_0 src1_sel:DWORD
	v_and_b32_e32 v182, 0x3030303, v181
	v_bfe_u32 v181, v181, 24, 2
	v_and_b32_e32 v183, 0x4040404, v183
	v_or_b32_sdwa v180, v185, v180 dst_sel:DWORD dst_unused:UNUSED_PAD src0_sel:WORD_0 src1_sel:DWORD
	v_sub_u16_e32 v184, v182, v183
	v_sub_u16_sdwa v185, v182, v183 dst_sel:BYTE_1 dst_unused:UNUSED_PAD src0_sel:BYTE_1 src1_sel:BYTE_1
	v_sub_u16_sdwa v181, v181, v183 dst_sel:BYTE_1 dst_unused:UNUSED_PAD src0_sel:DWORD src1_sel:BYTE_3
	v_sub_u16_sdwa v182, v182, v183 dst_sel:DWORD dst_unused:UNUSED_PAD src0_sel:WORD_1 src1_sel:WORD_1
	v_or_b32_sdwa v184, v184, v185 dst_sel:DWORD dst_unused:UNUSED_PAD src0_sel:BYTE_0 src1_sel:DWORD
	v_or_b32_sdwa v181, v182, v181 dst_sel:WORD_1 dst_unused:UNUSED_PAD src0_sel:BYTE_0 src1_sel:DWORD
	v_or_b32_sdwa v181, v184, v181 dst_sel:DWORD dst_unused:UNUSED_PAD src0_sel:WORD_0 src1_sel:DWORD
	v_add_u32_e32 v184, 0x4210, v188
	ds_read2_b32 v[182:183], v119 offset0:4 offset1:5
	ds_read2_b32 v[184:185], v184 offset1:1
	s_waitcnt lgkmcnt(1)
	v_ashrrev_i32_e32 v182, s22, v182
	s_waitcnt lgkmcnt(0)
	v_ashrrev_i32_e32 v184, s18, v184
	v_lshlrev_b32_e32 v184, 2, v184
	v_and_b32_e32 v186, 0x3030303, v182
	v_bfe_u32 v182, v182, 24, 2
	v_and_b32_e32 v184, 0x4040404, v184
	v_ashrrev_i32_e32 v185, s18, v185
	v_sub_u16_e32 v187, v186, v184
	v_sub_u16_sdwa v189, v186, v184 dst_sel:BYTE_1 dst_unused:UNUSED_PAD src0_sel:BYTE_1 src1_sel:BYTE_1
	v_sub_u16_sdwa v182, v182, v184 dst_sel:BYTE_1 dst_unused:UNUSED_PAD src0_sel:DWORD src1_sel:BYTE_3
	v_sub_u16_sdwa v184, v186, v184 dst_sel:DWORD dst_unused:UNUSED_PAD src0_sel:WORD_1 src1_sel:WORD_1
	v_ashrrev_i32_e32 v183, s22, v183
	v_lshlrev_b32_e32 v185, 2, v185
	v_or_b32_sdwa v187, v187, v189 dst_sel:DWORD dst_unused:UNUSED_PAD src0_sel:BYTE_0 src1_sel:DWORD
	v_or_b32_sdwa v182, v184, v182 dst_sel:WORD_1 dst_unused:UNUSED_PAD src0_sel:BYTE_0 src1_sel:DWORD
	v_and_b32_e32 v184, 0x3030303, v183
	v_bfe_u32 v183, v183, 24, 2
	v_and_b32_e32 v185, 0x4040404, v185
	v_or_b32_sdwa v182, v187, v182 dst_sel:DWORD dst_unused:UNUSED_PAD src0_sel:WORD_0 src1_sel:DWORD
	v_sub_u16_e32 v186, v184, v185
	v_sub_u16_sdwa v187, v184, v185 dst_sel:BYTE_1 dst_unused:UNUSED_PAD src0_sel:BYTE_1 src1_sel:BYTE_1
	v_sub_u16_sdwa v183, v183, v185 dst_sel:BYTE_1 dst_unused:UNUSED_PAD src0_sel:DWORD src1_sel:BYTE_3
	v_sub_u16_sdwa v184, v184, v185 dst_sel:DWORD dst_unused:UNUSED_PAD src0_sel:WORD_1 src1_sel:WORD_1
	v_or_b32_sdwa v186, v186, v187 dst_sel:DWORD dst_unused:UNUSED_PAD src0_sel:BYTE_0 src1_sel:DWORD
	v_or_b32_sdwa v183, v184, v183 dst_sel:WORD_1 dst_unused:UNUSED_PAD src0_sel:BYTE_0 src1_sel:DWORD
	v_add_u32_e32 v185, 0x4218, v188
	v_or_b32_sdwa v184, v186, v183 dst_sel:DWORD dst_unused:UNUSED_PAD src0_sel:WORD_0 src1_sel:DWORD
	ds_read2_b32 v[186:187], v119 offset0:6 offset1:7
	ds_read2_b32 v[188:189], v185 offset1:1
	s_waitcnt lgkmcnt(1)
	v_ashrrev_i32_e32 v119, s22, v186
	s_waitcnt lgkmcnt(0)
	v_ashrrev_i32_e32 v185, s18, v188
	v_lshlrev_b32_e32 v185, 2, v185
	v_and_b32_e32 v183, 0x3030303, v119
	v_bfe_u32 v119, v119, 24, 2
	v_and_b32_e32 v185, 0x4040404, v185
	v_sub_u16_e32 v186, v183, v185
	v_sub_u16_sdwa v188, v183, v185 dst_sel:BYTE_1 dst_unused:UNUSED_PAD src0_sel:BYTE_1 src1_sel:BYTE_1
	v_sub_u16_sdwa v119, v119, v185 dst_sel:BYTE_1 dst_unused:UNUSED_PAD src0_sel:DWORD src1_sel:BYTE_3
	v_sub_u16_sdwa v183, v183, v185 dst_sel:DWORD dst_unused:UNUSED_PAD src0_sel:WORD_1 src1_sel:WORD_1
	v_or_b32_sdwa v186, v186, v188 dst_sel:DWORD dst_unused:UNUSED_PAD src0_sel:BYTE_0 src1_sel:DWORD
	v_or_b32_sdwa v119, v183, v119 dst_sel:WORD_1 dst_unused:UNUSED_PAD src0_sel:BYTE_0 src1_sel:DWORD
	v_or_b32_sdwa v185, v186, v119 dst_sel:DWORD dst_unused:UNUSED_PAD src0_sel:WORD_0 src1_sel:DWORD
	v_ashrrev_i32_e32 v186, s18, v189
	v_ashrrev_i32_e32 v119, s22, v187
	v_lshlrev_b32_e32 v186, 2, v186
	v_and_b32_e32 v183, 0x3030303, v119
	v_bfe_u32 v119, v119, 24, 2
	v_and_b32_e32 v186, 0x4040404, v186
	v_sub_u16_e32 v187, v183, v186
	v_sub_u16_sdwa v188, v183, v186 dst_sel:BYTE_1 dst_unused:UNUSED_PAD src0_sel:BYTE_1 src1_sel:BYTE_1
	v_sub_u16_sdwa v119, v119, v186 dst_sel:BYTE_1 dst_unused:UNUSED_PAD src0_sel:DWORD src1_sel:BYTE_3
	v_sub_u16_sdwa v183, v183, v186 dst_sel:DWORD dst_unused:UNUSED_PAD src0_sel:WORD_1 src1_sel:WORD_1
	v_or_b32_sdwa v187, v187, v188 dst_sel:DWORD dst_unused:UNUSED_PAD src0_sel:BYTE_0 src1_sel:DWORD
	v_or_b32_sdwa v119, v183, v119 dst_sel:WORD_1 dst_unused:UNUSED_PAD src0_sel:BYTE_0 src1_sel:DWORD
	v_or_b32_sdwa v186, v187, v119 dst_sel:DWORD dst_unused:UNUSED_PAD src0_sel:WORD_0 src1_sel:DWORD
	v_add3_u32 v119, v143, s21, v118
	v_add_u32_e32 v183, s25, v130
	ds_read_b32 v183, v183
	ds_read_u16 v119, v119 offset:9218
	v_mov_b32_e32 v188, 0
	v_dot4c_i32_i8_e32 v188, v177, v4
	v_dot4c_i32_i8_e32 v188, v179, v5
	;; [unrolled: 1-line block ×3, first 2 shown]
	s_waitcnt lgkmcnt(0)
	v_lshrrev_b16_e32 v189, 8, v119
	v_bfe_i32 v187, v119, 0, 8
	v_mov_b32_e32 v119, 0
	v_dot4c_i32_i8_e32 v119, v182, v0
	v_dot4c_i32_i8_e32 v119, v184, v1
	;; [unrolled: 1-line block ×5, first 2 shown]
	v_bfe_i32 v189, v189, 0, 8
	v_mul_lo_u32 v188, v188, v187
	s_nop 0
	v_mad_u64_u32 v[190:191], s[26:27], v119, v189, v[188:189]
	v_cvt_f32_i32_e32 v188, v190
	v_mul_f32_e32 v119, v116, v183
	v_fmac_f32_e32 v83, v119, v188
	v_add_u32_e32 v119, s24, v132
	ds_read2_b32 v[190:191], v119 offset1:1
	s_waitcnt lgkmcnt(0)
	v_ashrrev_i32_e32 v188, s22, v190
	v_and_b32_e32 v190, 0x3030303, v188
	v_bfe_u32 v188, v188, 24, 2
	v_sub_u16_e32 v194, v190, v192
	v_sub_u16_sdwa v195, v190, v192 dst_sel:BYTE_1 dst_unused:UNUSED_PAD src0_sel:BYTE_1 src1_sel:BYTE_1
	v_sub_u16_sdwa v188, v188, v192 dst_sel:BYTE_1 dst_unused:UNUSED_PAD src0_sel:DWORD src1_sel:BYTE_3
	v_sub_u16_sdwa v190, v190, v192 dst_sel:DWORD dst_unused:UNUSED_PAD src0_sel:WORD_1 src1_sel:WORD_1
	v_ashrrev_i32_e32 v192, s18, v193
	v_or_b32_sdwa v188, v190, v188 dst_sel:WORD_1 dst_unused:UNUSED_PAD src0_sel:BYTE_0 src1_sel:DWORD
	v_ashrrev_i32_e32 v190, s22, v191
	v_lshlrev_b32_e32 v192, 2, v192
	v_or_b32_sdwa v194, v194, v195 dst_sel:DWORD dst_unused:UNUSED_PAD src0_sel:BYTE_0 src1_sel:DWORD
	v_and_b32_e32 v191, 0x3030303, v190
	v_bfe_u32 v190, v190, 24, 2
	v_and_b32_e32 v192, 0x4040404, v192
	v_or_b32_sdwa v188, v194, v188 dst_sel:DWORD dst_unused:UNUSED_PAD src0_sel:WORD_0 src1_sel:DWORD
	v_sub_u16_e32 v193, v191, v192
	v_sub_u16_sdwa v194, v191, v192 dst_sel:BYTE_1 dst_unused:UNUSED_PAD src0_sel:BYTE_1 src1_sel:BYTE_1
	v_sub_u16_sdwa v190, v190, v192 dst_sel:BYTE_1 dst_unused:UNUSED_PAD src0_sel:DWORD src1_sel:BYTE_3
	v_sub_u16_sdwa v191, v191, v192 dst_sel:DWORD dst_unused:UNUSED_PAD src0_sel:WORD_1 src1_sel:WORD_1
	v_or_b32_sdwa v193, v193, v194 dst_sel:DWORD dst_unused:UNUSED_PAD src0_sel:BYTE_0 src1_sel:DWORD
	v_or_b32_sdwa v190, v191, v190 dst_sel:WORD_1 dst_unused:UNUSED_PAD src0_sel:BYTE_0 src1_sel:DWORD
	v_add_u32_e32 v194, 0x4208, v198
	v_or_b32_sdwa v190, v193, v190 dst_sel:DWORD dst_unused:UNUSED_PAD src0_sel:WORD_0 src1_sel:DWORD
	ds_read2_b32 v[192:193], v119 offset0:2 offset1:3
	ds_read2_b32 v[194:195], v194 offset1:1
	s_waitcnt lgkmcnt(1)
	v_ashrrev_i32_e32 v191, s22, v192
	s_waitcnt lgkmcnt(0)
	v_ashrrev_i32_e32 v194, s18, v194
	v_lshlrev_b32_e32 v194, 2, v194
	v_and_b32_e32 v192, 0x3030303, v191
	v_bfe_u32 v191, v191, 24, 2
	v_and_b32_e32 v194, 0x4040404, v194
	v_sub_u16_e32 v196, v192, v194
	v_sub_u16_sdwa v197, v192, v194 dst_sel:BYTE_1 dst_unused:UNUSED_PAD src0_sel:BYTE_1 src1_sel:BYTE_1
	v_sub_u16_sdwa v191, v191, v194 dst_sel:BYTE_1 dst_unused:UNUSED_PAD src0_sel:DWORD src1_sel:BYTE_3
	v_sub_u16_sdwa v192, v192, v194 dst_sel:DWORD dst_unused:UNUSED_PAD src0_sel:WORD_1 src1_sel:WORD_1
	v_ashrrev_i32_e32 v194, s18, v195
	v_or_b32_sdwa v191, v192, v191 dst_sel:WORD_1 dst_unused:UNUSED_PAD src0_sel:BYTE_0 src1_sel:DWORD
	v_ashrrev_i32_e32 v192, s22, v193
	v_lshlrev_b32_e32 v194, 2, v194
	v_or_b32_sdwa v196, v196, v197 dst_sel:DWORD dst_unused:UNUSED_PAD src0_sel:BYTE_0 src1_sel:DWORD
	v_and_b32_e32 v193, 0x3030303, v192
	v_bfe_u32 v192, v192, 24, 2
	v_and_b32_e32 v194, 0x4040404, v194
	v_or_b32_sdwa v191, v196, v191 dst_sel:DWORD dst_unused:UNUSED_PAD src0_sel:WORD_0 src1_sel:DWORD
	v_sub_u16_e32 v195, v193, v194
	v_sub_u16_sdwa v196, v193, v194 dst_sel:BYTE_1 dst_unused:UNUSED_PAD src0_sel:BYTE_1 src1_sel:BYTE_1
	v_sub_u16_sdwa v192, v192, v194 dst_sel:BYTE_1 dst_unused:UNUSED_PAD src0_sel:DWORD src1_sel:BYTE_3
	v_sub_u16_sdwa v193, v193, v194 dst_sel:DWORD dst_unused:UNUSED_PAD src0_sel:WORD_1 src1_sel:WORD_1
	v_or_b32_sdwa v195, v195, v196 dst_sel:DWORD dst_unused:UNUSED_PAD src0_sel:BYTE_0 src1_sel:DWORD
	v_or_b32_sdwa v192, v193, v192 dst_sel:WORD_1 dst_unused:UNUSED_PAD src0_sel:BYTE_0 src1_sel:DWORD
	v_add_u32_e32 v196, 0x4210, v198
	v_or_b32_sdwa v192, v195, v192 dst_sel:DWORD dst_unused:UNUSED_PAD src0_sel:WORD_0 src1_sel:DWORD
	ds_read2_b32 v[194:195], v119 offset0:4 offset1:5
	ds_read2_b32 v[196:197], v196 offset1:1
	s_waitcnt lgkmcnt(1)
	v_ashrrev_i32_e32 v193, s22, v194
	s_waitcnt lgkmcnt(0)
	v_ashrrev_i32_e32 v196, s18, v196
	v_lshlrev_b32_e32 v196, 2, v196
	v_and_b32_e32 v194, 0x3030303, v193
	v_bfe_u32 v193, v193, 24, 2
	v_and_b32_e32 v196, 0x4040404, v196
	v_sub_u16_e32 v199, v194, v196
	v_sub_u16_sdwa v200, v194, v196 dst_sel:BYTE_1 dst_unused:UNUSED_PAD src0_sel:BYTE_1 src1_sel:BYTE_1
	v_sub_u16_sdwa v193, v193, v196 dst_sel:BYTE_1 dst_unused:UNUSED_PAD src0_sel:DWORD src1_sel:BYTE_3
	v_sub_u16_sdwa v194, v194, v196 dst_sel:DWORD dst_unused:UNUSED_PAD src0_sel:WORD_1 src1_sel:WORD_1
	v_ashrrev_i32_e32 v196, s18, v197
	v_or_b32_sdwa v193, v194, v193 dst_sel:WORD_1 dst_unused:UNUSED_PAD src0_sel:BYTE_0 src1_sel:DWORD
	v_ashrrev_i32_e32 v194, s22, v195
	v_lshlrev_b32_e32 v196, 2, v196
	v_or_b32_sdwa v199, v199, v200 dst_sel:DWORD dst_unused:UNUSED_PAD src0_sel:BYTE_0 src1_sel:DWORD
	v_and_b32_e32 v195, 0x3030303, v194
	v_bfe_u32 v194, v194, 24, 2
	v_and_b32_e32 v196, 0x4040404, v196
	v_or_b32_sdwa v193, v199, v193 dst_sel:DWORD dst_unused:UNUSED_PAD src0_sel:WORD_0 src1_sel:DWORD
	v_sub_u16_e32 v197, v195, v196
	v_sub_u16_sdwa v199, v195, v196 dst_sel:BYTE_1 dst_unused:UNUSED_PAD src0_sel:BYTE_1 src1_sel:BYTE_1
	v_sub_u16_sdwa v194, v194, v196 dst_sel:BYTE_1 dst_unused:UNUSED_PAD src0_sel:DWORD src1_sel:BYTE_3
	v_sub_u16_sdwa v195, v195, v196 dst_sel:DWORD dst_unused:UNUSED_PAD src0_sel:WORD_1 src1_sel:WORD_1
	v_or_b32_sdwa v197, v197, v199 dst_sel:DWORD dst_unused:UNUSED_PAD src0_sel:BYTE_0 src1_sel:DWORD
	v_or_b32_sdwa v194, v195, v194 dst_sel:WORD_1 dst_unused:UNUSED_PAD src0_sel:BYTE_0 src1_sel:DWORD
	v_or_b32_sdwa v195, v197, v194 dst_sel:DWORD dst_unused:UNUSED_PAD src0_sel:WORD_0 src1_sel:DWORD
	ds_read2_b32 v[196:197], v119 offset0:6 offset1:7
	s_waitcnt lgkmcnt(0)
	v_ashrrev_i32_e32 v119, s22, v196
	v_add_u32_e32 v196, 0x4218, v198
	ds_read2_b32 v[198:199], v196 offset1:1
	v_and_b32_e32 v194, 0x3030303, v119
	v_bfe_u32 v119, v119, 24, 2
	s_waitcnt lgkmcnt(0)
	v_ashrrev_i32_e32 v196, s18, v198
	v_lshlrev_b32_e32 v196, 2, v196
	v_and_b32_e32 v196, 0x4040404, v196
	v_sub_u16_e32 v198, v194, v196
	v_sub_u16_sdwa v200, v194, v196 dst_sel:BYTE_1 dst_unused:UNUSED_PAD src0_sel:BYTE_1 src1_sel:BYTE_1
	v_sub_u16_sdwa v119, v119, v196 dst_sel:BYTE_1 dst_unused:UNUSED_PAD src0_sel:DWORD src1_sel:BYTE_3
	v_sub_u16_sdwa v194, v194, v196 dst_sel:DWORD dst_unused:UNUSED_PAD src0_sel:WORD_1 src1_sel:WORD_1
	v_or_b32_sdwa v198, v198, v200 dst_sel:DWORD dst_unused:UNUSED_PAD src0_sel:BYTE_0 src1_sel:DWORD
	v_or_b32_sdwa v119, v194, v119 dst_sel:WORD_1 dst_unused:UNUSED_PAD src0_sel:BYTE_0 src1_sel:DWORD
	v_or_b32_sdwa v196, v198, v119 dst_sel:DWORD dst_unused:UNUSED_PAD src0_sel:WORD_0 src1_sel:DWORD
	v_ashrrev_i32_e32 v119, s22, v197
	v_ashrrev_i32_e32 v197, s18, v199
	v_lshlrev_b32_e32 v197, 2, v197
	v_and_b32_e32 v194, 0x3030303, v119
	v_bfe_u32 v119, v119, 24, 2
	v_and_b32_e32 v197, 0x4040404, v197
	v_sub_u16_e32 v198, v194, v197
	v_sub_u16_sdwa v199, v194, v197 dst_sel:BYTE_1 dst_unused:UNUSED_PAD src0_sel:BYTE_1 src1_sel:BYTE_1
	v_sub_u16_sdwa v119, v119, v197 dst_sel:BYTE_1 dst_unused:UNUSED_PAD src0_sel:DWORD src1_sel:BYTE_3
	v_sub_u16_sdwa v194, v194, v197 dst_sel:DWORD dst_unused:UNUSED_PAD src0_sel:WORD_1 src1_sel:WORD_1
	v_or_b32_sdwa v198, v198, v199 dst_sel:DWORD dst_unused:UNUSED_PAD src0_sel:BYTE_0 src1_sel:DWORD
	v_or_b32_sdwa v119, v194, v119 dst_sel:WORD_1 dst_unused:UNUSED_PAD src0_sel:BYTE_0 src1_sel:DWORD
	v_or_b32_sdwa v197, v198, v119 dst_sel:DWORD dst_unused:UNUSED_PAD src0_sel:WORD_0 src1_sel:DWORD
	v_add3_u32 v119, v145, s21, v118
	v_add_u32_e32 v194, s25, v133
	ds_read_b32 v194, v194
	ds_read_u16 v119, v119 offset:10242
	v_mov_b32_e32 v199, 0
	v_dot4c_i32_i8_e32 v199, v188, v4
	v_dot4c_i32_i8_e32 v199, v190, v5
	;; [unrolled: 1-line block ×3, first 2 shown]
	s_waitcnt lgkmcnt(0)
	v_lshrrev_b16_e32 v200, 8, v119
	v_bfe_i32 v198, v119, 0, 8
	v_mov_b32_e32 v119, 0
	v_dot4c_i32_i8_e32 v119, v193, v0
	v_dot4c_i32_i8_e32 v119, v195, v1
	;; [unrolled: 1-line block ×5, first 2 shown]
	v_bfe_i32 v200, v200, 0, 8
	v_mul_lo_u32 v202, v199, v198
	v_add3_u32 v118, v147, s21, v118
	v_mad_u64_u32 v[202:203], s[26:27], v119, v200, v[202:203]
	v_cvt_f32_i32_e32 v199, v202
	v_mul_f32_e32 v119, v116, v194
	s_mov_b32 s21, s20
	v_fmac_f32_e32 v81, v119, v199
	v_add_u32_e32 v119, s24, v135
	ds_read2_b32 v[202:203], v119 offset1:1
	s_waitcnt lgkmcnt(0)
	v_ashrrev_i32_e32 v199, s22, v202
	v_add_u32_e32 v202, 0x4200, v210
	ds_read2_b32 v[204:205], v202 offset1:1
	v_and_b32_e32 v201, 0x3030303, v199
	v_bfe_u32 v199, v199, 24, 2
	s_waitcnt lgkmcnt(0)
	v_ashrrev_i32_e32 v202, s18, v204
	v_lshlrev_b32_e32 v202, 2, v202
	v_and_b32_e32 v202, 0x4040404, v202
	v_sub_u16_e32 v204, v201, v202
	v_sub_u16_sdwa v206, v201, v202 dst_sel:BYTE_1 dst_unused:UNUSED_PAD src0_sel:BYTE_1 src1_sel:BYTE_1
	v_sub_u16_sdwa v199, v199, v202 dst_sel:BYTE_1 dst_unused:UNUSED_PAD src0_sel:DWORD src1_sel:BYTE_3
	v_sub_u16_sdwa v201, v201, v202 dst_sel:DWORD dst_unused:UNUSED_PAD src0_sel:WORD_1 src1_sel:WORD_1
	v_or_b32_sdwa v199, v201, v199 dst_sel:WORD_1 dst_unused:UNUSED_PAD src0_sel:BYTE_0 src1_sel:DWORD
	v_ashrrev_i32_e32 v201, s22, v203
	v_ashrrev_i32_e32 v203, s18, v205
	v_lshlrev_b32_e32 v203, 2, v203
	v_or_b32_sdwa v204, v204, v206 dst_sel:DWORD dst_unused:UNUSED_PAD src0_sel:BYTE_0 src1_sel:DWORD
	v_and_b32_e32 v202, 0x3030303, v201
	v_bfe_u32 v201, v201, 24, 2
	v_and_b32_e32 v203, 0x4040404, v203
	v_or_b32_sdwa v199, v204, v199 dst_sel:DWORD dst_unused:UNUSED_PAD src0_sel:WORD_0 src1_sel:DWORD
	v_sub_u16_e32 v204, v202, v203
	v_sub_u16_sdwa v205, v202, v203 dst_sel:BYTE_1 dst_unused:UNUSED_PAD src0_sel:BYTE_1 src1_sel:BYTE_1
	v_sub_u16_sdwa v201, v201, v203 dst_sel:BYTE_1 dst_unused:UNUSED_PAD src0_sel:DWORD src1_sel:BYTE_3
	v_sub_u16_sdwa v202, v202, v203 dst_sel:DWORD dst_unused:UNUSED_PAD src0_sel:WORD_1 src1_sel:WORD_1
	v_or_b32_sdwa v204, v204, v205 dst_sel:DWORD dst_unused:UNUSED_PAD src0_sel:BYTE_0 src1_sel:DWORD
	v_or_b32_sdwa v201, v202, v201 dst_sel:WORD_1 dst_unused:UNUSED_PAD src0_sel:BYTE_0 src1_sel:DWORD
	v_or_b32_sdwa v201, v204, v201 dst_sel:DWORD dst_unused:UNUSED_PAD src0_sel:WORD_0 src1_sel:DWORD
	v_add_u32_e32 v204, 0x4208, v210
	ds_read2_b32 v[202:203], v119 offset0:2 offset1:3
	ds_read2_b32 v[204:205], v204 offset1:1
	s_waitcnt lgkmcnt(1)
	v_ashrrev_i32_e32 v202, s22, v202
	s_waitcnt lgkmcnt(0)
	v_ashrrev_i32_e32 v204, s18, v204
	v_lshlrev_b32_e32 v204, 2, v204
	v_and_b32_e32 v206, 0x3030303, v202
	v_bfe_u32 v202, v202, 24, 2
	v_and_b32_e32 v204, 0x4040404, v204
	v_ashrrev_i32_e32 v205, s18, v205
	v_sub_u16_e32 v207, v206, v204
	v_sub_u16_sdwa v208, v206, v204 dst_sel:BYTE_1 dst_unused:UNUSED_PAD src0_sel:BYTE_1 src1_sel:BYTE_1
	v_sub_u16_sdwa v202, v202, v204 dst_sel:BYTE_1 dst_unused:UNUSED_PAD src0_sel:DWORD src1_sel:BYTE_3
	v_sub_u16_sdwa v204, v206, v204 dst_sel:DWORD dst_unused:UNUSED_PAD src0_sel:WORD_1 src1_sel:WORD_1
	v_ashrrev_i32_e32 v203, s22, v203
	v_lshlrev_b32_e32 v205, 2, v205
	v_or_b32_sdwa v207, v207, v208 dst_sel:DWORD dst_unused:UNUSED_PAD src0_sel:BYTE_0 src1_sel:DWORD
	v_or_b32_sdwa v202, v204, v202 dst_sel:WORD_1 dst_unused:UNUSED_PAD src0_sel:BYTE_0 src1_sel:DWORD
	v_and_b32_e32 v204, 0x3030303, v203
	v_bfe_u32 v203, v203, 24, 2
	v_and_b32_e32 v205, 0x4040404, v205
	v_or_b32_sdwa v202, v207, v202 dst_sel:DWORD dst_unused:UNUSED_PAD src0_sel:WORD_0 src1_sel:DWORD
	v_sub_u16_e32 v206, v204, v205
	v_sub_u16_sdwa v207, v204, v205 dst_sel:BYTE_1 dst_unused:UNUSED_PAD src0_sel:BYTE_1 src1_sel:BYTE_1
	v_sub_u16_sdwa v203, v203, v205 dst_sel:BYTE_1 dst_unused:UNUSED_PAD src0_sel:DWORD src1_sel:BYTE_3
	v_sub_u16_sdwa v204, v204, v205 dst_sel:DWORD dst_unused:UNUSED_PAD src0_sel:WORD_1 src1_sel:WORD_1
	v_or_b32_sdwa v206, v206, v207 dst_sel:DWORD dst_unused:UNUSED_PAD src0_sel:BYTE_0 src1_sel:DWORD
	v_or_b32_sdwa v203, v204, v203 dst_sel:WORD_1 dst_unused:UNUSED_PAD src0_sel:BYTE_0 src1_sel:DWORD
	v_or_b32_sdwa v203, v206, v203 dst_sel:DWORD dst_unused:UNUSED_PAD src0_sel:WORD_0 src1_sel:DWORD
	v_add_u32_e32 v206, 0x4210, v210
	ds_read2_b32 v[204:205], v119 offset0:4 offset1:5
	ds_read2_b32 v[206:207], v206 offset1:1
	s_waitcnt lgkmcnt(1)
	v_ashrrev_i32_e32 v204, s22, v204
	s_waitcnt lgkmcnt(0)
	v_ashrrev_i32_e32 v206, s18, v206
	v_lshlrev_b32_e32 v206, 2, v206
	v_and_b32_e32 v208, 0x3030303, v204
	v_bfe_u32 v204, v204, 24, 2
	v_and_b32_e32 v206, 0x4040404, v206
	v_ashrrev_i32_e32 v207, s18, v207
	v_sub_u16_e32 v209, v208, v206
	v_sub_u16_sdwa v211, v208, v206 dst_sel:BYTE_1 dst_unused:UNUSED_PAD src0_sel:BYTE_1 src1_sel:BYTE_1
	v_sub_u16_sdwa v204, v204, v206 dst_sel:BYTE_1 dst_unused:UNUSED_PAD src0_sel:DWORD src1_sel:BYTE_3
	v_sub_u16_sdwa v206, v208, v206 dst_sel:DWORD dst_unused:UNUSED_PAD src0_sel:WORD_1 src1_sel:WORD_1
	v_ashrrev_i32_e32 v205, s22, v205
	v_lshlrev_b32_e32 v207, 2, v207
	v_or_b32_sdwa v209, v209, v211 dst_sel:DWORD dst_unused:UNUSED_PAD src0_sel:BYTE_0 src1_sel:DWORD
	v_or_b32_sdwa v204, v206, v204 dst_sel:WORD_1 dst_unused:UNUSED_PAD src0_sel:BYTE_0 src1_sel:DWORD
	v_and_b32_e32 v206, 0x3030303, v205
	v_bfe_u32 v205, v205, 24, 2
	v_and_b32_e32 v207, 0x4040404, v207
	v_or_b32_sdwa v204, v209, v204 dst_sel:DWORD dst_unused:UNUSED_PAD src0_sel:WORD_0 src1_sel:DWORD
	v_sub_u16_e32 v208, v206, v207
	v_sub_u16_sdwa v209, v206, v207 dst_sel:BYTE_1 dst_unused:UNUSED_PAD src0_sel:BYTE_1 src1_sel:BYTE_1
	v_sub_u16_sdwa v205, v205, v207 dst_sel:BYTE_1 dst_unused:UNUSED_PAD src0_sel:DWORD src1_sel:BYTE_3
	v_sub_u16_sdwa v206, v206, v207 dst_sel:DWORD dst_unused:UNUSED_PAD src0_sel:WORD_1 src1_sel:WORD_1
	v_or_b32_sdwa v208, v208, v209 dst_sel:DWORD dst_unused:UNUSED_PAD src0_sel:BYTE_0 src1_sel:DWORD
	v_or_b32_sdwa v205, v206, v205 dst_sel:WORD_1 dst_unused:UNUSED_PAD src0_sel:BYTE_0 src1_sel:DWORD
	v_add_u32_e32 v207, 0x4218, v210
	v_or_b32_sdwa v206, v208, v205 dst_sel:DWORD dst_unused:UNUSED_PAD src0_sel:WORD_0 src1_sel:DWORD
	ds_read2_b32 v[208:209], v119 offset0:6 offset1:7
	ds_read2_b32 v[210:211], v207 offset1:1
	s_waitcnt lgkmcnt(1)
	v_ashrrev_i32_e32 v119, s22, v208
	s_waitcnt lgkmcnt(0)
	v_ashrrev_i32_e32 v207, s18, v210
	v_lshlrev_b32_e32 v207, 2, v207
	v_and_b32_e32 v205, 0x3030303, v119
	v_bfe_u32 v119, v119, 24, 2
	v_and_b32_e32 v207, 0x4040404, v207
	v_sub_u16_e32 v208, v205, v207
	v_sub_u16_sdwa v210, v205, v207 dst_sel:BYTE_1 dst_unused:UNUSED_PAD src0_sel:BYTE_1 src1_sel:BYTE_1
	v_sub_u16_sdwa v119, v119, v207 dst_sel:BYTE_1 dst_unused:UNUSED_PAD src0_sel:DWORD src1_sel:BYTE_3
	v_sub_u16_sdwa v205, v205, v207 dst_sel:DWORD dst_unused:UNUSED_PAD src0_sel:WORD_1 src1_sel:WORD_1
	v_or_b32_sdwa v208, v208, v210 dst_sel:DWORD dst_unused:UNUSED_PAD src0_sel:BYTE_0 src1_sel:DWORD
	v_or_b32_sdwa v119, v205, v119 dst_sel:WORD_1 dst_unused:UNUSED_PAD src0_sel:BYTE_0 src1_sel:DWORD
	v_or_b32_sdwa v207, v208, v119 dst_sel:DWORD dst_unused:UNUSED_PAD src0_sel:WORD_0 src1_sel:DWORD
	v_ashrrev_i32_e32 v208, s18, v211
	v_ashrrev_i32_e32 v119, s22, v209
	v_lshlrev_b32_e32 v208, 2, v208
	v_and_b32_e32 v205, 0x3030303, v119
	v_bfe_u32 v119, v119, 24, 2
	v_and_b32_e32 v208, 0x4040404, v208
	v_sub_u16_e32 v209, v205, v208
	v_sub_u16_sdwa v210, v205, v208 dst_sel:BYTE_1 dst_unused:UNUSED_PAD src0_sel:BYTE_1 src1_sel:BYTE_1
	v_sub_u16_sdwa v119, v119, v208 dst_sel:BYTE_1 dst_unused:UNUSED_PAD src0_sel:DWORD src1_sel:BYTE_3
	v_sub_u16_sdwa v205, v205, v208 dst_sel:DWORD dst_unused:UNUSED_PAD src0_sel:WORD_1 src1_sel:WORD_1
	v_or_b32_sdwa v209, v209, v210 dst_sel:DWORD dst_unused:UNUSED_PAD src0_sel:BYTE_0 src1_sel:DWORD
	v_or_b32_sdwa v119, v205, v119 dst_sel:WORD_1 dst_unused:UNUSED_PAD src0_sel:BYTE_0 src1_sel:DWORD
	v_or_b32_sdwa v208, v209, v119 dst_sel:DWORD dst_unused:UNUSED_PAD src0_sel:WORD_0 src1_sel:DWORD
	v_add_u32_e32 v119, s25, v136
	ds_read_b32 v205, v119
	v_mov_b32_e32 v119, 0
	v_dot4c_i32_i8_e32 v119, v199, v4
	ds_read_u16 v4, v118 offset:11266
	v_dot4c_i32_i8_e32 v119, v201, v5
	v_dot4c_i32_i8_e32 v119, v202, v6
	v_mov_b32_e32 v6, 0
	v_dot4c_i32_i8_e32 v6, v204, v0
	v_dot4c_i32_i8_e32 v6, v206, v1
	;; [unrolled: 1-line block ×3, first 2 shown]
	s_waitcnt lgkmcnt(0)
	v_lshrrev_b16_e32 v5, 8, v4
	v_bfe_i32 v209, v4, 0, 8
	v_dot4c_i32_i8_e32 v6, v207, v2
	v_mul_lo_u32 v4, v119, v209
	v_dot4c_i32_i8_e32 v6, v208, v3
	v_bfe_i32 v210, v5, 0, 8
	v_mov_b32_e32 v118, 0
	s_add_i32 s18, s18, 1
	v_mad_u64_u32 v[0:1], s[22:23], v6, v210, v[4:5]
	v_cvt_f32_i32_e32 v0, v0
	v_mul_f32_e32 v1, v116, v205
	v_mov_b32_e32 v116, 0
	s_cmp_lt_u32 s20, 14
	v_fmac_f32_e32 v75, v1, v0
	ds_read_b128 v[0:3], v165 offset:26368
	ds_read_b128 v[4:7], v165 offset:26384
	s_waitcnt lgkmcnt(1)
	v_dot4c_i32_i8_e32 v116, v167, v0
	v_dot4c_i32_i8_e32 v116, v168, v1
	s_waitcnt lgkmcnt(0)
	v_dot4c_i32_i8_e32 v118, v172, v4
	v_dot4c_i32_i8_e32 v116, v169, v2
	;; [unrolled: 1-line block ×6, first 2 shown]
	s_nop 0
	v_mul_lo_u32 v116, v116, v176
	s_nop 0
	v_mad_u64_u32 v[118:119], s[22:23], v118, v178, v[116:117]
	v_cvt_f32_i32_e32 v118, v118
	v_mul_f32_e32 v116, v171, v117
	v_fmac_f32_e32 v71, v116, v118
	v_mov_b32_e32 v116, 0
	v_dot4c_i32_i8_e32 v116, v177, v0
	v_mov_b32_e32 v118, 0
	v_dot4c_i32_i8_e32 v116, v179, v1
	v_dot4c_i32_i8_e32 v118, v182, v4
	;; [unrolled: 1-line block ×7, first 2 shown]
	s_nop 0
	v_mul_lo_u32 v116, v116, v187
	s_nop 0
	v_mad_u64_u32 v[118:119], s[22:23], v118, v189, v[116:117]
	v_cvt_f32_i32_e32 v118, v118
	v_mul_f32_e32 v116, v183, v117
	v_fmac_f32_e32 v69, v116, v118
	v_mov_b32_e32 v116, 0
	v_dot4c_i32_i8_e32 v116, v188, v0
	v_mov_b32_e32 v118, 0
	v_dot4c_i32_i8_e32 v116, v190, v1
	v_dot4c_i32_i8_e32 v118, v193, v4
	;; [unrolled: 1-line block ×7, first 2 shown]
	s_nop 0
	v_mul_lo_u32 v116, v116, v198
	s_nop 0
	v_mad_u64_u32 v[118:119], s[22:23], v118, v200, v[116:117]
	v_cvt_f32_i32_e32 v118, v118
	v_mul_f32_e32 v116, v194, v117
	v_fmac_f32_e32 v65, v116, v118
	v_mov_b32_e32 v116, 0
	v_dot4c_i32_i8_e32 v116, v199, v0
	v_dot4c_i32_i8_e32 v116, v201, v1
	v_mov_b32_e32 v1, 0
	v_dot4c_i32_i8_e32 v1, v204, v4
	v_dot4c_i32_i8_e32 v116, v202, v2
	;; [unrolled: 1-line block ×6, first 2 shown]
	s_nop 0
	v_mul_lo_u32 v0, v116, v209
	s_nop 0
	v_mad_u64_u32 v[0:1], s[22:23], v1, v210, v[0:1]
	v_cvt_f32_i32_e32 v0, v0
	v_mul_f32_e32 v1, v205, v117
	v_fmac_f32_e32 v61, v1, v0
	v_add_u32_e32 v0, 0x9800, v166
	ds_read2_b32 v[6:7], v0 offset0:40 offset1:72
	ds_read_b128 v[2:5], v165 offset:27392
	ds_read_b128 v[116:119], v165 offset:27408
	v_mov_b32_e32 v1, 0
	v_add_u32_e32 v166, 4, v166
	s_waitcnt lgkmcnt(1)
	v_dot4c_i32_i8_e32 v1, v167, v2
	v_dot4c_i32_i8_e32 v1, v168, v3
	;; [unrolled: 1-line block ×4, first 2 shown]
	s_nop 2
	v_mul_lo_u32 v212, v1, v176
	v_mov_b32_e32 v1, 0
	s_waitcnt lgkmcnt(0)
	v_dot4c_i32_i8_e32 v1, v172, v116
	v_dot4c_i32_i8_e32 v1, v173, v117
	;; [unrolled: 1-line block ×4, first 2 shown]
	s_nop 2
	v_mad_u64_u32 v[212:213], s[22:23], v1, v178, v[212:213]
	v_cvt_f32_i32_e32 v211, v212
	v_mul_f32_e32 v1, v171, v6
	v_fmac_f32_e32 v59, v1, v211
	v_mov_b32_e32 v1, 0
	v_dot4c_i32_i8_e32 v1, v177, v2
	v_dot4c_i32_i8_e32 v1, v179, v3
	;; [unrolled: 1-line block ×4, first 2 shown]
	s_nop 2
	v_mul_lo_u32 v212, v1, v187
	v_mov_b32_e32 v1, 0
	v_dot4c_i32_i8_e32 v1, v182, v116
	v_dot4c_i32_i8_e32 v1, v184, v117
	;; [unrolled: 1-line block ×4, first 2 shown]
	s_nop 2
	v_mad_u64_u32 v[212:213], s[22:23], v1, v189, v[212:213]
	v_cvt_f32_i32_e32 v211, v212
	v_mul_f32_e32 v1, v183, v6
	v_fmac_f32_e32 v57, v1, v211
	v_mov_b32_e32 v1, 0
	v_dot4c_i32_i8_e32 v1, v188, v2
	v_dot4c_i32_i8_e32 v1, v190, v3
	;; [unrolled: 1-line block ×4, first 2 shown]
	s_nop 2
	v_mul_lo_u32 v212, v1, v198
	v_mov_b32_e32 v1, 0
	v_dot4c_i32_i8_e32 v1, v193, v116
	v_dot4c_i32_i8_e32 v1, v195, v117
	;; [unrolled: 1-line block ×4, first 2 shown]
	s_nop 2
	v_mad_u64_u32 v[212:213], s[22:23], v1, v200, v[212:213]
	v_cvt_f32_i32_e32 v211, v212
	v_mul_f32_e32 v1, v194, v6
	v_fmac_f32_e32 v55, v1, v211
	v_mov_b32_e32 v1, 0
	v_dot4c_i32_i8_e32 v1, v199, v2
	v_dot4c_i32_i8_e32 v1, v201, v3
	;; [unrolled: 1-line block ×4, first 2 shown]
                                        ; kill: def $vgpr3 killed $sgpr0 killed $exec
	s_nop 2
	v_mul_lo_u32 v2, v1, v209
	v_mov_b32_e32 v1, 0
	v_dot4c_i32_i8_e32 v1, v204, v116
	v_dot4c_i32_i8_e32 v1, v206, v117
	;; [unrolled: 1-line block ×4, first 2 shown]
	s_nop 2
	v_mad_u64_u32 v[2:3], s[22:23], v1, v210, v[2:3]
	v_cvt_f32_i32_e32 v2, v2
	v_mul_f32_e32 v1, v205, v6
	v_fmac_f32_e32 v53, v1, v2
	ds_read_b128 v[2:5], v165 offset:28416
	ds_read_b128 v[116:119], v165 offset:28432
	v_mov_b32_e32 v1, 0
	s_waitcnt lgkmcnt(1)
	v_dot4c_i32_i8_e32 v1, v167, v2
	v_dot4c_i32_i8_e32 v1, v168, v3
	;; [unrolled: 1-line block ×4, first 2 shown]
	s_nop 2
	v_mul_lo_u32 v6, v1, v176
	v_mov_b32_e32 v1, 0
	s_waitcnt lgkmcnt(0)
	v_dot4c_i32_i8_e32 v1, v172, v116
	v_dot4c_i32_i8_e32 v1, v173, v117
	;; [unrolled: 1-line block ×4, first 2 shown]
	s_nop 2
	v_mad_u64_u32 v[212:213], s[22:23], v1, v178, v[6:7]
	v_cvt_f32_i32_e32 v6, v212
	v_mul_f32_e32 v1, v171, v7
	v_fmac_f32_e32 v51, v1, v6
	v_mov_b32_e32 v1, 0
	v_dot4c_i32_i8_e32 v1, v177, v2
	v_dot4c_i32_i8_e32 v1, v179, v3
	;; [unrolled: 1-line block ×4, first 2 shown]
	s_nop 2
	v_mul_lo_u32 v6, v1, v187
	v_mov_b32_e32 v1, 0
	v_dot4c_i32_i8_e32 v1, v182, v116
	v_dot4c_i32_i8_e32 v1, v184, v117
	;; [unrolled: 1-line block ×4, first 2 shown]
	s_nop 2
	v_mad_u64_u32 v[212:213], s[22:23], v1, v189, v[6:7]
	v_cvt_f32_i32_e32 v6, v212
	v_mul_f32_e32 v1, v183, v7
	v_fmac_f32_e32 v47, v1, v6
	v_mov_b32_e32 v1, 0
	v_dot4c_i32_i8_e32 v1, v188, v2
	v_dot4c_i32_i8_e32 v1, v190, v3
	;; [unrolled: 1-line block ×4, first 2 shown]
	s_nop 2
	v_mul_lo_u32 v6, v1, v198
	v_mov_b32_e32 v1, 0
	v_dot4c_i32_i8_e32 v1, v193, v116
	v_dot4c_i32_i8_e32 v1, v195, v117
	v_dot4c_i32_i8_e32 v1, v196, v118
	v_dot4c_i32_i8_e32 v1, v197, v119
	s_nop 2
	v_mad_u64_u32 v[212:213], s[22:23], v1, v200, v[6:7]
	v_cvt_f32_i32_e32 v6, v212
	v_mul_f32_e32 v1, v194, v7
	v_fmac_f32_e32 v43, v1, v6
	v_mov_b32_e32 v1, 0
	v_dot4c_i32_i8_e32 v1, v199, v2
	v_dot4c_i32_i8_e32 v1, v201, v3
	;; [unrolled: 1-line block ×4, first 2 shown]
                                        ; kill: def $vgpr3 killed $sgpr0 killed $exec
	s_nop 2
	v_mul_lo_u32 v2, v1, v209
	v_mov_b32_e32 v1, 0
	v_dot4c_i32_i8_e32 v1, v204, v116
	v_dot4c_i32_i8_e32 v1, v206, v117
	;; [unrolled: 1-line block ×4, first 2 shown]
	s_nop 2
	v_mad_u64_u32 v[2:3], s[22:23], v1, v210, v[2:3]
	v_cvt_f32_i32_e32 v2, v2
	v_mul_f32_e32 v1, v205, v7
	v_fmac_f32_e32 v41, v1, v2
	ds_read2_b32 v[6:7], v0 offset0:104 offset1:136
	ds_read_b128 v[2:5], v165 offset:29440
	ds_read_b128 v[116:119], v165 offset:29456
	v_mov_b32_e32 v1, 0
	s_waitcnt lgkmcnt(1)
	v_dot4c_i32_i8_e32 v1, v167, v2
	v_dot4c_i32_i8_e32 v1, v168, v3
	;; [unrolled: 1-line block ×4, first 2 shown]
	s_nop 2
	v_mul_lo_u32 v212, v1, v176
	v_mov_b32_e32 v1, 0
	s_waitcnt lgkmcnt(0)
	v_dot4c_i32_i8_e32 v1, v172, v116
	v_dot4c_i32_i8_e32 v1, v173, v117
	;; [unrolled: 1-line block ×4, first 2 shown]
	s_nop 2
	v_mad_u64_u32 v[212:213], s[22:23], v1, v178, v[212:213]
	v_cvt_f32_i32_e32 v211, v212
	v_mul_f32_e32 v1, v171, v6
	v_fmac_f32_e32 v39, v1, v211
	v_mov_b32_e32 v1, 0
	v_dot4c_i32_i8_e32 v1, v177, v2
	v_dot4c_i32_i8_e32 v1, v179, v3
	;; [unrolled: 1-line block ×4, first 2 shown]
	s_nop 2
	v_mul_lo_u32 v212, v1, v187
	v_mov_b32_e32 v1, 0
	v_dot4c_i32_i8_e32 v1, v182, v116
	v_dot4c_i32_i8_e32 v1, v184, v117
	;; [unrolled: 1-line block ×4, first 2 shown]
	s_nop 2
	v_mad_u64_u32 v[212:213], s[22:23], v1, v189, v[212:213]
	v_cvt_f32_i32_e32 v211, v212
	v_mul_f32_e32 v1, v183, v6
	v_fmac_f32_e32 v37, v1, v211
	v_mov_b32_e32 v1, 0
	v_dot4c_i32_i8_e32 v1, v188, v2
	v_dot4c_i32_i8_e32 v1, v190, v3
	v_dot4c_i32_i8_e32 v1, v191, v4
	v_dot4c_i32_i8_e32 v1, v192, v5
	s_nop 2
	v_mul_lo_u32 v212, v1, v198
	v_mov_b32_e32 v1, 0
	v_dot4c_i32_i8_e32 v1, v193, v116
	v_dot4c_i32_i8_e32 v1, v195, v117
	;; [unrolled: 1-line block ×4, first 2 shown]
	s_nop 2
	v_mad_u64_u32 v[212:213], s[22:23], v1, v200, v[212:213]
	v_cvt_f32_i32_e32 v211, v212
	v_mul_f32_e32 v1, v194, v6
	v_fmac_f32_e32 v35, v1, v211
	v_mov_b32_e32 v1, 0
	v_dot4c_i32_i8_e32 v1, v199, v2
	v_dot4c_i32_i8_e32 v1, v201, v3
	;; [unrolled: 1-line block ×4, first 2 shown]
                                        ; kill: def $vgpr3 killed $sgpr0 killed $exec
	s_nop 2
	v_mul_lo_u32 v2, v1, v209
	v_mov_b32_e32 v1, 0
	v_dot4c_i32_i8_e32 v1, v204, v116
	v_dot4c_i32_i8_e32 v1, v206, v117
	;; [unrolled: 1-line block ×4, first 2 shown]
	s_nop 2
	v_mad_u64_u32 v[2:3], s[22:23], v1, v210, v[2:3]
	v_cvt_f32_i32_e32 v2, v2
	v_mul_f32_e32 v1, v205, v6
	v_fmac_f32_e32 v33, v1, v2
	ds_read_b128 v[2:5], v165 offset:30464
	ds_read_b128 v[116:119], v165 offset:30480
	v_mov_b32_e32 v1, 0
	s_waitcnt lgkmcnt(1)
	v_dot4c_i32_i8_e32 v1, v167, v2
	v_dot4c_i32_i8_e32 v1, v168, v3
	;; [unrolled: 1-line block ×4, first 2 shown]
	s_nop 2
	v_mul_lo_u32 v6, v1, v176
	v_mov_b32_e32 v1, 0
	s_waitcnt lgkmcnt(0)
	v_dot4c_i32_i8_e32 v1, v172, v116
	v_dot4c_i32_i8_e32 v1, v173, v117
	;; [unrolled: 1-line block ×4, first 2 shown]
	s_nop 2
	v_mad_u64_u32 v[212:213], s[22:23], v1, v178, v[6:7]
	v_cvt_f32_i32_e32 v6, v212
	v_mul_f32_e32 v1, v171, v7
	v_fmac_f32_e32 v31, v1, v6
	v_mov_b32_e32 v1, 0
	v_dot4c_i32_i8_e32 v1, v177, v2
	v_dot4c_i32_i8_e32 v1, v179, v3
	;; [unrolled: 1-line block ×4, first 2 shown]
	s_nop 2
	v_mul_lo_u32 v6, v1, v187
	v_mov_b32_e32 v1, 0
	v_dot4c_i32_i8_e32 v1, v182, v116
	v_dot4c_i32_i8_e32 v1, v184, v117
	;; [unrolled: 1-line block ×4, first 2 shown]
	s_nop 2
	v_mad_u64_u32 v[212:213], s[22:23], v1, v189, v[6:7]
	v_cvt_f32_i32_e32 v6, v212
	v_mul_f32_e32 v1, v183, v7
	v_fmac_f32_e32 v29, v1, v6
	v_mov_b32_e32 v1, 0
	v_dot4c_i32_i8_e32 v1, v188, v2
	v_dot4c_i32_i8_e32 v1, v190, v3
	;; [unrolled: 1-line block ×4, first 2 shown]
	s_nop 2
	v_mul_lo_u32 v6, v1, v198
	v_mov_b32_e32 v1, 0
	v_dot4c_i32_i8_e32 v1, v193, v116
	v_dot4c_i32_i8_e32 v1, v195, v117
	;; [unrolled: 1-line block ×4, first 2 shown]
	s_nop 2
	v_mad_u64_u32 v[212:213], s[22:23], v1, v200, v[6:7]
	v_cvt_f32_i32_e32 v6, v212
	v_mul_f32_e32 v1, v194, v7
	v_fmac_f32_e32 v27, v1, v6
	v_mov_b32_e32 v1, 0
	v_dot4c_i32_i8_e32 v1, v199, v2
	v_dot4c_i32_i8_e32 v1, v201, v3
	;; [unrolled: 1-line block ×4, first 2 shown]
                                        ; kill: def $vgpr3 killed $sgpr0 killed $exec
	s_nop 2
	v_mul_lo_u32 v2, v1, v209
	v_mov_b32_e32 v1, 0
	v_dot4c_i32_i8_e32 v1, v204, v116
	v_dot4c_i32_i8_e32 v1, v206, v117
	;; [unrolled: 1-line block ×4, first 2 shown]
	v_mov_b32_e32 v118, 0
	v_mov_b32_e32 v119, 0
	s_nop 0
	v_mad_u64_u32 v[2:3], s[22:23], v1, v210, v[2:3]
	v_cvt_f32_i32_e32 v2, v2
	v_mul_f32_e32 v1, v205, v7
	v_fmac_f32_e32 v25, v1, v2
	ds_read2_b32 v[116:117], v0 offset0:168 offset1:200
	ds_read_b128 v[4:7], v165 offset:31488
	ds_read_b128 v[0:3], v165 offset:31504
	s_waitcnt lgkmcnt(1)
	v_dot4c_i32_i8_e32 v118, v167, v4
	v_dot4c_i32_i8_e32 v118, v168, v5
	s_waitcnt lgkmcnt(0)
	v_dot4c_i32_i8_e32 v119, v172, v0
	v_dot4c_i32_i8_e32 v118, v169, v6
	;; [unrolled: 1-line block ×6, first 2 shown]
	s_nop 0
	v_mul_lo_u32 v118, v118, v176
	s_nop 0
	v_mad_u64_u32 v[118:119], s[22:23], v119, v178, v[118:119]
	v_cvt_f32_i32_e32 v118, v118
	v_mul_f32_e32 v119, v171, v116
	v_fmac_f32_e32 v23, v119, v118
	v_mov_b32_e32 v118, 0
	v_dot4c_i32_i8_e32 v118, v177, v4
	v_mov_b32_e32 v119, 0
	v_dot4c_i32_i8_e32 v118, v179, v5
	v_dot4c_i32_i8_e32 v119, v182, v0
	;; [unrolled: 1-line block ×7, first 2 shown]
	s_nop 0
	v_mul_lo_u32 v118, v118, v187
	s_nop 0
	v_mad_u64_u32 v[118:119], s[22:23], v119, v189, v[118:119]
	v_cvt_f32_i32_e32 v118, v118
	v_mul_f32_e32 v119, v183, v116
	v_fmac_f32_e32 v21, v119, v118
	v_mov_b32_e32 v118, 0
	v_dot4c_i32_i8_e32 v118, v188, v4
	v_mov_b32_e32 v119, 0
	v_dot4c_i32_i8_e32 v118, v190, v5
	v_dot4c_i32_i8_e32 v119, v193, v0
	;; [unrolled: 1-line block ×7, first 2 shown]
	s_nop 0
	v_mul_lo_u32 v118, v118, v198
	s_nop 0
	v_mad_u64_u32 v[118:119], s[22:23], v119, v200, v[118:119]
	v_cvt_f32_i32_e32 v118, v118
	v_mul_f32_e32 v119, v194, v116
	v_fmac_f32_e32 v19, v119, v118
	v_mov_b32_e32 v118, 0
	v_dot4c_i32_i8_e32 v118, v199, v4
	v_dot4c_i32_i8_e32 v118, v201, v5
	v_mov_b32_e32 v5, 0
	v_dot4c_i32_i8_e32 v5, v204, v0
	v_dot4c_i32_i8_e32 v118, v202, v6
	;; [unrolled: 1-line block ×6, first 2 shown]
	s_nop 0
	v_mul_lo_u32 v4, v118, v209
	v_mov_b32_e32 v118, 0
	v_mad_u64_u32 v[0:1], s[22:23], v5, v210, v[4:5]
	v_cvt_f32_i32_e32 v0, v0
	v_mul_f32_e32 v1, v205, v116
	v_mov_b32_e32 v116, 0
	v_fmac_f32_e32 v17, v1, v0
	ds_read_b128 v[0:3], v165 offset:32512
	ds_read_b128 v[4:7], v165 offset:32528
	v_add_u32_e32 v165, 32, v165
	s_waitcnt lgkmcnt(1)
	v_dot4c_i32_i8_e32 v116, v167, v0
	v_dot4c_i32_i8_e32 v116, v168, v1
	s_waitcnt lgkmcnt(0)
	v_dot4c_i32_i8_e32 v118, v172, v4
	v_dot4c_i32_i8_e32 v116, v169, v2
	;; [unrolled: 1-line block ×6, first 2 shown]
	s_nop 0
	v_mul_lo_u32 v116, v116, v176
	s_nop 0
	v_mad_u64_u32 v[118:119], s[22:23], v118, v178, v[116:117]
	v_cvt_f32_i32_e32 v118, v118
	v_mul_f32_e32 v116, v171, v117
	v_fmac_f32_e32 v15, v116, v118
	v_mov_b32_e32 v116, 0
	v_dot4c_i32_i8_e32 v116, v177, v0
	v_mov_b32_e32 v118, 0
	v_dot4c_i32_i8_e32 v116, v179, v1
	v_dot4c_i32_i8_e32 v118, v182, v4
	;; [unrolled: 1-line block ×7, first 2 shown]
	s_nop 0
	v_mul_lo_u32 v116, v116, v187
	s_nop 0
	v_mad_u64_u32 v[118:119], s[22:23], v118, v189, v[116:117]
	v_cvt_f32_i32_e32 v118, v118
	v_mul_f32_e32 v116, v183, v117
	v_fmac_f32_e32 v13, v116, v118
	v_mov_b32_e32 v116, 0
	v_dot4c_i32_i8_e32 v116, v188, v0
	v_mov_b32_e32 v118, 0
	v_dot4c_i32_i8_e32 v116, v190, v1
	v_dot4c_i32_i8_e32 v118, v193, v4
	;; [unrolled: 1-line block ×7, first 2 shown]
	s_nop 0
	v_mul_lo_u32 v116, v116, v198
	s_nop 0
	v_mad_u64_u32 v[118:119], s[22:23], v118, v200, v[116:117]
	v_cvt_f32_i32_e32 v118, v118
	v_mul_f32_e32 v116, v194, v117
	v_fmac_f32_e32 v11, v116, v118
	v_mov_b32_e32 v116, 0
	v_dot4c_i32_i8_e32 v116, v199, v0
	v_dot4c_i32_i8_e32 v116, v201, v1
	v_mov_b32_e32 v1, 0
	v_dot4c_i32_i8_e32 v1, v204, v4
	v_dot4c_i32_i8_e32 v116, v202, v2
	v_dot4c_i32_i8_e32 v1, v206, v5
	v_dot4c_i32_i8_e32 v116, v203, v3
	v_dot4c_i32_i8_e32 v1, v207, v6
	v_dot4c_i32_i8_e32 v1, v208, v7
	s_nop 0
	v_mul_lo_u32 v0, v116, v209
	s_nop 0
	v_mad_u64_u32 v[0:1], s[22:23], v1, v210, v[0:1]
	v_cvt_f32_i32_e32 v0, v0
	v_mul_f32_e32 v1, v205, v117
	v_fmac_f32_e32 v9, v1, v0
	s_cbranch_scc1 .LBB170_9
; %bb.10:                               ;   in Loop: Header=BB170_6 Depth=1
	s_or_b32 s18, s7, 1
	s_cmp_ge_i32 s18, s4
	s_barrier
	s_cbranch_scc1 .LBB170_5
; %bb.11:                               ;   in Loop: Header=BB170_6 Depth=1
	v_add_u32_e32 v165, s17, v138
	v_add_u32_e32 v0, v165, v87
	;; [unrolled: 1-line block ×9, first 2 shown]
	v_mad_i64_i32 v[168:169], s[18:19], v165, 36, v[112:113]
	v_add_u32_e32 v165, 8, v164
	v_mad_i64_i32 v[0:1], s[18:19], v0, 36, v[112:113]
	v_mad_i64_i32 v[2:3], s[18:19], v2, 36, v[112:113]
	;; [unrolled: 1-line block ×4, first 2 shown]
	v_mad_u64_u32 v[170:171], s[18:19], v165, 36, s[2:3]
	v_mad_i64_i32 v[116:117], s[18:19], v116, 36, v[112:113]
	v_mad_i64_i32 v[118:119], s[18:19], v118, 36, v[112:113]
	;; [unrolled: 1-line block ×3, first 2 shown]
	global_load_dword v170, v[170:171], off
	s_nop 0
	global_load_dword v0, v[0:1], off offset:4
	s_nop 0
	global_load_dword v1, v[2:3], off offset:4
	;; [unrolled: 2-line block ×3, first 2 shown]
	global_load_dword v3, v[6:7], off offset:4
	s_nop 0
	global_load_dword v4, v[116:117], off offset:4
	global_load_dword v5, v[118:119], off offset:4
	;; [unrolled: 1-line block ×4, first 2 shown]
	s_mov_b32 s18, 16
	s_mov_b32 s21, 14
	;; [unrolled: 1-line block ×3, first 2 shown]
	v_mov_b32_e32 v165, v149
	v_mov_b32_e32 v166, v148
	s_waitcnt vmcnt(8)
	v_cvt_f32_f16_e32 v116, v170
	s_waitcnt vmcnt(7)
	ds_write_b32 v91, v0
	s_waitcnt vmcnt(6)
	ds_write_b32 v95, v1
	;; [unrolled: 2-line block ×8, first 2 shown]
	ds_write_b32 v85, v116
	s_waitcnt lgkmcnt(0)
	s_barrier
.LBB170_12:                             ;   Parent Loop BB170_6 Depth=1
                                        ; =>  This Inner Loop Header: Depth=2
	s_add_i32 s20, s21, 2
	s_lshr_b32 s25, s20, 4
	s_and_b32 s24, s20, 0x3ffffff8
	s_lshl_b32 s23, s25, 3
	s_lshl_b32 s24, s24, 2
	v_add_lshl_u32 v176, v125, s23, 2
	v_add_u32_e32 v119, s24, v126
	v_add_u32_e32 v170, 0x4200, v176
	ds_read2_b32 v[116:117], v166 offset1:32
	ds_read_b128 v[4:7], v165
	ds_read_b128 v[0:3], v165 offset:16
	ds_read2_b32 v[168:169], v119 offset1:1
	ds_read2_b32 v[170:171], v170 offset1:1
	s_and_b32 s22, s18, -16
	v_add_u32_e32 v118, s22, v124
	s_add_i32 s22, s21, -14
	s_waitcnt lgkmcnt(1)
	v_ashrrev_i32_e32 v167, s22, v168
	s_waitcnt lgkmcnt(0)
	v_ashrrev_i32_e32 v170, s19, v170
	v_lshlrev_b32_e32 v170, 2, v170
	v_and_b32_e32 v168, 0x3030303, v167
	v_bfe_u32 v167, v167, 24, 2
	v_and_b32_e32 v170, 0x4040404, v170
	v_sub_u16_e32 v172, v168, v170
	v_sub_u16_sdwa v173, v168, v170 dst_sel:BYTE_1 dst_unused:UNUSED_PAD src0_sel:BYTE_1 src1_sel:BYTE_1
	v_sub_u16_sdwa v167, v167, v170 dst_sel:BYTE_1 dst_unused:UNUSED_PAD src0_sel:DWORD src1_sel:BYTE_3
	v_sub_u16_sdwa v168, v168, v170 dst_sel:DWORD dst_unused:UNUSED_PAD src0_sel:WORD_1 src1_sel:WORD_1
	v_ashrrev_i32_e32 v170, s19, v171
	v_or_b32_sdwa v167, v168, v167 dst_sel:WORD_1 dst_unused:UNUSED_PAD src0_sel:BYTE_0 src1_sel:DWORD
	v_ashrrev_i32_e32 v168, s22, v169
	v_lshlrev_b32_e32 v170, 2, v170
	v_or_b32_sdwa v172, v172, v173 dst_sel:DWORD dst_unused:UNUSED_PAD src0_sel:BYTE_0 src1_sel:DWORD
	v_and_b32_e32 v169, 0x3030303, v168
	v_bfe_u32 v168, v168, 24, 2
	v_and_b32_e32 v170, 0x4040404, v170
	v_or_b32_sdwa v167, v172, v167 dst_sel:DWORD dst_unused:UNUSED_PAD src0_sel:WORD_0 src1_sel:DWORD
	v_sub_u16_e32 v171, v169, v170
	v_sub_u16_sdwa v172, v169, v170 dst_sel:BYTE_1 dst_unused:UNUSED_PAD src0_sel:BYTE_1 src1_sel:BYTE_1
	v_sub_u16_sdwa v168, v168, v170 dst_sel:BYTE_1 dst_unused:UNUSED_PAD src0_sel:DWORD src1_sel:BYTE_3
	v_sub_u16_sdwa v169, v169, v170 dst_sel:DWORD dst_unused:UNUSED_PAD src0_sel:WORD_1 src1_sel:WORD_1
	v_or_b32_sdwa v171, v171, v172 dst_sel:DWORD dst_unused:UNUSED_PAD src0_sel:BYTE_0 src1_sel:DWORD
	v_or_b32_sdwa v168, v169, v168 dst_sel:WORD_1 dst_unused:UNUSED_PAD src0_sel:BYTE_0 src1_sel:DWORD
	v_add_u32_e32 v172, 0x4208, v176
	v_or_b32_sdwa v168, v171, v168 dst_sel:DWORD dst_unused:UNUSED_PAD src0_sel:WORD_0 src1_sel:DWORD
	ds_read2_b32 v[170:171], v119 offset0:2 offset1:3
	ds_read2_b32 v[172:173], v172 offset1:1
	s_lshl_b32 s25, s25, 2
	v_add_lshl_u32 v198, v131, s23, 2
	v_add_lshl_u32 v188, v128, s23, 2
	s_waitcnt lgkmcnt(1)
	v_ashrrev_i32_e32 v169, s22, v170
	s_waitcnt lgkmcnt(0)
	v_ashrrev_i32_e32 v172, s19, v172
	v_lshlrev_b32_e32 v172, 2, v172
	v_and_b32_e32 v170, 0x3030303, v169
	v_bfe_u32 v169, v169, 24, 2
	v_and_b32_e32 v172, 0x4040404, v172
	v_sub_u16_e32 v174, v170, v172
	v_sub_u16_sdwa v175, v170, v172 dst_sel:BYTE_1 dst_unused:UNUSED_PAD src0_sel:BYTE_1 src1_sel:BYTE_1
	v_sub_u16_sdwa v169, v169, v172 dst_sel:BYTE_1 dst_unused:UNUSED_PAD src0_sel:DWORD src1_sel:BYTE_3
	v_sub_u16_sdwa v170, v170, v172 dst_sel:DWORD dst_unused:UNUSED_PAD src0_sel:WORD_1 src1_sel:WORD_1
	v_ashrrev_i32_e32 v172, s19, v173
	v_or_b32_sdwa v169, v170, v169 dst_sel:WORD_1 dst_unused:UNUSED_PAD src0_sel:BYTE_0 src1_sel:DWORD
	v_ashrrev_i32_e32 v170, s22, v171
	v_lshlrev_b32_e32 v172, 2, v172
	v_or_b32_sdwa v174, v174, v175 dst_sel:DWORD dst_unused:UNUSED_PAD src0_sel:BYTE_0 src1_sel:DWORD
	v_and_b32_e32 v171, 0x3030303, v170
	v_bfe_u32 v170, v170, 24, 2
	v_and_b32_e32 v172, 0x4040404, v172
	v_or_b32_sdwa v169, v174, v169 dst_sel:DWORD dst_unused:UNUSED_PAD src0_sel:WORD_0 src1_sel:DWORD
	v_sub_u16_e32 v173, v171, v172
	v_sub_u16_sdwa v174, v171, v172 dst_sel:BYTE_1 dst_unused:UNUSED_PAD src0_sel:BYTE_1 src1_sel:BYTE_1
	v_sub_u16_sdwa v170, v170, v172 dst_sel:BYTE_1 dst_unused:UNUSED_PAD src0_sel:DWORD src1_sel:BYTE_3
	v_sub_u16_sdwa v171, v171, v172 dst_sel:DWORD dst_unused:UNUSED_PAD src0_sel:WORD_1 src1_sel:WORD_1
	v_or_b32_sdwa v173, v173, v174 dst_sel:DWORD dst_unused:UNUSED_PAD src0_sel:BYTE_0 src1_sel:DWORD
	v_or_b32_sdwa v170, v171, v170 dst_sel:WORD_1 dst_unused:UNUSED_PAD src0_sel:BYTE_0 src1_sel:DWORD
	v_add_u32_e32 v174, 0x4210, v176
	v_or_b32_sdwa v170, v173, v170 dst_sel:DWORD dst_unused:UNUSED_PAD src0_sel:WORD_0 src1_sel:DWORD
	ds_read2_b32 v[172:173], v119 offset0:4 offset1:5
	ds_read2_b32 v[174:175], v174 offset1:1
	v_add_u32_e32 v192, 0x4200, v198
	v_add_lshl_u32 v210, v134, s23, 2
	s_add_i32 s18, s18, 2
	s_waitcnt lgkmcnt(1)
	v_ashrrev_i32_e32 v171, s22, v172
	s_waitcnt lgkmcnt(0)
	v_ashrrev_i32_e32 v174, s19, v174
	v_lshlrev_b32_e32 v174, 2, v174
	v_and_b32_e32 v172, 0x3030303, v171
	v_bfe_u32 v171, v171, 24, 2
	v_and_b32_e32 v174, 0x4040404, v174
	v_sub_u16_e32 v177, v172, v174
	v_sub_u16_sdwa v178, v172, v174 dst_sel:BYTE_1 dst_unused:UNUSED_PAD src0_sel:BYTE_1 src1_sel:BYTE_1
	v_sub_u16_sdwa v171, v171, v174 dst_sel:BYTE_1 dst_unused:UNUSED_PAD src0_sel:DWORD src1_sel:BYTE_3
	v_sub_u16_sdwa v172, v172, v174 dst_sel:DWORD dst_unused:UNUSED_PAD src0_sel:WORD_1 src1_sel:WORD_1
	v_or_b32_sdwa v177, v177, v178 dst_sel:DWORD dst_unused:UNUSED_PAD src0_sel:BYTE_0 src1_sel:DWORD
	v_or_b32_sdwa v171, v172, v171 dst_sel:WORD_1 dst_unused:UNUSED_PAD src0_sel:BYTE_0 src1_sel:DWORD
	v_ashrrev_i32_e32 v174, s19, v175
	v_or_b32_sdwa v172, v177, v171 dst_sel:DWORD dst_unused:UNUSED_PAD src0_sel:WORD_0 src1_sel:DWORD
	v_ashrrev_i32_e32 v171, s22, v173
	v_lshlrev_b32_e32 v174, 2, v174
	v_and_b32_e32 v173, 0x3030303, v171
	v_bfe_u32 v171, v171, 24, 2
	v_and_b32_e32 v174, 0x4040404, v174
	v_sub_u16_e32 v175, v173, v174
	v_sub_u16_sdwa v177, v173, v174 dst_sel:BYTE_1 dst_unused:UNUSED_PAD src0_sel:BYTE_1 src1_sel:BYTE_1
	v_sub_u16_sdwa v171, v171, v174 dst_sel:BYTE_1 dst_unused:UNUSED_PAD src0_sel:DWORD src1_sel:BYTE_3
	v_sub_u16_sdwa v173, v173, v174 dst_sel:DWORD dst_unused:UNUSED_PAD src0_sel:WORD_1 src1_sel:WORD_1
	v_or_b32_sdwa v175, v175, v177 dst_sel:DWORD dst_unused:UNUSED_PAD src0_sel:BYTE_0 src1_sel:DWORD
	v_or_b32_sdwa v171, v173, v171 dst_sel:WORD_1 dst_unused:UNUSED_PAD src0_sel:BYTE_0 src1_sel:DWORD
	v_or_b32_sdwa v173, v175, v171 dst_sel:DWORD dst_unused:UNUSED_PAD src0_sel:WORD_0 src1_sel:DWORD
	ds_read2_b32 v[174:175], v119 offset0:6 offset1:7
	ds_read2_b32 v[192:193], v192 offset1:1
	s_waitcnt lgkmcnt(1)
	v_ashrrev_i32_e32 v119, s22, v174
	v_add_u32_e32 v174, 0x4218, v176
	ds_read2_b32 v[176:177], v174 offset1:1
	v_and_b32_e32 v171, 0x3030303, v119
	v_bfe_u32 v119, v119, 24, 2
	s_waitcnt lgkmcnt(1)
	v_ashrrev_i32_e32 v192, s19, v192
	v_lshlrev_b32_e32 v192, 2, v192
	s_waitcnt lgkmcnt(0)
	v_ashrrev_i32_e32 v174, s19, v176
	v_lshlrev_b32_e32 v174, 2, v174
	v_and_b32_e32 v174, 0x4040404, v174
	v_sub_u16_e32 v176, v171, v174
	v_sub_u16_sdwa v178, v171, v174 dst_sel:BYTE_1 dst_unused:UNUSED_PAD src0_sel:BYTE_1 src1_sel:BYTE_1
	v_sub_u16_sdwa v119, v119, v174 dst_sel:BYTE_1 dst_unused:UNUSED_PAD src0_sel:DWORD src1_sel:BYTE_3
	v_sub_u16_sdwa v171, v171, v174 dst_sel:DWORD dst_unused:UNUSED_PAD src0_sel:WORD_1 src1_sel:WORD_1
	v_or_b32_sdwa v176, v176, v178 dst_sel:DWORD dst_unused:UNUSED_PAD src0_sel:BYTE_0 src1_sel:DWORD
	v_or_b32_sdwa v119, v171, v119 dst_sel:WORD_1 dst_unused:UNUSED_PAD src0_sel:BYTE_0 src1_sel:DWORD
	v_or_b32_sdwa v174, v176, v119 dst_sel:DWORD dst_unused:UNUSED_PAD src0_sel:WORD_0 src1_sel:DWORD
	v_ashrrev_i32_e32 v119, s22, v175
	v_ashrrev_i32_e32 v175, s19, v177
	v_lshlrev_b32_e32 v175, 2, v175
	v_and_b32_e32 v171, 0x3030303, v119
	v_bfe_u32 v119, v119, 24, 2
	v_and_b32_e32 v175, 0x4040404, v175
	v_sub_u16_e32 v176, v171, v175
	v_sub_u16_sdwa v177, v171, v175 dst_sel:BYTE_1 dst_unused:UNUSED_PAD src0_sel:BYTE_1 src1_sel:BYTE_1
	v_sub_u16_sdwa v119, v119, v175 dst_sel:BYTE_1 dst_unused:UNUSED_PAD src0_sel:DWORD src1_sel:BYTE_3
	v_sub_u16_sdwa v171, v171, v175 dst_sel:DWORD dst_unused:UNUSED_PAD src0_sel:WORD_1 src1_sel:WORD_1
	v_or_b32_sdwa v176, v176, v177 dst_sel:DWORD dst_unused:UNUSED_PAD src0_sel:BYTE_0 src1_sel:DWORD
	v_or_b32_sdwa v119, v171, v119 dst_sel:WORD_1 dst_unused:UNUSED_PAD src0_sel:BYTE_0 src1_sel:DWORD
	v_or_b32_sdwa v175, v176, v119 dst_sel:DWORD dst_unused:UNUSED_PAD src0_sel:WORD_0 src1_sel:DWORD
	v_add3_u32 v119, v140, s21, v118
	v_add_u32_e32 v171, s25, v127
	ds_read_b32 v171, v171
	ds_read_u16 v119, v119 offset:33522
	v_mov_b32_e32 v177, 0
	v_dot4c_i32_i8_e32 v177, v167, v4
	v_dot4c_i32_i8_e32 v177, v168, v5
	;; [unrolled: 1-line block ×3, first 2 shown]
	s_waitcnt lgkmcnt(0)
	v_lshrrev_b16_e32 v178, 8, v119
	v_bfe_i32 v176, v119, 0, 8
	v_mov_b32_e32 v119, 0
	v_dot4c_i32_i8_e32 v119, v172, v0
	v_dot4c_i32_i8_e32 v119, v173, v1
	;; [unrolled: 1-line block ×5, first 2 shown]
	v_bfe_i32 v178, v178, 0, 8
	v_mul_lo_u32 v180, v177, v176
	v_and_b32_e32 v192, 0x4040404, v192
	v_mad_u64_u32 v[180:181], s[26:27], v119, v178, v[180:181]
	v_cvt_f32_i32_e32 v177, v180
	v_mul_f32_e32 v119, v116, v171
	v_fmac_f32_e32 v97, v119, v177
	v_add_u32_e32 v119, s24, v129
	ds_read2_b32 v[180:181], v119 offset1:1
	s_waitcnt lgkmcnt(0)
	v_ashrrev_i32_e32 v177, s22, v180
	v_add_u32_e32 v180, 0x4200, v188
	ds_read2_b32 v[182:183], v180 offset1:1
	v_and_b32_e32 v179, 0x3030303, v177
	v_bfe_u32 v177, v177, 24, 2
	s_waitcnt lgkmcnt(0)
	v_ashrrev_i32_e32 v180, s19, v182
	v_lshlrev_b32_e32 v180, 2, v180
	v_and_b32_e32 v180, 0x4040404, v180
	v_sub_u16_e32 v182, v179, v180
	v_sub_u16_sdwa v184, v179, v180 dst_sel:BYTE_1 dst_unused:UNUSED_PAD src0_sel:BYTE_1 src1_sel:BYTE_1
	v_sub_u16_sdwa v177, v177, v180 dst_sel:BYTE_1 dst_unused:UNUSED_PAD src0_sel:DWORD src1_sel:BYTE_3
	v_sub_u16_sdwa v179, v179, v180 dst_sel:DWORD dst_unused:UNUSED_PAD src0_sel:WORD_1 src1_sel:WORD_1
	v_or_b32_sdwa v177, v179, v177 dst_sel:WORD_1 dst_unused:UNUSED_PAD src0_sel:BYTE_0 src1_sel:DWORD
	v_ashrrev_i32_e32 v179, s22, v181
	v_ashrrev_i32_e32 v181, s19, v183
	v_lshlrev_b32_e32 v181, 2, v181
	v_or_b32_sdwa v182, v182, v184 dst_sel:DWORD dst_unused:UNUSED_PAD src0_sel:BYTE_0 src1_sel:DWORD
	v_and_b32_e32 v180, 0x3030303, v179
	v_bfe_u32 v179, v179, 24, 2
	v_and_b32_e32 v181, 0x4040404, v181
	v_or_b32_sdwa v177, v182, v177 dst_sel:DWORD dst_unused:UNUSED_PAD src0_sel:WORD_0 src1_sel:DWORD
	v_sub_u16_e32 v182, v180, v181
	v_sub_u16_sdwa v183, v180, v181 dst_sel:BYTE_1 dst_unused:UNUSED_PAD src0_sel:BYTE_1 src1_sel:BYTE_1
	v_sub_u16_sdwa v179, v179, v181 dst_sel:BYTE_1 dst_unused:UNUSED_PAD src0_sel:DWORD src1_sel:BYTE_3
	v_sub_u16_sdwa v180, v180, v181 dst_sel:DWORD dst_unused:UNUSED_PAD src0_sel:WORD_1 src1_sel:WORD_1
	v_or_b32_sdwa v182, v182, v183 dst_sel:DWORD dst_unused:UNUSED_PAD src0_sel:BYTE_0 src1_sel:DWORD
	v_or_b32_sdwa v179, v180, v179 dst_sel:WORD_1 dst_unused:UNUSED_PAD src0_sel:BYTE_0 src1_sel:DWORD
	v_or_b32_sdwa v179, v182, v179 dst_sel:DWORD dst_unused:UNUSED_PAD src0_sel:WORD_0 src1_sel:DWORD
	v_add_u32_e32 v182, 0x4208, v188
	ds_read2_b32 v[180:181], v119 offset0:2 offset1:3
	ds_read2_b32 v[182:183], v182 offset1:1
	s_waitcnt lgkmcnt(1)
	v_ashrrev_i32_e32 v180, s22, v180
	s_waitcnt lgkmcnt(0)
	v_ashrrev_i32_e32 v182, s19, v182
	v_lshlrev_b32_e32 v182, 2, v182
	v_and_b32_e32 v184, 0x3030303, v180
	v_bfe_u32 v180, v180, 24, 2
	v_and_b32_e32 v182, 0x4040404, v182
	v_ashrrev_i32_e32 v183, s19, v183
	v_sub_u16_e32 v185, v184, v182
	v_sub_u16_sdwa v186, v184, v182 dst_sel:BYTE_1 dst_unused:UNUSED_PAD src0_sel:BYTE_1 src1_sel:BYTE_1
	v_sub_u16_sdwa v180, v180, v182 dst_sel:BYTE_1 dst_unused:UNUSED_PAD src0_sel:DWORD src1_sel:BYTE_3
	v_sub_u16_sdwa v182, v184, v182 dst_sel:DWORD dst_unused:UNUSED_PAD src0_sel:WORD_1 src1_sel:WORD_1
	v_ashrrev_i32_e32 v181, s22, v181
	v_lshlrev_b32_e32 v183, 2, v183
	v_or_b32_sdwa v185, v185, v186 dst_sel:DWORD dst_unused:UNUSED_PAD src0_sel:BYTE_0 src1_sel:DWORD
	v_or_b32_sdwa v180, v182, v180 dst_sel:WORD_1 dst_unused:UNUSED_PAD src0_sel:BYTE_0 src1_sel:DWORD
	v_and_b32_e32 v182, 0x3030303, v181
	v_bfe_u32 v181, v181, 24, 2
	v_and_b32_e32 v183, 0x4040404, v183
	v_or_b32_sdwa v180, v185, v180 dst_sel:DWORD dst_unused:UNUSED_PAD src0_sel:WORD_0 src1_sel:DWORD
	v_sub_u16_e32 v184, v182, v183
	v_sub_u16_sdwa v185, v182, v183 dst_sel:BYTE_1 dst_unused:UNUSED_PAD src0_sel:BYTE_1 src1_sel:BYTE_1
	v_sub_u16_sdwa v181, v181, v183 dst_sel:BYTE_1 dst_unused:UNUSED_PAD src0_sel:DWORD src1_sel:BYTE_3
	v_sub_u16_sdwa v182, v182, v183 dst_sel:DWORD dst_unused:UNUSED_PAD src0_sel:WORD_1 src1_sel:WORD_1
	v_or_b32_sdwa v184, v184, v185 dst_sel:DWORD dst_unused:UNUSED_PAD src0_sel:BYTE_0 src1_sel:DWORD
	v_or_b32_sdwa v181, v182, v181 dst_sel:WORD_1 dst_unused:UNUSED_PAD src0_sel:BYTE_0 src1_sel:DWORD
	v_or_b32_sdwa v181, v184, v181 dst_sel:DWORD dst_unused:UNUSED_PAD src0_sel:WORD_0 src1_sel:DWORD
	v_add_u32_e32 v184, 0x4210, v188
	ds_read2_b32 v[182:183], v119 offset0:4 offset1:5
	ds_read2_b32 v[184:185], v184 offset1:1
	s_waitcnt lgkmcnt(1)
	v_ashrrev_i32_e32 v182, s22, v182
	s_waitcnt lgkmcnt(0)
	v_ashrrev_i32_e32 v184, s19, v184
	v_lshlrev_b32_e32 v184, 2, v184
	v_and_b32_e32 v186, 0x3030303, v182
	v_bfe_u32 v182, v182, 24, 2
	v_and_b32_e32 v184, 0x4040404, v184
	v_ashrrev_i32_e32 v185, s19, v185
	v_sub_u16_e32 v187, v186, v184
	v_sub_u16_sdwa v189, v186, v184 dst_sel:BYTE_1 dst_unused:UNUSED_PAD src0_sel:BYTE_1 src1_sel:BYTE_1
	v_sub_u16_sdwa v182, v182, v184 dst_sel:BYTE_1 dst_unused:UNUSED_PAD src0_sel:DWORD src1_sel:BYTE_3
	v_sub_u16_sdwa v184, v186, v184 dst_sel:DWORD dst_unused:UNUSED_PAD src0_sel:WORD_1 src1_sel:WORD_1
	v_ashrrev_i32_e32 v183, s22, v183
	v_lshlrev_b32_e32 v185, 2, v185
	v_or_b32_sdwa v187, v187, v189 dst_sel:DWORD dst_unused:UNUSED_PAD src0_sel:BYTE_0 src1_sel:DWORD
	v_or_b32_sdwa v182, v184, v182 dst_sel:WORD_1 dst_unused:UNUSED_PAD src0_sel:BYTE_0 src1_sel:DWORD
	v_and_b32_e32 v184, 0x3030303, v183
	v_bfe_u32 v183, v183, 24, 2
	v_and_b32_e32 v185, 0x4040404, v185
	v_or_b32_sdwa v182, v187, v182 dst_sel:DWORD dst_unused:UNUSED_PAD src0_sel:WORD_0 src1_sel:DWORD
	v_sub_u16_e32 v186, v184, v185
	v_sub_u16_sdwa v187, v184, v185 dst_sel:BYTE_1 dst_unused:UNUSED_PAD src0_sel:BYTE_1 src1_sel:BYTE_1
	v_sub_u16_sdwa v183, v183, v185 dst_sel:BYTE_1 dst_unused:UNUSED_PAD src0_sel:DWORD src1_sel:BYTE_3
	v_sub_u16_sdwa v184, v184, v185 dst_sel:DWORD dst_unused:UNUSED_PAD src0_sel:WORD_1 src1_sel:WORD_1
	v_or_b32_sdwa v186, v186, v187 dst_sel:DWORD dst_unused:UNUSED_PAD src0_sel:BYTE_0 src1_sel:DWORD
	v_or_b32_sdwa v183, v184, v183 dst_sel:WORD_1 dst_unused:UNUSED_PAD src0_sel:BYTE_0 src1_sel:DWORD
	v_add_u32_e32 v185, 0x4218, v188
	v_or_b32_sdwa v184, v186, v183 dst_sel:DWORD dst_unused:UNUSED_PAD src0_sel:WORD_0 src1_sel:DWORD
	ds_read2_b32 v[186:187], v119 offset0:6 offset1:7
	ds_read2_b32 v[188:189], v185 offset1:1
	s_waitcnt lgkmcnt(1)
	v_ashrrev_i32_e32 v119, s22, v186
	s_waitcnt lgkmcnt(0)
	v_ashrrev_i32_e32 v185, s19, v188
	v_lshlrev_b32_e32 v185, 2, v185
	v_and_b32_e32 v183, 0x3030303, v119
	v_bfe_u32 v119, v119, 24, 2
	v_and_b32_e32 v185, 0x4040404, v185
	v_sub_u16_e32 v186, v183, v185
	v_sub_u16_sdwa v188, v183, v185 dst_sel:BYTE_1 dst_unused:UNUSED_PAD src0_sel:BYTE_1 src1_sel:BYTE_1
	v_sub_u16_sdwa v119, v119, v185 dst_sel:BYTE_1 dst_unused:UNUSED_PAD src0_sel:DWORD src1_sel:BYTE_3
	v_sub_u16_sdwa v183, v183, v185 dst_sel:DWORD dst_unused:UNUSED_PAD src0_sel:WORD_1 src1_sel:WORD_1
	v_or_b32_sdwa v186, v186, v188 dst_sel:DWORD dst_unused:UNUSED_PAD src0_sel:BYTE_0 src1_sel:DWORD
	v_or_b32_sdwa v119, v183, v119 dst_sel:WORD_1 dst_unused:UNUSED_PAD src0_sel:BYTE_0 src1_sel:DWORD
	v_or_b32_sdwa v185, v186, v119 dst_sel:DWORD dst_unused:UNUSED_PAD src0_sel:WORD_0 src1_sel:DWORD
	v_ashrrev_i32_e32 v186, s19, v189
	v_ashrrev_i32_e32 v119, s22, v187
	v_lshlrev_b32_e32 v186, 2, v186
	v_and_b32_e32 v183, 0x3030303, v119
	v_bfe_u32 v119, v119, 24, 2
	v_and_b32_e32 v186, 0x4040404, v186
	v_sub_u16_e32 v187, v183, v186
	v_sub_u16_sdwa v188, v183, v186 dst_sel:BYTE_1 dst_unused:UNUSED_PAD src0_sel:BYTE_1 src1_sel:BYTE_1
	v_sub_u16_sdwa v119, v119, v186 dst_sel:BYTE_1 dst_unused:UNUSED_PAD src0_sel:DWORD src1_sel:BYTE_3
	v_sub_u16_sdwa v183, v183, v186 dst_sel:DWORD dst_unused:UNUSED_PAD src0_sel:WORD_1 src1_sel:WORD_1
	v_or_b32_sdwa v187, v187, v188 dst_sel:DWORD dst_unused:UNUSED_PAD src0_sel:BYTE_0 src1_sel:DWORD
	v_or_b32_sdwa v119, v183, v119 dst_sel:WORD_1 dst_unused:UNUSED_PAD src0_sel:BYTE_0 src1_sel:DWORD
	v_or_b32_sdwa v186, v187, v119 dst_sel:DWORD dst_unused:UNUSED_PAD src0_sel:WORD_0 src1_sel:DWORD
	v_add3_u32 v119, v142, s21, v118
	v_add_u32_e32 v183, s25, v130
	ds_read_b32 v183, v183
	ds_read_u16 v119, v119 offset:34546
	v_mov_b32_e32 v188, 0
	v_dot4c_i32_i8_e32 v188, v177, v4
	v_dot4c_i32_i8_e32 v188, v179, v5
	;; [unrolled: 1-line block ×3, first 2 shown]
	s_waitcnt lgkmcnt(0)
	v_lshrrev_b16_e32 v189, 8, v119
	v_bfe_i32 v187, v119, 0, 8
	v_mov_b32_e32 v119, 0
	v_dot4c_i32_i8_e32 v119, v182, v0
	v_dot4c_i32_i8_e32 v119, v184, v1
	;; [unrolled: 1-line block ×5, first 2 shown]
	v_bfe_i32 v189, v189, 0, 8
	v_mul_lo_u32 v188, v188, v187
	s_nop 0
	v_mad_u64_u32 v[190:191], s[26:27], v119, v189, v[188:189]
	v_cvt_f32_i32_e32 v188, v190
	v_mul_f32_e32 v119, v116, v183
	v_fmac_f32_e32 v83, v119, v188
	v_add_u32_e32 v119, s24, v132
	ds_read2_b32 v[190:191], v119 offset1:1
	s_waitcnt lgkmcnt(0)
	v_ashrrev_i32_e32 v188, s22, v190
	v_and_b32_e32 v190, 0x3030303, v188
	v_bfe_u32 v188, v188, 24, 2
	v_sub_u16_e32 v194, v190, v192
	v_sub_u16_sdwa v195, v190, v192 dst_sel:BYTE_1 dst_unused:UNUSED_PAD src0_sel:BYTE_1 src1_sel:BYTE_1
	v_sub_u16_sdwa v188, v188, v192 dst_sel:BYTE_1 dst_unused:UNUSED_PAD src0_sel:DWORD src1_sel:BYTE_3
	v_sub_u16_sdwa v190, v190, v192 dst_sel:DWORD dst_unused:UNUSED_PAD src0_sel:WORD_1 src1_sel:WORD_1
	v_ashrrev_i32_e32 v192, s19, v193
	v_or_b32_sdwa v188, v190, v188 dst_sel:WORD_1 dst_unused:UNUSED_PAD src0_sel:BYTE_0 src1_sel:DWORD
	v_ashrrev_i32_e32 v190, s22, v191
	v_lshlrev_b32_e32 v192, 2, v192
	v_or_b32_sdwa v194, v194, v195 dst_sel:DWORD dst_unused:UNUSED_PAD src0_sel:BYTE_0 src1_sel:DWORD
	v_and_b32_e32 v191, 0x3030303, v190
	v_bfe_u32 v190, v190, 24, 2
	v_and_b32_e32 v192, 0x4040404, v192
	v_or_b32_sdwa v188, v194, v188 dst_sel:DWORD dst_unused:UNUSED_PAD src0_sel:WORD_0 src1_sel:DWORD
	v_sub_u16_e32 v193, v191, v192
	v_sub_u16_sdwa v194, v191, v192 dst_sel:BYTE_1 dst_unused:UNUSED_PAD src0_sel:BYTE_1 src1_sel:BYTE_1
	v_sub_u16_sdwa v190, v190, v192 dst_sel:BYTE_1 dst_unused:UNUSED_PAD src0_sel:DWORD src1_sel:BYTE_3
	v_sub_u16_sdwa v191, v191, v192 dst_sel:DWORD dst_unused:UNUSED_PAD src0_sel:WORD_1 src1_sel:WORD_1
	v_or_b32_sdwa v193, v193, v194 dst_sel:DWORD dst_unused:UNUSED_PAD src0_sel:BYTE_0 src1_sel:DWORD
	v_or_b32_sdwa v190, v191, v190 dst_sel:WORD_1 dst_unused:UNUSED_PAD src0_sel:BYTE_0 src1_sel:DWORD
	v_add_u32_e32 v194, 0x4208, v198
	v_or_b32_sdwa v190, v193, v190 dst_sel:DWORD dst_unused:UNUSED_PAD src0_sel:WORD_0 src1_sel:DWORD
	ds_read2_b32 v[192:193], v119 offset0:2 offset1:3
	ds_read2_b32 v[194:195], v194 offset1:1
	s_waitcnt lgkmcnt(1)
	v_ashrrev_i32_e32 v191, s22, v192
	s_waitcnt lgkmcnt(0)
	v_ashrrev_i32_e32 v194, s19, v194
	v_lshlrev_b32_e32 v194, 2, v194
	v_and_b32_e32 v192, 0x3030303, v191
	v_bfe_u32 v191, v191, 24, 2
	v_and_b32_e32 v194, 0x4040404, v194
	v_sub_u16_e32 v196, v192, v194
	v_sub_u16_sdwa v197, v192, v194 dst_sel:BYTE_1 dst_unused:UNUSED_PAD src0_sel:BYTE_1 src1_sel:BYTE_1
	v_sub_u16_sdwa v191, v191, v194 dst_sel:BYTE_1 dst_unused:UNUSED_PAD src0_sel:DWORD src1_sel:BYTE_3
	v_sub_u16_sdwa v192, v192, v194 dst_sel:DWORD dst_unused:UNUSED_PAD src0_sel:WORD_1 src1_sel:WORD_1
	v_ashrrev_i32_e32 v194, s19, v195
	v_or_b32_sdwa v191, v192, v191 dst_sel:WORD_1 dst_unused:UNUSED_PAD src0_sel:BYTE_0 src1_sel:DWORD
	v_ashrrev_i32_e32 v192, s22, v193
	v_lshlrev_b32_e32 v194, 2, v194
	v_or_b32_sdwa v196, v196, v197 dst_sel:DWORD dst_unused:UNUSED_PAD src0_sel:BYTE_0 src1_sel:DWORD
	v_and_b32_e32 v193, 0x3030303, v192
	v_bfe_u32 v192, v192, 24, 2
	v_and_b32_e32 v194, 0x4040404, v194
	v_or_b32_sdwa v191, v196, v191 dst_sel:DWORD dst_unused:UNUSED_PAD src0_sel:WORD_0 src1_sel:DWORD
	v_sub_u16_e32 v195, v193, v194
	v_sub_u16_sdwa v196, v193, v194 dst_sel:BYTE_1 dst_unused:UNUSED_PAD src0_sel:BYTE_1 src1_sel:BYTE_1
	v_sub_u16_sdwa v192, v192, v194 dst_sel:BYTE_1 dst_unused:UNUSED_PAD src0_sel:DWORD src1_sel:BYTE_3
	v_sub_u16_sdwa v193, v193, v194 dst_sel:DWORD dst_unused:UNUSED_PAD src0_sel:WORD_1 src1_sel:WORD_1
	v_or_b32_sdwa v195, v195, v196 dst_sel:DWORD dst_unused:UNUSED_PAD src0_sel:BYTE_0 src1_sel:DWORD
	v_or_b32_sdwa v192, v193, v192 dst_sel:WORD_1 dst_unused:UNUSED_PAD src0_sel:BYTE_0 src1_sel:DWORD
	v_add_u32_e32 v196, 0x4210, v198
	v_or_b32_sdwa v192, v195, v192 dst_sel:DWORD dst_unused:UNUSED_PAD src0_sel:WORD_0 src1_sel:DWORD
	ds_read2_b32 v[194:195], v119 offset0:4 offset1:5
	ds_read2_b32 v[196:197], v196 offset1:1
	s_waitcnt lgkmcnt(1)
	v_ashrrev_i32_e32 v193, s22, v194
	s_waitcnt lgkmcnt(0)
	v_ashrrev_i32_e32 v196, s19, v196
	v_lshlrev_b32_e32 v196, 2, v196
	v_and_b32_e32 v194, 0x3030303, v193
	v_bfe_u32 v193, v193, 24, 2
	v_and_b32_e32 v196, 0x4040404, v196
	v_sub_u16_e32 v199, v194, v196
	v_sub_u16_sdwa v200, v194, v196 dst_sel:BYTE_1 dst_unused:UNUSED_PAD src0_sel:BYTE_1 src1_sel:BYTE_1
	v_sub_u16_sdwa v193, v193, v196 dst_sel:BYTE_1 dst_unused:UNUSED_PAD src0_sel:DWORD src1_sel:BYTE_3
	v_sub_u16_sdwa v194, v194, v196 dst_sel:DWORD dst_unused:UNUSED_PAD src0_sel:WORD_1 src1_sel:WORD_1
	v_ashrrev_i32_e32 v196, s19, v197
	v_or_b32_sdwa v193, v194, v193 dst_sel:WORD_1 dst_unused:UNUSED_PAD src0_sel:BYTE_0 src1_sel:DWORD
	v_ashrrev_i32_e32 v194, s22, v195
	v_lshlrev_b32_e32 v196, 2, v196
	v_or_b32_sdwa v199, v199, v200 dst_sel:DWORD dst_unused:UNUSED_PAD src0_sel:BYTE_0 src1_sel:DWORD
	v_and_b32_e32 v195, 0x3030303, v194
	v_bfe_u32 v194, v194, 24, 2
	v_and_b32_e32 v196, 0x4040404, v196
	v_or_b32_sdwa v193, v199, v193 dst_sel:DWORD dst_unused:UNUSED_PAD src0_sel:WORD_0 src1_sel:DWORD
	v_sub_u16_e32 v197, v195, v196
	v_sub_u16_sdwa v199, v195, v196 dst_sel:BYTE_1 dst_unused:UNUSED_PAD src0_sel:BYTE_1 src1_sel:BYTE_1
	v_sub_u16_sdwa v194, v194, v196 dst_sel:BYTE_1 dst_unused:UNUSED_PAD src0_sel:DWORD src1_sel:BYTE_3
	v_sub_u16_sdwa v195, v195, v196 dst_sel:DWORD dst_unused:UNUSED_PAD src0_sel:WORD_1 src1_sel:WORD_1
	v_or_b32_sdwa v197, v197, v199 dst_sel:DWORD dst_unused:UNUSED_PAD src0_sel:BYTE_0 src1_sel:DWORD
	v_or_b32_sdwa v194, v195, v194 dst_sel:WORD_1 dst_unused:UNUSED_PAD src0_sel:BYTE_0 src1_sel:DWORD
	v_or_b32_sdwa v195, v197, v194 dst_sel:DWORD dst_unused:UNUSED_PAD src0_sel:WORD_0 src1_sel:DWORD
	ds_read2_b32 v[196:197], v119 offset0:6 offset1:7
	s_waitcnt lgkmcnt(0)
	v_ashrrev_i32_e32 v119, s22, v196
	v_add_u32_e32 v196, 0x4218, v198
	ds_read2_b32 v[198:199], v196 offset1:1
	v_and_b32_e32 v194, 0x3030303, v119
	v_bfe_u32 v119, v119, 24, 2
	s_waitcnt lgkmcnt(0)
	v_ashrrev_i32_e32 v196, s19, v198
	v_lshlrev_b32_e32 v196, 2, v196
	v_and_b32_e32 v196, 0x4040404, v196
	v_sub_u16_e32 v198, v194, v196
	v_sub_u16_sdwa v200, v194, v196 dst_sel:BYTE_1 dst_unused:UNUSED_PAD src0_sel:BYTE_1 src1_sel:BYTE_1
	v_sub_u16_sdwa v119, v119, v196 dst_sel:BYTE_1 dst_unused:UNUSED_PAD src0_sel:DWORD src1_sel:BYTE_3
	v_sub_u16_sdwa v194, v194, v196 dst_sel:DWORD dst_unused:UNUSED_PAD src0_sel:WORD_1 src1_sel:WORD_1
	v_or_b32_sdwa v198, v198, v200 dst_sel:DWORD dst_unused:UNUSED_PAD src0_sel:BYTE_0 src1_sel:DWORD
	v_or_b32_sdwa v119, v194, v119 dst_sel:WORD_1 dst_unused:UNUSED_PAD src0_sel:BYTE_0 src1_sel:DWORD
	v_or_b32_sdwa v196, v198, v119 dst_sel:DWORD dst_unused:UNUSED_PAD src0_sel:WORD_0 src1_sel:DWORD
	v_ashrrev_i32_e32 v119, s22, v197
	v_ashrrev_i32_e32 v197, s19, v199
	v_lshlrev_b32_e32 v197, 2, v197
	v_and_b32_e32 v194, 0x3030303, v119
	v_bfe_u32 v119, v119, 24, 2
	v_and_b32_e32 v197, 0x4040404, v197
	v_sub_u16_e32 v198, v194, v197
	v_sub_u16_sdwa v199, v194, v197 dst_sel:BYTE_1 dst_unused:UNUSED_PAD src0_sel:BYTE_1 src1_sel:BYTE_1
	v_sub_u16_sdwa v119, v119, v197 dst_sel:BYTE_1 dst_unused:UNUSED_PAD src0_sel:DWORD src1_sel:BYTE_3
	v_sub_u16_sdwa v194, v194, v197 dst_sel:DWORD dst_unused:UNUSED_PAD src0_sel:WORD_1 src1_sel:WORD_1
	v_or_b32_sdwa v198, v198, v199 dst_sel:DWORD dst_unused:UNUSED_PAD src0_sel:BYTE_0 src1_sel:DWORD
	v_or_b32_sdwa v119, v194, v119 dst_sel:WORD_1 dst_unused:UNUSED_PAD src0_sel:BYTE_0 src1_sel:DWORD
	v_or_b32_sdwa v197, v198, v119 dst_sel:DWORD dst_unused:UNUSED_PAD src0_sel:WORD_0 src1_sel:DWORD
	v_add3_u32 v119, v144, s21, v118
	v_add_u32_e32 v194, s25, v133
	ds_read_b32 v194, v194
	ds_read_u16 v119, v119 offset:35570
	v_mov_b32_e32 v199, 0
	v_dot4c_i32_i8_e32 v199, v188, v4
	v_dot4c_i32_i8_e32 v199, v190, v5
	;; [unrolled: 1-line block ×3, first 2 shown]
	s_waitcnt lgkmcnt(0)
	v_lshrrev_b16_e32 v200, 8, v119
	v_bfe_i32 v198, v119, 0, 8
	v_mov_b32_e32 v119, 0
	v_dot4c_i32_i8_e32 v119, v193, v0
	v_dot4c_i32_i8_e32 v119, v195, v1
	;; [unrolled: 1-line block ×5, first 2 shown]
	v_bfe_i32 v200, v200, 0, 8
	v_mul_lo_u32 v202, v199, v198
	v_add3_u32 v118, v146, s21, v118
	v_mad_u64_u32 v[202:203], s[26:27], v119, v200, v[202:203]
	v_cvt_f32_i32_e32 v199, v202
	v_mul_f32_e32 v119, v116, v194
	s_mov_b32 s21, s20
	v_fmac_f32_e32 v81, v119, v199
	v_add_u32_e32 v119, s24, v135
	ds_read2_b32 v[202:203], v119 offset1:1
	s_waitcnt lgkmcnt(0)
	v_ashrrev_i32_e32 v199, s22, v202
	v_add_u32_e32 v202, 0x4200, v210
	ds_read2_b32 v[204:205], v202 offset1:1
	v_and_b32_e32 v201, 0x3030303, v199
	v_bfe_u32 v199, v199, 24, 2
	s_waitcnt lgkmcnt(0)
	v_ashrrev_i32_e32 v202, s19, v204
	v_lshlrev_b32_e32 v202, 2, v202
	v_and_b32_e32 v202, 0x4040404, v202
	v_sub_u16_e32 v204, v201, v202
	v_sub_u16_sdwa v206, v201, v202 dst_sel:BYTE_1 dst_unused:UNUSED_PAD src0_sel:BYTE_1 src1_sel:BYTE_1
	v_sub_u16_sdwa v199, v199, v202 dst_sel:BYTE_1 dst_unused:UNUSED_PAD src0_sel:DWORD src1_sel:BYTE_3
	v_sub_u16_sdwa v201, v201, v202 dst_sel:DWORD dst_unused:UNUSED_PAD src0_sel:WORD_1 src1_sel:WORD_1
	v_or_b32_sdwa v199, v201, v199 dst_sel:WORD_1 dst_unused:UNUSED_PAD src0_sel:BYTE_0 src1_sel:DWORD
	v_ashrrev_i32_e32 v201, s22, v203
	v_ashrrev_i32_e32 v203, s19, v205
	v_lshlrev_b32_e32 v203, 2, v203
	v_or_b32_sdwa v204, v204, v206 dst_sel:DWORD dst_unused:UNUSED_PAD src0_sel:BYTE_0 src1_sel:DWORD
	v_and_b32_e32 v202, 0x3030303, v201
	v_bfe_u32 v201, v201, 24, 2
	v_and_b32_e32 v203, 0x4040404, v203
	v_or_b32_sdwa v199, v204, v199 dst_sel:DWORD dst_unused:UNUSED_PAD src0_sel:WORD_0 src1_sel:DWORD
	v_sub_u16_e32 v204, v202, v203
	v_sub_u16_sdwa v205, v202, v203 dst_sel:BYTE_1 dst_unused:UNUSED_PAD src0_sel:BYTE_1 src1_sel:BYTE_1
	v_sub_u16_sdwa v201, v201, v203 dst_sel:BYTE_1 dst_unused:UNUSED_PAD src0_sel:DWORD src1_sel:BYTE_3
	v_sub_u16_sdwa v202, v202, v203 dst_sel:DWORD dst_unused:UNUSED_PAD src0_sel:WORD_1 src1_sel:WORD_1
	v_or_b32_sdwa v204, v204, v205 dst_sel:DWORD dst_unused:UNUSED_PAD src0_sel:BYTE_0 src1_sel:DWORD
	v_or_b32_sdwa v201, v202, v201 dst_sel:WORD_1 dst_unused:UNUSED_PAD src0_sel:BYTE_0 src1_sel:DWORD
	v_or_b32_sdwa v201, v204, v201 dst_sel:DWORD dst_unused:UNUSED_PAD src0_sel:WORD_0 src1_sel:DWORD
	v_add_u32_e32 v204, 0x4208, v210
	ds_read2_b32 v[202:203], v119 offset0:2 offset1:3
	ds_read2_b32 v[204:205], v204 offset1:1
	s_waitcnt lgkmcnt(1)
	v_ashrrev_i32_e32 v202, s22, v202
	s_waitcnt lgkmcnt(0)
	v_ashrrev_i32_e32 v204, s19, v204
	v_lshlrev_b32_e32 v204, 2, v204
	v_and_b32_e32 v206, 0x3030303, v202
	v_bfe_u32 v202, v202, 24, 2
	v_and_b32_e32 v204, 0x4040404, v204
	v_ashrrev_i32_e32 v205, s19, v205
	v_sub_u16_e32 v207, v206, v204
	v_sub_u16_sdwa v208, v206, v204 dst_sel:BYTE_1 dst_unused:UNUSED_PAD src0_sel:BYTE_1 src1_sel:BYTE_1
	v_sub_u16_sdwa v202, v202, v204 dst_sel:BYTE_1 dst_unused:UNUSED_PAD src0_sel:DWORD src1_sel:BYTE_3
	v_sub_u16_sdwa v204, v206, v204 dst_sel:DWORD dst_unused:UNUSED_PAD src0_sel:WORD_1 src1_sel:WORD_1
	v_ashrrev_i32_e32 v203, s22, v203
	v_lshlrev_b32_e32 v205, 2, v205
	v_or_b32_sdwa v207, v207, v208 dst_sel:DWORD dst_unused:UNUSED_PAD src0_sel:BYTE_0 src1_sel:DWORD
	v_or_b32_sdwa v202, v204, v202 dst_sel:WORD_1 dst_unused:UNUSED_PAD src0_sel:BYTE_0 src1_sel:DWORD
	v_and_b32_e32 v204, 0x3030303, v203
	v_bfe_u32 v203, v203, 24, 2
	v_and_b32_e32 v205, 0x4040404, v205
	v_or_b32_sdwa v202, v207, v202 dst_sel:DWORD dst_unused:UNUSED_PAD src0_sel:WORD_0 src1_sel:DWORD
	v_sub_u16_e32 v206, v204, v205
	v_sub_u16_sdwa v207, v204, v205 dst_sel:BYTE_1 dst_unused:UNUSED_PAD src0_sel:BYTE_1 src1_sel:BYTE_1
	v_sub_u16_sdwa v203, v203, v205 dst_sel:BYTE_1 dst_unused:UNUSED_PAD src0_sel:DWORD src1_sel:BYTE_3
	v_sub_u16_sdwa v204, v204, v205 dst_sel:DWORD dst_unused:UNUSED_PAD src0_sel:WORD_1 src1_sel:WORD_1
	v_or_b32_sdwa v206, v206, v207 dst_sel:DWORD dst_unused:UNUSED_PAD src0_sel:BYTE_0 src1_sel:DWORD
	v_or_b32_sdwa v203, v204, v203 dst_sel:WORD_1 dst_unused:UNUSED_PAD src0_sel:BYTE_0 src1_sel:DWORD
	v_or_b32_sdwa v203, v206, v203 dst_sel:DWORD dst_unused:UNUSED_PAD src0_sel:WORD_0 src1_sel:DWORD
	v_add_u32_e32 v206, 0x4210, v210
	ds_read2_b32 v[204:205], v119 offset0:4 offset1:5
	ds_read2_b32 v[206:207], v206 offset1:1
	s_waitcnt lgkmcnt(1)
	v_ashrrev_i32_e32 v204, s22, v204
	s_waitcnt lgkmcnt(0)
	v_ashrrev_i32_e32 v206, s19, v206
	v_lshlrev_b32_e32 v206, 2, v206
	v_and_b32_e32 v208, 0x3030303, v204
	v_bfe_u32 v204, v204, 24, 2
	v_and_b32_e32 v206, 0x4040404, v206
	v_ashrrev_i32_e32 v207, s19, v207
	v_sub_u16_e32 v209, v208, v206
	v_sub_u16_sdwa v211, v208, v206 dst_sel:BYTE_1 dst_unused:UNUSED_PAD src0_sel:BYTE_1 src1_sel:BYTE_1
	v_sub_u16_sdwa v204, v204, v206 dst_sel:BYTE_1 dst_unused:UNUSED_PAD src0_sel:DWORD src1_sel:BYTE_3
	v_sub_u16_sdwa v206, v208, v206 dst_sel:DWORD dst_unused:UNUSED_PAD src0_sel:WORD_1 src1_sel:WORD_1
	v_ashrrev_i32_e32 v205, s22, v205
	v_lshlrev_b32_e32 v207, 2, v207
	v_or_b32_sdwa v209, v209, v211 dst_sel:DWORD dst_unused:UNUSED_PAD src0_sel:BYTE_0 src1_sel:DWORD
	v_or_b32_sdwa v204, v206, v204 dst_sel:WORD_1 dst_unused:UNUSED_PAD src0_sel:BYTE_0 src1_sel:DWORD
	v_and_b32_e32 v206, 0x3030303, v205
	v_bfe_u32 v205, v205, 24, 2
	v_and_b32_e32 v207, 0x4040404, v207
	v_or_b32_sdwa v204, v209, v204 dst_sel:DWORD dst_unused:UNUSED_PAD src0_sel:WORD_0 src1_sel:DWORD
	v_sub_u16_e32 v208, v206, v207
	v_sub_u16_sdwa v209, v206, v207 dst_sel:BYTE_1 dst_unused:UNUSED_PAD src0_sel:BYTE_1 src1_sel:BYTE_1
	v_sub_u16_sdwa v205, v205, v207 dst_sel:BYTE_1 dst_unused:UNUSED_PAD src0_sel:DWORD src1_sel:BYTE_3
	v_sub_u16_sdwa v206, v206, v207 dst_sel:DWORD dst_unused:UNUSED_PAD src0_sel:WORD_1 src1_sel:WORD_1
	v_or_b32_sdwa v208, v208, v209 dst_sel:DWORD dst_unused:UNUSED_PAD src0_sel:BYTE_0 src1_sel:DWORD
	v_or_b32_sdwa v205, v206, v205 dst_sel:WORD_1 dst_unused:UNUSED_PAD src0_sel:BYTE_0 src1_sel:DWORD
	v_add_u32_e32 v207, 0x4218, v210
	v_or_b32_sdwa v206, v208, v205 dst_sel:DWORD dst_unused:UNUSED_PAD src0_sel:WORD_0 src1_sel:DWORD
	ds_read2_b32 v[208:209], v119 offset0:6 offset1:7
	ds_read2_b32 v[210:211], v207 offset1:1
	s_waitcnt lgkmcnt(1)
	v_ashrrev_i32_e32 v119, s22, v208
	s_waitcnt lgkmcnt(0)
	v_ashrrev_i32_e32 v207, s19, v210
	v_lshlrev_b32_e32 v207, 2, v207
	v_and_b32_e32 v205, 0x3030303, v119
	v_bfe_u32 v119, v119, 24, 2
	v_and_b32_e32 v207, 0x4040404, v207
	v_sub_u16_e32 v208, v205, v207
	v_sub_u16_sdwa v210, v205, v207 dst_sel:BYTE_1 dst_unused:UNUSED_PAD src0_sel:BYTE_1 src1_sel:BYTE_1
	v_sub_u16_sdwa v119, v119, v207 dst_sel:BYTE_1 dst_unused:UNUSED_PAD src0_sel:DWORD src1_sel:BYTE_3
	v_sub_u16_sdwa v205, v205, v207 dst_sel:DWORD dst_unused:UNUSED_PAD src0_sel:WORD_1 src1_sel:WORD_1
	v_or_b32_sdwa v208, v208, v210 dst_sel:DWORD dst_unused:UNUSED_PAD src0_sel:BYTE_0 src1_sel:DWORD
	v_or_b32_sdwa v119, v205, v119 dst_sel:WORD_1 dst_unused:UNUSED_PAD src0_sel:BYTE_0 src1_sel:DWORD
	v_or_b32_sdwa v207, v208, v119 dst_sel:DWORD dst_unused:UNUSED_PAD src0_sel:WORD_0 src1_sel:DWORD
	v_ashrrev_i32_e32 v208, s19, v211
	v_ashrrev_i32_e32 v119, s22, v209
	v_lshlrev_b32_e32 v208, 2, v208
	v_and_b32_e32 v205, 0x3030303, v119
	v_bfe_u32 v119, v119, 24, 2
	v_and_b32_e32 v208, 0x4040404, v208
	v_sub_u16_e32 v209, v205, v208
	v_sub_u16_sdwa v210, v205, v208 dst_sel:BYTE_1 dst_unused:UNUSED_PAD src0_sel:BYTE_1 src1_sel:BYTE_1
	v_sub_u16_sdwa v119, v119, v208 dst_sel:BYTE_1 dst_unused:UNUSED_PAD src0_sel:DWORD src1_sel:BYTE_3
	v_sub_u16_sdwa v205, v205, v208 dst_sel:DWORD dst_unused:UNUSED_PAD src0_sel:WORD_1 src1_sel:WORD_1
	v_or_b32_sdwa v209, v209, v210 dst_sel:DWORD dst_unused:UNUSED_PAD src0_sel:BYTE_0 src1_sel:DWORD
	v_or_b32_sdwa v119, v205, v119 dst_sel:WORD_1 dst_unused:UNUSED_PAD src0_sel:BYTE_0 src1_sel:DWORD
	v_or_b32_sdwa v208, v209, v119 dst_sel:DWORD dst_unused:UNUSED_PAD src0_sel:WORD_0 src1_sel:DWORD
	v_add_u32_e32 v119, s25, v136
	ds_read_b32 v205, v119
	v_mov_b32_e32 v119, 0
	v_dot4c_i32_i8_e32 v119, v199, v4
	ds_read_u16 v4, v118 offset:36594
	v_dot4c_i32_i8_e32 v119, v201, v5
	v_dot4c_i32_i8_e32 v119, v202, v6
	v_mov_b32_e32 v6, 0
	v_dot4c_i32_i8_e32 v6, v204, v0
	v_dot4c_i32_i8_e32 v6, v206, v1
	;; [unrolled: 1-line block ×3, first 2 shown]
	s_waitcnt lgkmcnt(0)
	v_lshrrev_b16_e32 v5, 8, v4
	v_bfe_i32 v209, v4, 0, 8
	v_dot4c_i32_i8_e32 v6, v207, v2
	v_mul_lo_u32 v4, v119, v209
	v_dot4c_i32_i8_e32 v6, v208, v3
	v_bfe_i32 v210, v5, 0, 8
	v_mov_b32_e32 v118, 0
	s_add_i32 s19, s19, 1
	v_mad_u64_u32 v[0:1], s[22:23], v6, v210, v[4:5]
	v_cvt_f32_i32_e32 v0, v0
	v_mul_f32_e32 v1, v116, v205
	v_mov_b32_e32 v116, 0
	s_cmp_lt_u32 s20, 22
	v_fmac_f32_e32 v75, v1, v0
	ds_read_b128 v[0:3], v165 offset:1024
	ds_read_b128 v[4:7], v165 offset:1040
	s_waitcnt lgkmcnt(1)
	v_dot4c_i32_i8_e32 v116, v167, v0
	v_dot4c_i32_i8_e32 v116, v168, v1
	s_waitcnt lgkmcnt(0)
	v_dot4c_i32_i8_e32 v118, v172, v4
	v_dot4c_i32_i8_e32 v116, v169, v2
	;; [unrolled: 1-line block ×6, first 2 shown]
	s_nop 0
	v_mul_lo_u32 v116, v116, v176
	s_nop 0
	v_mad_u64_u32 v[118:119], s[22:23], v118, v178, v[116:117]
	v_cvt_f32_i32_e32 v118, v118
	v_mul_f32_e32 v116, v171, v117
	v_fmac_f32_e32 v71, v116, v118
	v_mov_b32_e32 v116, 0
	v_dot4c_i32_i8_e32 v116, v177, v0
	v_mov_b32_e32 v118, 0
	v_dot4c_i32_i8_e32 v116, v179, v1
	v_dot4c_i32_i8_e32 v118, v182, v4
	;; [unrolled: 1-line block ×7, first 2 shown]
	s_nop 0
	v_mul_lo_u32 v116, v116, v187
	s_nop 0
	v_mad_u64_u32 v[118:119], s[22:23], v118, v189, v[116:117]
	v_cvt_f32_i32_e32 v118, v118
	v_mul_f32_e32 v116, v183, v117
	v_fmac_f32_e32 v69, v116, v118
	v_mov_b32_e32 v116, 0
	v_dot4c_i32_i8_e32 v116, v188, v0
	v_mov_b32_e32 v118, 0
	v_dot4c_i32_i8_e32 v116, v190, v1
	v_dot4c_i32_i8_e32 v118, v193, v4
	;; [unrolled: 1-line block ×7, first 2 shown]
	s_nop 0
	v_mul_lo_u32 v116, v116, v198
	s_nop 0
	v_mad_u64_u32 v[118:119], s[22:23], v118, v200, v[116:117]
	v_cvt_f32_i32_e32 v118, v118
	v_mul_f32_e32 v116, v194, v117
	v_mov_b32_e32 v119, 0
	v_fmac_f32_e32 v65, v116, v118
	v_mov_b32_e32 v116, 0
	v_dot4c_i32_i8_e32 v116, v199, v0
	v_dot4c_i32_i8_e32 v116, v201, v1
	v_mov_b32_e32 v1, 0
	v_dot4c_i32_i8_e32 v1, v204, v4
	v_dot4c_i32_i8_e32 v116, v202, v2
	;; [unrolled: 1-line block ×6, first 2 shown]
	v_mov_b32_e32 v118, 0
	v_mul_lo_u32 v0, v116, v209
	s_nop 0
	v_mad_u64_u32 v[0:1], s[22:23], v1, v210, v[0:1]
	v_cvt_f32_i32_e32 v0, v0
	v_mul_f32_e32 v1, v205, v117
	v_fmac_f32_e32 v61, v1, v0
	ds_read2_b32 v[116:117], v166 offset0:64 offset1:96
	ds_read_b128 v[0:3], v165 offset:2048
	ds_read_b128 v[4:7], v165 offset:2064
	s_waitcnt lgkmcnt(1)
	v_dot4c_i32_i8_e32 v118, v167, v0
	v_dot4c_i32_i8_e32 v118, v168, v1
	s_waitcnt lgkmcnt(0)
	v_dot4c_i32_i8_e32 v119, v172, v4
	v_dot4c_i32_i8_e32 v118, v169, v2
	;; [unrolled: 1-line block ×6, first 2 shown]
	s_nop 0
	v_mul_lo_u32 v118, v118, v176
	s_nop 0
	v_mad_u64_u32 v[118:119], s[22:23], v119, v178, v[118:119]
	v_cvt_f32_i32_e32 v118, v118
	v_mul_f32_e32 v119, v171, v116
	v_fmac_f32_e32 v59, v119, v118
	v_mov_b32_e32 v118, 0
	v_dot4c_i32_i8_e32 v118, v177, v0
	v_mov_b32_e32 v119, 0
	v_dot4c_i32_i8_e32 v118, v179, v1
	v_dot4c_i32_i8_e32 v119, v182, v4
	;; [unrolled: 1-line block ×7, first 2 shown]
	s_nop 0
	v_mul_lo_u32 v118, v118, v187
	s_nop 0
	v_mad_u64_u32 v[118:119], s[22:23], v119, v189, v[118:119]
	v_cvt_f32_i32_e32 v118, v118
	v_mul_f32_e32 v119, v183, v116
	v_fmac_f32_e32 v57, v119, v118
	v_mov_b32_e32 v118, 0
	v_dot4c_i32_i8_e32 v118, v188, v0
	v_mov_b32_e32 v119, 0
	v_dot4c_i32_i8_e32 v118, v190, v1
	v_dot4c_i32_i8_e32 v119, v193, v4
	;; [unrolled: 1-line block ×7, first 2 shown]
	s_nop 0
	v_mul_lo_u32 v118, v118, v198
	s_nop 0
	v_mad_u64_u32 v[118:119], s[22:23], v119, v200, v[118:119]
	v_cvt_f32_i32_e32 v118, v118
	v_mul_f32_e32 v119, v194, v116
	v_fmac_f32_e32 v55, v119, v118
	v_mov_b32_e32 v118, 0
	v_dot4c_i32_i8_e32 v118, v199, v0
	v_dot4c_i32_i8_e32 v118, v201, v1
	v_mov_b32_e32 v1, 0
	v_dot4c_i32_i8_e32 v1, v204, v4
	v_dot4c_i32_i8_e32 v118, v202, v2
	;; [unrolled: 1-line block ×6, first 2 shown]
	s_nop 0
	v_mul_lo_u32 v0, v118, v209
	v_mov_b32_e32 v118, 0
	v_mad_u64_u32 v[0:1], s[22:23], v1, v210, v[0:1]
	v_cvt_f32_i32_e32 v0, v0
	v_mul_f32_e32 v1, v205, v116
	v_mov_b32_e32 v116, 0
	v_fmac_f32_e32 v53, v1, v0
	ds_read_b128 v[0:3], v165 offset:3072
	ds_read_b128 v[4:7], v165 offset:3088
	s_waitcnt lgkmcnt(1)
	v_dot4c_i32_i8_e32 v116, v167, v0
	v_dot4c_i32_i8_e32 v116, v168, v1
	s_waitcnt lgkmcnt(0)
	v_dot4c_i32_i8_e32 v118, v172, v4
	v_dot4c_i32_i8_e32 v116, v169, v2
	;; [unrolled: 1-line block ×6, first 2 shown]
	s_nop 0
	v_mul_lo_u32 v116, v116, v176
	s_nop 0
	v_mad_u64_u32 v[118:119], s[22:23], v118, v178, v[116:117]
	v_cvt_f32_i32_e32 v118, v118
	v_mul_f32_e32 v116, v171, v117
	v_fmac_f32_e32 v51, v116, v118
	v_mov_b32_e32 v116, 0
	v_dot4c_i32_i8_e32 v116, v177, v0
	v_mov_b32_e32 v118, 0
	v_dot4c_i32_i8_e32 v116, v179, v1
	v_dot4c_i32_i8_e32 v118, v182, v4
	;; [unrolled: 1-line block ×7, first 2 shown]
	s_nop 0
	v_mul_lo_u32 v116, v116, v187
	s_nop 0
	v_mad_u64_u32 v[118:119], s[22:23], v118, v189, v[116:117]
	v_cvt_f32_i32_e32 v118, v118
	v_mul_f32_e32 v116, v183, v117
	v_fmac_f32_e32 v47, v116, v118
	v_mov_b32_e32 v116, 0
	v_dot4c_i32_i8_e32 v116, v188, v0
	v_mov_b32_e32 v118, 0
	v_dot4c_i32_i8_e32 v116, v190, v1
	v_dot4c_i32_i8_e32 v118, v193, v4
	;; [unrolled: 1-line block ×7, first 2 shown]
	s_nop 0
	v_mul_lo_u32 v116, v116, v198
	s_nop 0
	v_mad_u64_u32 v[118:119], s[22:23], v118, v200, v[116:117]
	v_cvt_f32_i32_e32 v118, v118
	v_mul_f32_e32 v116, v194, v117
	v_mov_b32_e32 v119, 0
	v_fmac_f32_e32 v43, v116, v118
	v_mov_b32_e32 v116, 0
	v_dot4c_i32_i8_e32 v116, v199, v0
	v_dot4c_i32_i8_e32 v116, v201, v1
	v_mov_b32_e32 v1, 0
	v_dot4c_i32_i8_e32 v1, v204, v4
	v_dot4c_i32_i8_e32 v116, v202, v2
	;; [unrolled: 1-line block ×6, first 2 shown]
	v_mov_b32_e32 v118, 0
	v_mul_lo_u32 v0, v116, v209
	s_nop 0
	v_mad_u64_u32 v[0:1], s[22:23], v1, v210, v[0:1]
	v_cvt_f32_i32_e32 v0, v0
	v_mul_f32_e32 v1, v205, v117
	v_fmac_f32_e32 v41, v1, v0
	ds_read2_b32 v[116:117], v166 offset0:128 offset1:160
	ds_read_b128 v[0:3], v165 offset:4096
	ds_read_b128 v[4:7], v165 offset:4112
	s_waitcnt lgkmcnt(1)
	v_dot4c_i32_i8_e32 v118, v167, v0
	v_dot4c_i32_i8_e32 v118, v168, v1
	s_waitcnt lgkmcnt(0)
	v_dot4c_i32_i8_e32 v119, v172, v4
	v_dot4c_i32_i8_e32 v118, v169, v2
	;; [unrolled: 1-line block ×6, first 2 shown]
	s_nop 0
	v_mul_lo_u32 v118, v118, v176
	s_nop 0
	v_mad_u64_u32 v[118:119], s[22:23], v119, v178, v[118:119]
	v_cvt_f32_i32_e32 v118, v118
	v_mul_f32_e32 v119, v171, v116
	v_fmac_f32_e32 v39, v119, v118
	v_mov_b32_e32 v118, 0
	v_dot4c_i32_i8_e32 v118, v177, v0
	v_mov_b32_e32 v119, 0
	v_dot4c_i32_i8_e32 v118, v179, v1
	v_dot4c_i32_i8_e32 v119, v182, v4
	;; [unrolled: 1-line block ×7, first 2 shown]
	s_nop 0
	v_mul_lo_u32 v118, v118, v187
	s_nop 0
	v_mad_u64_u32 v[118:119], s[22:23], v119, v189, v[118:119]
	v_cvt_f32_i32_e32 v118, v118
	v_mul_f32_e32 v119, v183, v116
	v_fmac_f32_e32 v37, v119, v118
	v_mov_b32_e32 v118, 0
	v_dot4c_i32_i8_e32 v118, v188, v0
	v_mov_b32_e32 v119, 0
	v_dot4c_i32_i8_e32 v118, v190, v1
	v_dot4c_i32_i8_e32 v119, v193, v4
	;; [unrolled: 1-line block ×7, first 2 shown]
	s_nop 0
	v_mul_lo_u32 v118, v118, v198
	s_nop 0
	v_mad_u64_u32 v[118:119], s[22:23], v119, v200, v[118:119]
	v_cvt_f32_i32_e32 v118, v118
	v_mul_f32_e32 v119, v194, v116
	v_fmac_f32_e32 v35, v119, v118
	v_mov_b32_e32 v118, 0
	v_dot4c_i32_i8_e32 v118, v199, v0
	v_dot4c_i32_i8_e32 v118, v201, v1
	v_mov_b32_e32 v1, 0
	v_dot4c_i32_i8_e32 v1, v204, v4
	v_dot4c_i32_i8_e32 v118, v202, v2
	;; [unrolled: 1-line block ×6, first 2 shown]
	s_nop 0
	v_mul_lo_u32 v0, v118, v209
	v_mov_b32_e32 v118, 0
	v_mad_u64_u32 v[0:1], s[22:23], v1, v210, v[0:1]
	v_cvt_f32_i32_e32 v0, v0
	v_mul_f32_e32 v1, v205, v116
	v_mov_b32_e32 v116, 0
	v_fmac_f32_e32 v33, v1, v0
	ds_read_b128 v[0:3], v165 offset:5120
	ds_read_b128 v[4:7], v165 offset:5136
	s_waitcnt lgkmcnt(1)
	v_dot4c_i32_i8_e32 v116, v167, v0
	v_dot4c_i32_i8_e32 v116, v168, v1
	s_waitcnt lgkmcnt(0)
	v_dot4c_i32_i8_e32 v118, v172, v4
	v_dot4c_i32_i8_e32 v116, v169, v2
	;; [unrolled: 1-line block ×6, first 2 shown]
	s_nop 0
	v_mul_lo_u32 v116, v116, v176
	s_nop 0
	v_mad_u64_u32 v[118:119], s[22:23], v118, v178, v[116:117]
	v_cvt_f32_i32_e32 v118, v118
	v_mul_f32_e32 v116, v171, v117
	v_fmac_f32_e32 v31, v116, v118
	v_mov_b32_e32 v116, 0
	v_dot4c_i32_i8_e32 v116, v177, v0
	v_mov_b32_e32 v118, 0
	v_dot4c_i32_i8_e32 v116, v179, v1
	v_dot4c_i32_i8_e32 v118, v182, v4
	;; [unrolled: 1-line block ×7, first 2 shown]
	s_nop 0
	v_mul_lo_u32 v116, v116, v187
	s_nop 0
	v_mad_u64_u32 v[118:119], s[22:23], v118, v189, v[116:117]
	v_cvt_f32_i32_e32 v118, v118
	v_mul_f32_e32 v116, v183, v117
	v_fmac_f32_e32 v29, v116, v118
	v_mov_b32_e32 v116, 0
	v_dot4c_i32_i8_e32 v116, v188, v0
	v_mov_b32_e32 v118, 0
	v_dot4c_i32_i8_e32 v116, v190, v1
	v_dot4c_i32_i8_e32 v118, v193, v4
	;; [unrolled: 1-line block ×7, first 2 shown]
	s_nop 0
	v_mul_lo_u32 v116, v116, v198
	s_nop 0
	v_mad_u64_u32 v[118:119], s[22:23], v118, v200, v[116:117]
	v_cvt_f32_i32_e32 v118, v118
	v_mul_f32_e32 v116, v194, v117
	v_mov_b32_e32 v119, 0
	v_fmac_f32_e32 v27, v116, v118
	v_mov_b32_e32 v116, 0
	v_dot4c_i32_i8_e32 v116, v199, v0
	v_dot4c_i32_i8_e32 v116, v201, v1
	v_mov_b32_e32 v1, 0
	v_dot4c_i32_i8_e32 v1, v204, v4
	v_dot4c_i32_i8_e32 v116, v202, v2
	;; [unrolled: 1-line block ×6, first 2 shown]
	v_mov_b32_e32 v118, 0
	v_mul_lo_u32 v0, v116, v209
	s_nop 0
	v_mad_u64_u32 v[0:1], s[22:23], v1, v210, v[0:1]
	v_cvt_f32_i32_e32 v0, v0
	v_mul_f32_e32 v1, v205, v117
	v_fmac_f32_e32 v25, v1, v0
	ds_read2_b32 v[116:117], v166 offset0:192 offset1:224
	ds_read_b128 v[4:7], v165 offset:6144
	ds_read_b128 v[0:3], v165 offset:6160
	v_add_u32_e32 v166, 4, v166
	s_waitcnt lgkmcnt(1)
	v_dot4c_i32_i8_e32 v118, v167, v4
	v_dot4c_i32_i8_e32 v118, v168, v5
	s_waitcnt lgkmcnt(0)
	v_dot4c_i32_i8_e32 v119, v172, v0
	v_dot4c_i32_i8_e32 v118, v169, v6
	;; [unrolled: 1-line block ×6, first 2 shown]
	s_nop 0
	v_mul_lo_u32 v118, v118, v176
	s_nop 0
	v_mad_u64_u32 v[118:119], s[22:23], v119, v178, v[118:119]
	v_cvt_f32_i32_e32 v118, v118
	v_mul_f32_e32 v119, v171, v116
	v_fmac_f32_e32 v23, v119, v118
	v_mov_b32_e32 v118, 0
	v_dot4c_i32_i8_e32 v118, v177, v4
	v_mov_b32_e32 v119, 0
	v_dot4c_i32_i8_e32 v118, v179, v5
	v_dot4c_i32_i8_e32 v119, v182, v0
	v_dot4c_i32_i8_e32 v118, v180, v6
	v_dot4c_i32_i8_e32 v119, v184, v1
	v_dot4c_i32_i8_e32 v118, v181, v7
	v_dot4c_i32_i8_e32 v119, v185, v2
	v_dot4c_i32_i8_e32 v119, v186, v3
	s_nop 0
	v_mul_lo_u32 v118, v118, v187
	s_nop 0
	v_mad_u64_u32 v[118:119], s[22:23], v119, v189, v[118:119]
	v_cvt_f32_i32_e32 v118, v118
	v_mul_f32_e32 v119, v183, v116
	v_fmac_f32_e32 v21, v119, v118
	v_mov_b32_e32 v118, 0
	v_dot4c_i32_i8_e32 v118, v188, v4
	v_mov_b32_e32 v119, 0
	v_dot4c_i32_i8_e32 v118, v190, v5
	v_dot4c_i32_i8_e32 v119, v193, v0
	;; [unrolled: 1-line block ×7, first 2 shown]
	s_nop 0
	v_mul_lo_u32 v118, v118, v198
	s_nop 0
	v_mad_u64_u32 v[118:119], s[22:23], v119, v200, v[118:119]
	v_cvt_f32_i32_e32 v118, v118
	v_mul_f32_e32 v119, v194, v116
	v_fmac_f32_e32 v19, v119, v118
	v_mov_b32_e32 v118, 0
	v_dot4c_i32_i8_e32 v118, v199, v4
	v_dot4c_i32_i8_e32 v118, v201, v5
	v_mov_b32_e32 v5, 0
	v_dot4c_i32_i8_e32 v5, v204, v0
	v_dot4c_i32_i8_e32 v118, v202, v6
	;; [unrolled: 1-line block ×6, first 2 shown]
	s_nop 0
	v_mul_lo_u32 v4, v118, v209
	v_mov_b32_e32 v118, 0
	v_mad_u64_u32 v[0:1], s[22:23], v5, v210, v[4:5]
	v_cvt_f32_i32_e32 v0, v0
	v_mul_f32_e32 v1, v205, v116
	v_mov_b32_e32 v116, 0
	v_fmac_f32_e32 v17, v1, v0
	ds_read_b128 v[0:3], v165 offset:7168
	ds_read_b128 v[4:7], v165 offset:7184
	v_add_u32_e32 v165, 32, v165
	s_waitcnt lgkmcnt(1)
	v_dot4c_i32_i8_e32 v116, v167, v0
	v_dot4c_i32_i8_e32 v116, v168, v1
	s_waitcnt lgkmcnt(0)
	v_dot4c_i32_i8_e32 v118, v172, v4
	v_dot4c_i32_i8_e32 v116, v169, v2
	;; [unrolled: 1-line block ×6, first 2 shown]
	s_nop 0
	v_mul_lo_u32 v116, v116, v176
	s_nop 0
	v_mad_u64_u32 v[118:119], s[22:23], v118, v178, v[116:117]
	v_cvt_f32_i32_e32 v118, v118
	v_mul_f32_e32 v116, v171, v117
	v_fmac_f32_e32 v15, v116, v118
	v_mov_b32_e32 v116, 0
	v_dot4c_i32_i8_e32 v116, v177, v0
	v_mov_b32_e32 v118, 0
	v_dot4c_i32_i8_e32 v116, v179, v1
	v_dot4c_i32_i8_e32 v118, v182, v4
	;; [unrolled: 1-line block ×7, first 2 shown]
	s_nop 0
	v_mul_lo_u32 v116, v116, v187
	s_nop 0
	v_mad_u64_u32 v[118:119], s[22:23], v118, v189, v[116:117]
	v_cvt_f32_i32_e32 v118, v118
	v_mul_f32_e32 v116, v183, v117
	v_fmac_f32_e32 v13, v116, v118
	v_mov_b32_e32 v116, 0
	v_dot4c_i32_i8_e32 v116, v188, v0
	v_mov_b32_e32 v118, 0
	v_dot4c_i32_i8_e32 v116, v190, v1
	v_dot4c_i32_i8_e32 v118, v193, v4
	;; [unrolled: 1-line block ×7, first 2 shown]
	s_nop 0
	v_mul_lo_u32 v116, v116, v198
	s_nop 0
	v_mad_u64_u32 v[118:119], s[22:23], v118, v200, v[116:117]
	v_cvt_f32_i32_e32 v118, v118
	v_mul_f32_e32 v116, v194, v117
	v_fmac_f32_e32 v11, v116, v118
	v_mov_b32_e32 v116, 0
	v_dot4c_i32_i8_e32 v116, v199, v0
	v_dot4c_i32_i8_e32 v116, v201, v1
	v_mov_b32_e32 v1, 0
	v_dot4c_i32_i8_e32 v1, v204, v4
	v_dot4c_i32_i8_e32 v116, v202, v2
	v_dot4c_i32_i8_e32 v1, v206, v5
	v_dot4c_i32_i8_e32 v116, v203, v3
	v_dot4c_i32_i8_e32 v1, v207, v6
	v_dot4c_i32_i8_e32 v1, v208, v7
	s_nop 0
	v_mul_lo_u32 v0, v116, v209
	s_nop 0
	v_mad_u64_u32 v[0:1], s[22:23], v1, v210, v[0:1]
	v_cvt_f32_i32_e32 v0, v0
	v_mul_f32_e32 v1, v205, v117
	v_fmac_f32_e32 v9, v1, v0
	s_cbranch_scc1 .LBB170_12
; %bb.13:                               ;   in Loop: Header=BB170_6 Depth=1
	v_add_u32_e32 v165, s17, v139
	v_add_u32_e32 v0, v165, v87
	;; [unrolled: 1-line block ×10, first 2 shown]
	v_mad_i64_i32 v[0:1], s[18:19], v0, 36, v[112:113]
	v_mad_i64_i32 v[2:3], s[18:19], v2, 36, v[112:113]
	;; [unrolled: 1-line block ×5, first 2 shown]
	v_mad_u64_u32 v[164:165], s[18:19], v164, 36, s[2:3]
	s_barrier
	v_mad_i64_i32 v[116:117], s[18:19], v116, 36, v[112:113]
	v_mad_i64_i32 v[118:119], s[18:19], v118, 36, v[112:113]
	;; [unrolled: 1-line block ×3, first 2 shown]
	global_load_dword v165, v[164:165], off
	s_nop 0
	global_load_dword v0, v[0:1], off offset:4
	s_nop 0
	global_load_dword v1, v[2:3], off offset:4
	;; [unrolled: 2-line block ×3, first 2 shown]
	global_load_dword v3, v[6:7], off offset:4
	s_nop 0
	global_load_dword v4, v[116:117], off offset:4
	global_load_dword v5, v[118:119], off offset:4
	;; [unrolled: 1-line block ×4, first 2 shown]
	s_mov_b32 s17, 24
	s_mov_b32 s20, 22
	;; [unrolled: 1-line block ×3, first 2 shown]
	v_mov_b32_e32 v164, v149
	s_waitcnt vmcnt(8)
	v_cvt_f32_f16_e32 v116, v165
	v_mov_b32_e32 v165, v148
	s_waitcnt vmcnt(7)
	ds_write_b32 v91, v0
	s_waitcnt vmcnt(6)
	ds_write_b32 v95, v1
	;; [unrolled: 2-line block ×8, first 2 shown]
	ds_write_b32 v85, v116
	s_waitcnt lgkmcnt(0)
	s_barrier
.LBB170_14:                             ;   Parent Loop BB170_6 Depth=1
                                        ; =>  This Inner Loop Header: Depth=2
	s_add_i32 s19, s20, 2
	s_lshr_b32 s24, s19, 4
	s_and_b32 s23, s19, 0x3ffffff8
	s_lshl_b32 s22, s24, 3
	s_lshl_b32 s23, s23, 2
	v_add_lshl_u32 v176, v125, s22, 2
	v_add_u32_e32 v119, s23, v126
	v_add_u32_e32 v168, 0x4200, v176
	ds_read2_b32 v[116:117], v165 offset1:32
	ds_read_b128 v[4:7], v164
	ds_read_b128 v[0:3], v164 offset:16
	ds_read2_b32 v[166:167], v119 offset1:1
	ds_read2_b32 v[168:169], v168 offset1:1
	s_and_b32 s21, s17, -16
	v_add_u32_e32 v118, s21, v124
	s_sub_i32 s21, s20, 22
	s_waitcnt lgkmcnt(1)
	v_ashrrev_i32_e32 v166, s21, v166
	s_waitcnt lgkmcnt(0)
	v_ashrrev_i32_e32 v168, s18, v168
	v_lshlrev_b32_e32 v168, 2, v168
	v_and_b32_e32 v170, 0x3030303, v166
	v_bfe_u32 v166, v166, 24, 2
	v_and_b32_e32 v168, 0x4040404, v168
	v_ashrrev_i32_e32 v169, s18, v169
	v_sub_u16_e32 v171, v170, v168
	v_sub_u16_sdwa v172, v170, v168 dst_sel:BYTE_1 dst_unused:UNUSED_PAD src0_sel:BYTE_1 src1_sel:BYTE_1
	v_sub_u16_sdwa v166, v166, v168 dst_sel:BYTE_1 dst_unused:UNUSED_PAD src0_sel:DWORD src1_sel:BYTE_3
	v_sub_u16_sdwa v168, v170, v168 dst_sel:DWORD dst_unused:UNUSED_PAD src0_sel:WORD_1 src1_sel:WORD_1
	v_ashrrev_i32_e32 v167, s21, v167
	v_lshlrev_b32_e32 v169, 2, v169
	v_or_b32_sdwa v171, v171, v172 dst_sel:DWORD dst_unused:UNUSED_PAD src0_sel:BYTE_0 src1_sel:DWORD
	v_or_b32_sdwa v166, v168, v166 dst_sel:WORD_1 dst_unused:UNUSED_PAD src0_sel:BYTE_0 src1_sel:DWORD
	v_and_b32_e32 v168, 0x3030303, v167
	v_bfe_u32 v167, v167, 24, 2
	v_and_b32_e32 v169, 0x4040404, v169
	v_or_b32_sdwa v166, v171, v166 dst_sel:DWORD dst_unused:UNUSED_PAD src0_sel:WORD_0 src1_sel:DWORD
	v_sub_u16_e32 v170, v168, v169
	v_sub_u16_sdwa v171, v168, v169 dst_sel:BYTE_1 dst_unused:UNUSED_PAD src0_sel:BYTE_1 src1_sel:BYTE_1
	v_sub_u16_sdwa v167, v167, v169 dst_sel:BYTE_1 dst_unused:UNUSED_PAD src0_sel:DWORD src1_sel:BYTE_3
	v_sub_u16_sdwa v168, v168, v169 dst_sel:DWORD dst_unused:UNUSED_PAD src0_sel:WORD_1 src1_sel:WORD_1
	v_or_b32_sdwa v170, v170, v171 dst_sel:DWORD dst_unused:UNUSED_PAD src0_sel:BYTE_0 src1_sel:DWORD
	v_or_b32_sdwa v167, v168, v167 dst_sel:WORD_1 dst_unused:UNUSED_PAD src0_sel:BYTE_0 src1_sel:DWORD
	v_or_b32_sdwa v167, v170, v167 dst_sel:DWORD dst_unused:UNUSED_PAD src0_sel:WORD_0 src1_sel:DWORD
	v_add_u32_e32 v170, 0x4208, v176
	ds_read2_b32 v[168:169], v119 offset0:2 offset1:3
	ds_read2_b32 v[170:171], v170 offset1:1
	s_lshl_b32 s24, s24, 2
	v_add_lshl_u32 v186, v128, s22, 2
	v_add_u32_e32 v180, 0x4200, v186
	s_waitcnt lgkmcnt(1)
	v_ashrrev_i32_e32 v168, s21, v168
	s_waitcnt lgkmcnt(0)
	v_ashrrev_i32_e32 v170, s18, v170
	v_lshlrev_b32_e32 v170, 2, v170
	v_and_b32_e32 v172, 0x3030303, v168
	v_bfe_u32 v168, v168, 24, 2
	v_and_b32_e32 v170, 0x4040404, v170
	v_ashrrev_i32_e32 v171, s18, v171
	v_sub_u16_e32 v173, v172, v170
	v_sub_u16_sdwa v174, v172, v170 dst_sel:BYTE_1 dst_unused:UNUSED_PAD src0_sel:BYTE_1 src1_sel:BYTE_1
	v_sub_u16_sdwa v168, v168, v170 dst_sel:BYTE_1 dst_unused:UNUSED_PAD src0_sel:DWORD src1_sel:BYTE_3
	v_sub_u16_sdwa v170, v172, v170 dst_sel:DWORD dst_unused:UNUSED_PAD src0_sel:WORD_1 src1_sel:WORD_1
	v_ashrrev_i32_e32 v169, s21, v169
	v_lshlrev_b32_e32 v171, 2, v171
	v_or_b32_sdwa v173, v173, v174 dst_sel:DWORD dst_unused:UNUSED_PAD src0_sel:BYTE_0 src1_sel:DWORD
	v_or_b32_sdwa v168, v170, v168 dst_sel:WORD_1 dst_unused:UNUSED_PAD src0_sel:BYTE_0 src1_sel:DWORD
	v_and_b32_e32 v170, 0x3030303, v169
	v_bfe_u32 v169, v169, 24, 2
	v_and_b32_e32 v171, 0x4040404, v171
	v_or_b32_sdwa v168, v173, v168 dst_sel:DWORD dst_unused:UNUSED_PAD src0_sel:WORD_0 src1_sel:DWORD
	v_sub_u16_e32 v172, v170, v171
	v_sub_u16_sdwa v173, v170, v171 dst_sel:BYTE_1 dst_unused:UNUSED_PAD src0_sel:BYTE_1 src1_sel:BYTE_1
	v_sub_u16_sdwa v169, v169, v171 dst_sel:BYTE_1 dst_unused:UNUSED_PAD src0_sel:DWORD src1_sel:BYTE_3
	v_sub_u16_sdwa v170, v170, v171 dst_sel:DWORD dst_unused:UNUSED_PAD src0_sel:WORD_1 src1_sel:WORD_1
	v_or_b32_sdwa v172, v172, v173 dst_sel:DWORD dst_unused:UNUSED_PAD src0_sel:BYTE_0 src1_sel:DWORD
	v_or_b32_sdwa v169, v170, v169 dst_sel:WORD_1 dst_unused:UNUSED_PAD src0_sel:BYTE_0 src1_sel:DWORD
	v_or_b32_sdwa v169, v172, v169 dst_sel:DWORD dst_unused:UNUSED_PAD src0_sel:WORD_0 src1_sel:DWORD
	ds_read2_b32 v[172:173], v119 offset0:4 offset1:5
	v_add_lshl_u32 v208, v134, s22, 2
	v_add_lshl_u32 v198, v131, s22, 2
	v_add_u32_e32 v202, 0x4200, v208
	s_add_i32 s17, s17, 2
	s_waitcnt lgkmcnt(0)
	v_ashrrev_i32_e32 v170, s21, v172
	v_add_u32_e32 v172, 0x4210, v176
	ds_read2_b32 v[174:175], v172 offset1:1
	v_and_b32_e32 v171, 0x3030303, v170
	v_bfe_u32 v170, v170, 24, 2
	ds_read2_b32 v[180:181], v180 offset1:1
	ds_read2_b32 v[202:203], v202 offset1:1
	s_waitcnt lgkmcnt(2)
	v_ashrrev_i32_e32 v172, s18, v174
	v_lshlrev_b32_e32 v172, 2, v172
	v_and_b32_e32 v172, 0x4040404, v172
	v_sub_u16_e32 v174, v171, v172
	v_sub_u16_sdwa v177, v171, v172 dst_sel:BYTE_1 dst_unused:UNUSED_PAD src0_sel:BYTE_1 src1_sel:BYTE_1
	v_sub_u16_sdwa v170, v170, v172 dst_sel:BYTE_1 dst_unused:UNUSED_PAD src0_sel:DWORD src1_sel:BYTE_3
	v_sub_u16_sdwa v171, v171, v172 dst_sel:DWORD dst_unused:UNUSED_PAD src0_sel:WORD_1 src1_sel:WORD_1
	v_or_b32_sdwa v174, v174, v177 dst_sel:DWORD dst_unused:UNUSED_PAD src0_sel:BYTE_0 src1_sel:DWORD
	v_or_b32_sdwa v170, v171, v170 dst_sel:WORD_1 dst_unused:UNUSED_PAD src0_sel:BYTE_0 src1_sel:DWORD
	v_or_b32_sdwa v171, v174, v170 dst_sel:DWORD dst_unused:UNUSED_PAD src0_sel:WORD_0 src1_sel:DWORD
	v_ashrrev_i32_e32 v170, s21, v173
	v_ashrrev_i32_e32 v173, s18, v175
	v_lshlrev_b32_e32 v173, 2, v173
	v_and_b32_e32 v172, 0x3030303, v170
	v_bfe_u32 v170, v170, 24, 2
	v_and_b32_e32 v173, 0x4040404, v173
	v_sub_u16_e32 v174, v172, v173
	v_sub_u16_sdwa v175, v172, v173 dst_sel:BYTE_1 dst_unused:UNUSED_PAD src0_sel:BYTE_1 src1_sel:BYTE_1
	v_sub_u16_sdwa v170, v170, v173 dst_sel:BYTE_1 dst_unused:UNUSED_PAD src0_sel:DWORD src1_sel:BYTE_3
	v_sub_u16_sdwa v172, v172, v173 dst_sel:DWORD dst_unused:UNUSED_PAD src0_sel:WORD_1 src1_sel:WORD_1
	v_or_b32_sdwa v174, v174, v175 dst_sel:DWORD dst_unused:UNUSED_PAD src0_sel:BYTE_0 src1_sel:DWORD
	v_or_b32_sdwa v170, v172, v170 dst_sel:WORD_1 dst_unused:UNUSED_PAD src0_sel:BYTE_0 src1_sel:DWORD
	v_add_u32_e32 v173, 0x4218, v176
	v_or_b32_sdwa v172, v174, v170 dst_sel:DWORD dst_unused:UNUSED_PAD src0_sel:WORD_0 src1_sel:DWORD
	ds_read2_b32 v[174:175], v119 offset0:6 offset1:7
	ds_read2_b32 v[176:177], v173 offset1:1
	s_waitcnt lgkmcnt(3)
	v_ashrrev_i32_e32 v180, s18, v180
	v_lshlrev_b32_e32 v180, 2, v180
	v_and_b32_e32 v180, 0x4040404, v180
	s_waitcnt lgkmcnt(1)
	v_ashrrev_i32_e32 v119, s21, v174
	s_waitcnt lgkmcnt(0)
	v_ashrrev_i32_e32 v173, s18, v176
	v_lshlrev_b32_e32 v173, 2, v173
	v_and_b32_e32 v170, 0x3030303, v119
	v_bfe_u32 v119, v119, 24, 2
	v_and_b32_e32 v173, 0x4040404, v173
	v_sub_u16_e32 v174, v170, v173
	v_sub_u16_sdwa v176, v170, v173 dst_sel:BYTE_1 dst_unused:UNUSED_PAD src0_sel:BYTE_1 src1_sel:BYTE_1
	v_sub_u16_sdwa v119, v119, v173 dst_sel:BYTE_1 dst_unused:UNUSED_PAD src0_sel:DWORD src1_sel:BYTE_3
	v_sub_u16_sdwa v170, v170, v173 dst_sel:DWORD dst_unused:UNUSED_PAD src0_sel:WORD_1 src1_sel:WORD_1
	v_or_b32_sdwa v174, v174, v176 dst_sel:DWORD dst_unused:UNUSED_PAD src0_sel:BYTE_0 src1_sel:DWORD
	v_or_b32_sdwa v119, v170, v119 dst_sel:WORD_1 dst_unused:UNUSED_PAD src0_sel:BYTE_0 src1_sel:DWORD
	v_or_b32_sdwa v173, v174, v119 dst_sel:DWORD dst_unused:UNUSED_PAD src0_sel:WORD_0 src1_sel:DWORD
	v_ashrrev_i32_e32 v174, s18, v177
	v_ashrrev_i32_e32 v119, s21, v175
	v_lshlrev_b32_e32 v174, 2, v174
	v_and_b32_e32 v170, 0x3030303, v119
	v_bfe_u32 v119, v119, 24, 2
	v_and_b32_e32 v174, 0x4040404, v174
	v_sub_u16_e32 v175, v170, v174
	v_sub_u16_sdwa v176, v170, v174 dst_sel:BYTE_1 dst_unused:UNUSED_PAD src0_sel:BYTE_1 src1_sel:BYTE_1
	v_sub_u16_sdwa v119, v119, v174 dst_sel:BYTE_1 dst_unused:UNUSED_PAD src0_sel:DWORD src1_sel:BYTE_3
	v_sub_u16_sdwa v170, v170, v174 dst_sel:DWORD dst_unused:UNUSED_PAD src0_sel:WORD_1 src1_sel:WORD_1
	v_or_b32_sdwa v175, v175, v176 dst_sel:DWORD dst_unused:UNUSED_PAD src0_sel:BYTE_0 src1_sel:DWORD
	v_or_b32_sdwa v119, v170, v119 dst_sel:WORD_1 dst_unused:UNUSED_PAD src0_sel:BYTE_0 src1_sel:DWORD
	v_or_b32_sdwa v174, v175, v119 dst_sel:DWORD dst_unused:UNUSED_PAD src0_sel:WORD_0 src1_sel:DWORD
	v_add3_u32 v119, v140, s20, v118
	v_add_u32_e32 v170, s24, v127
	ds_read_b32 v170, v170
	ds_read_u16 v119, v119 offset:33522
	v_mov_b32_e32 v176, 0
	v_dot4c_i32_i8_e32 v176, v166, v4
	v_dot4c_i32_i8_e32 v176, v167, v5
	;; [unrolled: 1-line block ×3, first 2 shown]
	s_waitcnt lgkmcnt(0)
	v_lshrrev_b16_e32 v177, 8, v119
	v_bfe_i32 v175, v119, 0, 8
	v_mov_b32_e32 v119, 0
	v_dot4c_i32_i8_e32 v119, v171, v0
	v_dot4c_i32_i8_e32 v119, v172, v1
	;; [unrolled: 1-line block ×5, first 2 shown]
	v_bfe_i32 v177, v177, 0, 8
	v_mul_lo_u32 v176, v176, v175
	v_ashrrev_i32_e32 v202, s18, v202
	v_mad_u64_u32 v[178:179], s[26:27], v119, v177, v[176:177]
	v_cvt_f32_i32_e32 v176, v178
	v_mul_f32_e32 v119, v116, v170
	v_lshlrev_b32_e32 v202, 2, v202
	v_and_b32_e32 v202, 0x4040404, v202
	v_fmac_f32_e32 v97, v119, v176
	v_add_u32_e32 v119, s23, v129
	ds_read2_b32 v[178:179], v119 offset1:1
	s_waitcnt lgkmcnt(0)
	v_ashrrev_i32_e32 v176, s21, v178
	v_and_b32_e32 v178, 0x3030303, v176
	v_bfe_u32 v176, v176, 24, 2
	v_sub_u16_e32 v182, v178, v180
	v_sub_u16_sdwa v183, v178, v180 dst_sel:BYTE_1 dst_unused:UNUSED_PAD src0_sel:BYTE_1 src1_sel:BYTE_1
	v_sub_u16_sdwa v176, v176, v180 dst_sel:BYTE_1 dst_unused:UNUSED_PAD src0_sel:DWORD src1_sel:BYTE_3
	v_sub_u16_sdwa v178, v178, v180 dst_sel:DWORD dst_unused:UNUSED_PAD src0_sel:WORD_1 src1_sel:WORD_1
	v_ashrrev_i32_e32 v180, s18, v181
	v_or_b32_sdwa v176, v178, v176 dst_sel:WORD_1 dst_unused:UNUSED_PAD src0_sel:BYTE_0 src1_sel:DWORD
	v_ashrrev_i32_e32 v178, s21, v179
	v_lshlrev_b32_e32 v180, 2, v180
	v_or_b32_sdwa v182, v182, v183 dst_sel:DWORD dst_unused:UNUSED_PAD src0_sel:BYTE_0 src1_sel:DWORD
	v_and_b32_e32 v179, 0x3030303, v178
	v_bfe_u32 v178, v178, 24, 2
	v_and_b32_e32 v180, 0x4040404, v180
	v_or_b32_sdwa v176, v182, v176 dst_sel:DWORD dst_unused:UNUSED_PAD src0_sel:WORD_0 src1_sel:DWORD
	v_sub_u16_e32 v181, v179, v180
	v_sub_u16_sdwa v182, v179, v180 dst_sel:BYTE_1 dst_unused:UNUSED_PAD src0_sel:BYTE_1 src1_sel:BYTE_1
	v_sub_u16_sdwa v178, v178, v180 dst_sel:BYTE_1 dst_unused:UNUSED_PAD src0_sel:DWORD src1_sel:BYTE_3
	v_sub_u16_sdwa v179, v179, v180 dst_sel:DWORD dst_unused:UNUSED_PAD src0_sel:WORD_1 src1_sel:WORD_1
	v_or_b32_sdwa v181, v181, v182 dst_sel:DWORD dst_unused:UNUSED_PAD src0_sel:BYTE_0 src1_sel:DWORD
	v_or_b32_sdwa v178, v179, v178 dst_sel:WORD_1 dst_unused:UNUSED_PAD src0_sel:BYTE_0 src1_sel:DWORD
	v_add_u32_e32 v182, 0x4208, v186
	v_or_b32_sdwa v178, v181, v178 dst_sel:DWORD dst_unused:UNUSED_PAD src0_sel:WORD_0 src1_sel:DWORD
	ds_read2_b32 v[180:181], v119 offset0:2 offset1:3
	ds_read2_b32 v[182:183], v182 offset1:1
	s_waitcnt lgkmcnt(1)
	v_ashrrev_i32_e32 v179, s21, v180
	s_waitcnt lgkmcnt(0)
	v_ashrrev_i32_e32 v182, s18, v182
	v_lshlrev_b32_e32 v182, 2, v182
	v_and_b32_e32 v180, 0x3030303, v179
	v_bfe_u32 v179, v179, 24, 2
	v_and_b32_e32 v182, 0x4040404, v182
	v_sub_u16_e32 v184, v180, v182
	v_sub_u16_sdwa v185, v180, v182 dst_sel:BYTE_1 dst_unused:UNUSED_PAD src0_sel:BYTE_1 src1_sel:BYTE_1
	v_sub_u16_sdwa v179, v179, v182 dst_sel:BYTE_1 dst_unused:UNUSED_PAD src0_sel:DWORD src1_sel:BYTE_3
	v_sub_u16_sdwa v180, v180, v182 dst_sel:DWORD dst_unused:UNUSED_PAD src0_sel:WORD_1 src1_sel:WORD_1
	v_ashrrev_i32_e32 v182, s18, v183
	v_or_b32_sdwa v179, v180, v179 dst_sel:WORD_1 dst_unused:UNUSED_PAD src0_sel:BYTE_0 src1_sel:DWORD
	v_ashrrev_i32_e32 v180, s21, v181
	v_lshlrev_b32_e32 v182, 2, v182
	v_or_b32_sdwa v184, v184, v185 dst_sel:DWORD dst_unused:UNUSED_PAD src0_sel:BYTE_0 src1_sel:DWORD
	v_and_b32_e32 v181, 0x3030303, v180
	v_bfe_u32 v180, v180, 24, 2
	v_and_b32_e32 v182, 0x4040404, v182
	v_or_b32_sdwa v179, v184, v179 dst_sel:DWORD dst_unused:UNUSED_PAD src0_sel:WORD_0 src1_sel:DWORD
	v_sub_u16_e32 v183, v181, v182
	v_sub_u16_sdwa v184, v181, v182 dst_sel:BYTE_1 dst_unused:UNUSED_PAD src0_sel:BYTE_1 src1_sel:BYTE_1
	v_sub_u16_sdwa v180, v180, v182 dst_sel:BYTE_1 dst_unused:UNUSED_PAD src0_sel:DWORD src1_sel:BYTE_3
	v_sub_u16_sdwa v181, v181, v182 dst_sel:DWORD dst_unused:UNUSED_PAD src0_sel:WORD_1 src1_sel:WORD_1
	v_or_b32_sdwa v183, v183, v184 dst_sel:DWORD dst_unused:UNUSED_PAD src0_sel:BYTE_0 src1_sel:DWORD
	v_or_b32_sdwa v180, v181, v180 dst_sel:WORD_1 dst_unused:UNUSED_PAD src0_sel:BYTE_0 src1_sel:DWORD
	v_add_u32_e32 v184, 0x4210, v186
	v_or_b32_sdwa v180, v183, v180 dst_sel:DWORD dst_unused:UNUSED_PAD src0_sel:WORD_0 src1_sel:DWORD
	ds_read2_b32 v[182:183], v119 offset0:4 offset1:5
	ds_read2_b32 v[184:185], v184 offset1:1
	s_waitcnt lgkmcnt(1)
	v_ashrrev_i32_e32 v181, s21, v182
	s_waitcnt lgkmcnt(0)
	v_ashrrev_i32_e32 v184, s18, v184
	v_lshlrev_b32_e32 v184, 2, v184
	v_and_b32_e32 v182, 0x3030303, v181
	v_bfe_u32 v181, v181, 24, 2
	v_and_b32_e32 v184, 0x4040404, v184
	v_sub_u16_e32 v187, v182, v184
	v_sub_u16_sdwa v188, v182, v184 dst_sel:BYTE_1 dst_unused:UNUSED_PAD src0_sel:BYTE_1 src1_sel:BYTE_1
	v_sub_u16_sdwa v181, v181, v184 dst_sel:BYTE_1 dst_unused:UNUSED_PAD src0_sel:DWORD src1_sel:BYTE_3
	v_sub_u16_sdwa v182, v182, v184 dst_sel:DWORD dst_unused:UNUSED_PAD src0_sel:WORD_1 src1_sel:WORD_1
	v_ashrrev_i32_e32 v184, s18, v185
	v_or_b32_sdwa v181, v182, v181 dst_sel:WORD_1 dst_unused:UNUSED_PAD src0_sel:BYTE_0 src1_sel:DWORD
	v_ashrrev_i32_e32 v182, s21, v183
	v_lshlrev_b32_e32 v184, 2, v184
	v_or_b32_sdwa v187, v187, v188 dst_sel:DWORD dst_unused:UNUSED_PAD src0_sel:BYTE_0 src1_sel:DWORD
	v_and_b32_e32 v183, 0x3030303, v182
	v_bfe_u32 v182, v182, 24, 2
	v_and_b32_e32 v184, 0x4040404, v184
	v_or_b32_sdwa v181, v187, v181 dst_sel:DWORD dst_unused:UNUSED_PAD src0_sel:WORD_0 src1_sel:DWORD
	v_sub_u16_e32 v185, v183, v184
	v_sub_u16_sdwa v187, v183, v184 dst_sel:BYTE_1 dst_unused:UNUSED_PAD src0_sel:BYTE_1 src1_sel:BYTE_1
	v_sub_u16_sdwa v182, v182, v184 dst_sel:BYTE_1 dst_unused:UNUSED_PAD src0_sel:DWORD src1_sel:BYTE_3
	v_sub_u16_sdwa v183, v183, v184 dst_sel:DWORD dst_unused:UNUSED_PAD src0_sel:WORD_1 src1_sel:WORD_1
	v_or_b32_sdwa v185, v185, v187 dst_sel:DWORD dst_unused:UNUSED_PAD src0_sel:BYTE_0 src1_sel:DWORD
	v_or_b32_sdwa v182, v183, v182 dst_sel:WORD_1 dst_unused:UNUSED_PAD src0_sel:BYTE_0 src1_sel:DWORD
	v_or_b32_sdwa v183, v185, v182 dst_sel:DWORD dst_unused:UNUSED_PAD src0_sel:WORD_0 src1_sel:DWORD
	ds_read2_b32 v[184:185], v119 offset0:6 offset1:7
	s_waitcnt lgkmcnt(0)
	v_ashrrev_i32_e32 v119, s21, v184
	v_add_u32_e32 v184, 0x4218, v186
	ds_read2_b32 v[186:187], v184 offset1:1
	v_and_b32_e32 v182, 0x3030303, v119
	v_bfe_u32 v119, v119, 24, 2
	s_waitcnt lgkmcnt(0)
	v_ashrrev_i32_e32 v184, s18, v186
	v_lshlrev_b32_e32 v184, 2, v184
	v_and_b32_e32 v184, 0x4040404, v184
	v_sub_u16_e32 v186, v182, v184
	v_sub_u16_sdwa v188, v182, v184 dst_sel:BYTE_1 dst_unused:UNUSED_PAD src0_sel:BYTE_1 src1_sel:BYTE_1
	v_sub_u16_sdwa v119, v119, v184 dst_sel:BYTE_1 dst_unused:UNUSED_PAD src0_sel:DWORD src1_sel:BYTE_3
	v_sub_u16_sdwa v182, v182, v184 dst_sel:DWORD dst_unused:UNUSED_PAD src0_sel:WORD_1 src1_sel:WORD_1
	v_or_b32_sdwa v186, v186, v188 dst_sel:DWORD dst_unused:UNUSED_PAD src0_sel:BYTE_0 src1_sel:DWORD
	v_or_b32_sdwa v119, v182, v119 dst_sel:WORD_1 dst_unused:UNUSED_PAD src0_sel:BYTE_0 src1_sel:DWORD
	v_or_b32_sdwa v184, v186, v119 dst_sel:DWORD dst_unused:UNUSED_PAD src0_sel:WORD_0 src1_sel:DWORD
	v_ashrrev_i32_e32 v119, s21, v185
	v_ashrrev_i32_e32 v185, s18, v187
	v_lshlrev_b32_e32 v185, 2, v185
	v_and_b32_e32 v182, 0x3030303, v119
	v_bfe_u32 v119, v119, 24, 2
	v_and_b32_e32 v185, 0x4040404, v185
	v_sub_u16_e32 v186, v182, v185
	v_sub_u16_sdwa v187, v182, v185 dst_sel:BYTE_1 dst_unused:UNUSED_PAD src0_sel:BYTE_1 src1_sel:BYTE_1
	v_sub_u16_sdwa v119, v119, v185 dst_sel:BYTE_1 dst_unused:UNUSED_PAD src0_sel:DWORD src1_sel:BYTE_3
	v_sub_u16_sdwa v182, v182, v185 dst_sel:DWORD dst_unused:UNUSED_PAD src0_sel:WORD_1 src1_sel:WORD_1
	v_or_b32_sdwa v186, v186, v187 dst_sel:DWORD dst_unused:UNUSED_PAD src0_sel:BYTE_0 src1_sel:DWORD
	v_or_b32_sdwa v119, v182, v119 dst_sel:WORD_1 dst_unused:UNUSED_PAD src0_sel:BYTE_0 src1_sel:DWORD
	v_or_b32_sdwa v185, v186, v119 dst_sel:DWORD dst_unused:UNUSED_PAD src0_sel:WORD_0 src1_sel:DWORD
	v_add3_u32 v119, v142, s20, v118
	v_add_u32_e32 v182, s24, v130
	ds_read_b32 v182, v182
	ds_read_u16 v119, v119 offset:34546
	v_mov_b32_e32 v187, 0
	v_dot4c_i32_i8_e32 v187, v176, v4
	v_dot4c_i32_i8_e32 v187, v178, v5
	;; [unrolled: 1-line block ×3, first 2 shown]
	s_waitcnt lgkmcnt(0)
	v_lshrrev_b16_e32 v188, 8, v119
	v_bfe_i32 v186, v119, 0, 8
	v_mov_b32_e32 v119, 0
	v_dot4c_i32_i8_e32 v119, v181, v0
	v_dot4c_i32_i8_e32 v119, v183, v1
	;; [unrolled: 1-line block ×5, first 2 shown]
	v_bfe_i32 v188, v188, 0, 8
	v_mul_lo_u32 v190, v187, v186
	s_nop 0
	v_mad_u64_u32 v[190:191], s[26:27], v119, v188, v[190:191]
	v_cvt_f32_i32_e32 v187, v190
	v_mul_f32_e32 v119, v116, v182
	v_fmac_f32_e32 v83, v119, v187
	v_add_u32_e32 v119, s23, v132
	ds_read2_b32 v[190:191], v119 offset1:1
	s_waitcnt lgkmcnt(0)
	v_ashrrev_i32_e32 v187, s21, v190
	v_add_u32_e32 v190, 0x4200, v198
	ds_read2_b32 v[192:193], v190 offset1:1
	v_and_b32_e32 v189, 0x3030303, v187
	v_bfe_u32 v187, v187, 24, 2
	s_waitcnt lgkmcnt(0)
	v_ashrrev_i32_e32 v190, s18, v192
	v_lshlrev_b32_e32 v190, 2, v190
	v_and_b32_e32 v190, 0x4040404, v190
	v_sub_u16_e32 v192, v189, v190
	v_sub_u16_sdwa v194, v189, v190 dst_sel:BYTE_1 dst_unused:UNUSED_PAD src0_sel:BYTE_1 src1_sel:BYTE_1
	v_sub_u16_sdwa v187, v187, v190 dst_sel:BYTE_1 dst_unused:UNUSED_PAD src0_sel:DWORD src1_sel:BYTE_3
	v_sub_u16_sdwa v189, v189, v190 dst_sel:DWORD dst_unused:UNUSED_PAD src0_sel:WORD_1 src1_sel:WORD_1
	v_or_b32_sdwa v187, v189, v187 dst_sel:WORD_1 dst_unused:UNUSED_PAD src0_sel:BYTE_0 src1_sel:DWORD
	v_ashrrev_i32_e32 v189, s21, v191
	v_ashrrev_i32_e32 v191, s18, v193
	v_lshlrev_b32_e32 v191, 2, v191
	v_or_b32_sdwa v192, v192, v194 dst_sel:DWORD dst_unused:UNUSED_PAD src0_sel:BYTE_0 src1_sel:DWORD
	v_and_b32_e32 v190, 0x3030303, v189
	v_bfe_u32 v189, v189, 24, 2
	v_and_b32_e32 v191, 0x4040404, v191
	v_or_b32_sdwa v187, v192, v187 dst_sel:DWORD dst_unused:UNUSED_PAD src0_sel:WORD_0 src1_sel:DWORD
	v_sub_u16_e32 v192, v190, v191
	v_sub_u16_sdwa v193, v190, v191 dst_sel:BYTE_1 dst_unused:UNUSED_PAD src0_sel:BYTE_1 src1_sel:BYTE_1
	v_sub_u16_sdwa v189, v189, v191 dst_sel:BYTE_1 dst_unused:UNUSED_PAD src0_sel:DWORD src1_sel:BYTE_3
	v_sub_u16_sdwa v190, v190, v191 dst_sel:DWORD dst_unused:UNUSED_PAD src0_sel:WORD_1 src1_sel:WORD_1
	v_or_b32_sdwa v192, v192, v193 dst_sel:DWORD dst_unused:UNUSED_PAD src0_sel:BYTE_0 src1_sel:DWORD
	v_or_b32_sdwa v189, v190, v189 dst_sel:WORD_1 dst_unused:UNUSED_PAD src0_sel:BYTE_0 src1_sel:DWORD
	v_or_b32_sdwa v189, v192, v189 dst_sel:DWORD dst_unused:UNUSED_PAD src0_sel:WORD_0 src1_sel:DWORD
	v_add_u32_e32 v192, 0x4208, v198
	ds_read2_b32 v[190:191], v119 offset0:2 offset1:3
	ds_read2_b32 v[192:193], v192 offset1:1
	s_waitcnt lgkmcnt(1)
	v_ashrrev_i32_e32 v190, s21, v190
	s_waitcnt lgkmcnt(0)
	v_ashrrev_i32_e32 v192, s18, v192
	v_lshlrev_b32_e32 v192, 2, v192
	v_and_b32_e32 v194, 0x3030303, v190
	v_bfe_u32 v190, v190, 24, 2
	v_and_b32_e32 v192, 0x4040404, v192
	v_ashrrev_i32_e32 v193, s18, v193
	v_sub_u16_e32 v195, v194, v192
	v_sub_u16_sdwa v196, v194, v192 dst_sel:BYTE_1 dst_unused:UNUSED_PAD src0_sel:BYTE_1 src1_sel:BYTE_1
	v_sub_u16_sdwa v190, v190, v192 dst_sel:BYTE_1 dst_unused:UNUSED_PAD src0_sel:DWORD src1_sel:BYTE_3
	v_sub_u16_sdwa v192, v194, v192 dst_sel:DWORD dst_unused:UNUSED_PAD src0_sel:WORD_1 src1_sel:WORD_1
	v_ashrrev_i32_e32 v191, s21, v191
	v_lshlrev_b32_e32 v193, 2, v193
	v_or_b32_sdwa v195, v195, v196 dst_sel:DWORD dst_unused:UNUSED_PAD src0_sel:BYTE_0 src1_sel:DWORD
	v_or_b32_sdwa v190, v192, v190 dst_sel:WORD_1 dst_unused:UNUSED_PAD src0_sel:BYTE_0 src1_sel:DWORD
	v_and_b32_e32 v192, 0x3030303, v191
	v_bfe_u32 v191, v191, 24, 2
	v_and_b32_e32 v193, 0x4040404, v193
	v_or_b32_sdwa v190, v195, v190 dst_sel:DWORD dst_unused:UNUSED_PAD src0_sel:WORD_0 src1_sel:DWORD
	v_sub_u16_e32 v194, v192, v193
	v_sub_u16_sdwa v195, v192, v193 dst_sel:BYTE_1 dst_unused:UNUSED_PAD src0_sel:BYTE_1 src1_sel:BYTE_1
	v_sub_u16_sdwa v191, v191, v193 dst_sel:BYTE_1 dst_unused:UNUSED_PAD src0_sel:DWORD src1_sel:BYTE_3
	v_sub_u16_sdwa v192, v192, v193 dst_sel:DWORD dst_unused:UNUSED_PAD src0_sel:WORD_1 src1_sel:WORD_1
	v_or_b32_sdwa v194, v194, v195 dst_sel:DWORD dst_unused:UNUSED_PAD src0_sel:BYTE_0 src1_sel:DWORD
	v_or_b32_sdwa v191, v192, v191 dst_sel:WORD_1 dst_unused:UNUSED_PAD src0_sel:BYTE_0 src1_sel:DWORD
	v_or_b32_sdwa v191, v194, v191 dst_sel:DWORD dst_unused:UNUSED_PAD src0_sel:WORD_0 src1_sel:DWORD
	v_add_u32_e32 v194, 0x4210, v198
	ds_read2_b32 v[192:193], v119 offset0:4 offset1:5
	ds_read2_b32 v[194:195], v194 offset1:1
	s_waitcnt lgkmcnt(1)
	v_ashrrev_i32_e32 v192, s21, v192
	s_waitcnt lgkmcnt(0)
	v_ashrrev_i32_e32 v194, s18, v194
	v_lshlrev_b32_e32 v194, 2, v194
	v_and_b32_e32 v196, 0x3030303, v192
	v_bfe_u32 v192, v192, 24, 2
	v_and_b32_e32 v194, 0x4040404, v194
	v_ashrrev_i32_e32 v195, s18, v195
	v_sub_u16_e32 v197, v196, v194
	v_sub_u16_sdwa v199, v196, v194 dst_sel:BYTE_1 dst_unused:UNUSED_PAD src0_sel:BYTE_1 src1_sel:BYTE_1
	v_sub_u16_sdwa v192, v192, v194 dst_sel:BYTE_1 dst_unused:UNUSED_PAD src0_sel:DWORD src1_sel:BYTE_3
	v_sub_u16_sdwa v194, v196, v194 dst_sel:DWORD dst_unused:UNUSED_PAD src0_sel:WORD_1 src1_sel:WORD_1
	v_ashrrev_i32_e32 v193, s21, v193
	v_lshlrev_b32_e32 v195, 2, v195
	v_or_b32_sdwa v197, v197, v199 dst_sel:DWORD dst_unused:UNUSED_PAD src0_sel:BYTE_0 src1_sel:DWORD
	v_or_b32_sdwa v192, v194, v192 dst_sel:WORD_1 dst_unused:UNUSED_PAD src0_sel:BYTE_0 src1_sel:DWORD
	v_and_b32_e32 v194, 0x3030303, v193
	v_bfe_u32 v193, v193, 24, 2
	v_and_b32_e32 v195, 0x4040404, v195
	v_or_b32_sdwa v192, v197, v192 dst_sel:DWORD dst_unused:UNUSED_PAD src0_sel:WORD_0 src1_sel:DWORD
	v_sub_u16_e32 v196, v194, v195
	v_sub_u16_sdwa v197, v194, v195 dst_sel:BYTE_1 dst_unused:UNUSED_PAD src0_sel:BYTE_1 src1_sel:BYTE_1
	v_sub_u16_sdwa v193, v193, v195 dst_sel:BYTE_1 dst_unused:UNUSED_PAD src0_sel:DWORD src1_sel:BYTE_3
	v_sub_u16_sdwa v194, v194, v195 dst_sel:DWORD dst_unused:UNUSED_PAD src0_sel:WORD_1 src1_sel:WORD_1
	v_or_b32_sdwa v196, v196, v197 dst_sel:DWORD dst_unused:UNUSED_PAD src0_sel:BYTE_0 src1_sel:DWORD
	v_or_b32_sdwa v193, v194, v193 dst_sel:WORD_1 dst_unused:UNUSED_PAD src0_sel:BYTE_0 src1_sel:DWORD
	v_add_u32_e32 v195, 0x4218, v198
	v_or_b32_sdwa v194, v196, v193 dst_sel:DWORD dst_unused:UNUSED_PAD src0_sel:WORD_0 src1_sel:DWORD
	ds_read2_b32 v[196:197], v119 offset0:6 offset1:7
	ds_read2_b32 v[198:199], v195 offset1:1
	s_waitcnt lgkmcnt(1)
	v_ashrrev_i32_e32 v119, s21, v196
	s_waitcnt lgkmcnt(0)
	v_ashrrev_i32_e32 v195, s18, v198
	v_lshlrev_b32_e32 v195, 2, v195
	v_and_b32_e32 v193, 0x3030303, v119
	v_bfe_u32 v119, v119, 24, 2
	v_and_b32_e32 v195, 0x4040404, v195
	v_sub_u16_e32 v196, v193, v195
	v_sub_u16_sdwa v198, v193, v195 dst_sel:BYTE_1 dst_unused:UNUSED_PAD src0_sel:BYTE_1 src1_sel:BYTE_1
	v_sub_u16_sdwa v119, v119, v195 dst_sel:BYTE_1 dst_unused:UNUSED_PAD src0_sel:DWORD src1_sel:BYTE_3
	v_sub_u16_sdwa v193, v193, v195 dst_sel:DWORD dst_unused:UNUSED_PAD src0_sel:WORD_1 src1_sel:WORD_1
	v_or_b32_sdwa v196, v196, v198 dst_sel:DWORD dst_unused:UNUSED_PAD src0_sel:BYTE_0 src1_sel:DWORD
	v_or_b32_sdwa v119, v193, v119 dst_sel:WORD_1 dst_unused:UNUSED_PAD src0_sel:BYTE_0 src1_sel:DWORD
	v_or_b32_sdwa v195, v196, v119 dst_sel:DWORD dst_unused:UNUSED_PAD src0_sel:WORD_0 src1_sel:DWORD
	v_ashrrev_i32_e32 v196, s18, v199
	v_ashrrev_i32_e32 v119, s21, v197
	v_lshlrev_b32_e32 v196, 2, v196
	v_and_b32_e32 v193, 0x3030303, v119
	v_bfe_u32 v119, v119, 24, 2
	v_and_b32_e32 v196, 0x4040404, v196
	v_sub_u16_e32 v197, v193, v196
	v_sub_u16_sdwa v198, v193, v196 dst_sel:BYTE_1 dst_unused:UNUSED_PAD src0_sel:BYTE_1 src1_sel:BYTE_1
	v_sub_u16_sdwa v119, v119, v196 dst_sel:BYTE_1 dst_unused:UNUSED_PAD src0_sel:DWORD src1_sel:BYTE_3
	v_sub_u16_sdwa v193, v193, v196 dst_sel:DWORD dst_unused:UNUSED_PAD src0_sel:WORD_1 src1_sel:WORD_1
	v_or_b32_sdwa v197, v197, v198 dst_sel:DWORD dst_unused:UNUSED_PAD src0_sel:BYTE_0 src1_sel:DWORD
	v_or_b32_sdwa v119, v193, v119 dst_sel:WORD_1 dst_unused:UNUSED_PAD src0_sel:BYTE_0 src1_sel:DWORD
	v_or_b32_sdwa v196, v197, v119 dst_sel:DWORD dst_unused:UNUSED_PAD src0_sel:WORD_0 src1_sel:DWORD
	v_add3_u32 v119, v144, s20, v118
	v_add_u32_e32 v193, s24, v133
	ds_read_b32 v193, v193
	ds_read_u16 v119, v119 offset:35570
	v_mov_b32_e32 v198, 0
	v_dot4c_i32_i8_e32 v198, v187, v4
	v_dot4c_i32_i8_e32 v198, v189, v5
	;; [unrolled: 1-line block ×3, first 2 shown]
	s_waitcnt lgkmcnt(0)
	v_lshrrev_b16_e32 v199, 8, v119
	v_bfe_i32 v197, v119, 0, 8
	v_mov_b32_e32 v119, 0
	v_dot4c_i32_i8_e32 v119, v192, v0
	v_dot4c_i32_i8_e32 v119, v194, v1
	v_dot4c_i32_i8_e32 v198, v191, v7
	v_dot4c_i32_i8_e32 v119, v195, v2
	v_dot4c_i32_i8_e32 v119, v196, v3
	v_bfe_i32 v199, v199, 0, 8
	v_mul_lo_u32 v198, v198, v197
	v_add3_u32 v118, v146, s20, v118
	v_mad_u64_u32 v[200:201], s[26:27], v119, v199, v[198:199]
	v_cvt_f32_i32_e32 v198, v200
	v_mul_f32_e32 v119, v116, v193
	v_fmac_f32_e32 v81, v119, v198
	v_add_u32_e32 v119, s23, v135
	ds_read2_b32 v[200:201], v119 offset1:1
	s_waitcnt lgkmcnt(0)
	v_ashrrev_i32_e32 v198, s21, v200
	v_and_b32_e32 v200, 0x3030303, v198
	v_bfe_u32 v198, v198, 24, 2
	v_sub_u16_e32 v204, v200, v202
	v_sub_u16_sdwa v205, v200, v202 dst_sel:BYTE_1 dst_unused:UNUSED_PAD src0_sel:BYTE_1 src1_sel:BYTE_1
	v_sub_u16_sdwa v198, v198, v202 dst_sel:BYTE_1 dst_unused:UNUSED_PAD src0_sel:DWORD src1_sel:BYTE_3
	v_sub_u16_sdwa v200, v200, v202 dst_sel:DWORD dst_unused:UNUSED_PAD src0_sel:WORD_1 src1_sel:WORD_1
	v_ashrrev_i32_e32 v202, s18, v203
	v_or_b32_sdwa v198, v200, v198 dst_sel:WORD_1 dst_unused:UNUSED_PAD src0_sel:BYTE_0 src1_sel:DWORD
	v_ashrrev_i32_e32 v200, s21, v201
	v_lshlrev_b32_e32 v202, 2, v202
	v_or_b32_sdwa v204, v204, v205 dst_sel:DWORD dst_unused:UNUSED_PAD src0_sel:BYTE_0 src1_sel:DWORD
	v_and_b32_e32 v201, 0x3030303, v200
	v_bfe_u32 v200, v200, 24, 2
	v_and_b32_e32 v202, 0x4040404, v202
	v_or_b32_sdwa v198, v204, v198 dst_sel:DWORD dst_unused:UNUSED_PAD src0_sel:WORD_0 src1_sel:DWORD
	v_sub_u16_e32 v203, v201, v202
	v_sub_u16_sdwa v204, v201, v202 dst_sel:BYTE_1 dst_unused:UNUSED_PAD src0_sel:BYTE_1 src1_sel:BYTE_1
	v_sub_u16_sdwa v200, v200, v202 dst_sel:BYTE_1 dst_unused:UNUSED_PAD src0_sel:DWORD src1_sel:BYTE_3
	v_sub_u16_sdwa v201, v201, v202 dst_sel:DWORD dst_unused:UNUSED_PAD src0_sel:WORD_1 src1_sel:WORD_1
	v_or_b32_sdwa v203, v203, v204 dst_sel:DWORD dst_unused:UNUSED_PAD src0_sel:BYTE_0 src1_sel:DWORD
	v_or_b32_sdwa v200, v201, v200 dst_sel:WORD_1 dst_unused:UNUSED_PAD src0_sel:BYTE_0 src1_sel:DWORD
	v_add_u32_e32 v204, 0x4208, v208
	v_or_b32_sdwa v200, v203, v200 dst_sel:DWORD dst_unused:UNUSED_PAD src0_sel:WORD_0 src1_sel:DWORD
	ds_read2_b32 v[202:203], v119 offset0:2 offset1:3
	ds_read2_b32 v[204:205], v204 offset1:1
	s_waitcnt lgkmcnt(1)
	v_ashrrev_i32_e32 v201, s21, v202
	s_waitcnt lgkmcnt(0)
	v_ashrrev_i32_e32 v204, s18, v204
	v_lshlrev_b32_e32 v204, 2, v204
	v_and_b32_e32 v202, 0x3030303, v201
	v_bfe_u32 v201, v201, 24, 2
	v_and_b32_e32 v204, 0x4040404, v204
	v_sub_u16_e32 v206, v202, v204
	v_sub_u16_sdwa v207, v202, v204 dst_sel:BYTE_1 dst_unused:UNUSED_PAD src0_sel:BYTE_1 src1_sel:BYTE_1
	v_sub_u16_sdwa v201, v201, v204 dst_sel:BYTE_1 dst_unused:UNUSED_PAD src0_sel:DWORD src1_sel:BYTE_3
	v_sub_u16_sdwa v202, v202, v204 dst_sel:DWORD dst_unused:UNUSED_PAD src0_sel:WORD_1 src1_sel:WORD_1
	v_ashrrev_i32_e32 v204, s18, v205
	v_or_b32_sdwa v201, v202, v201 dst_sel:WORD_1 dst_unused:UNUSED_PAD src0_sel:BYTE_0 src1_sel:DWORD
	v_ashrrev_i32_e32 v202, s21, v203
	v_lshlrev_b32_e32 v204, 2, v204
	v_or_b32_sdwa v206, v206, v207 dst_sel:DWORD dst_unused:UNUSED_PAD src0_sel:BYTE_0 src1_sel:DWORD
	v_and_b32_e32 v203, 0x3030303, v202
	v_bfe_u32 v202, v202, 24, 2
	v_and_b32_e32 v204, 0x4040404, v204
	v_or_b32_sdwa v201, v206, v201 dst_sel:DWORD dst_unused:UNUSED_PAD src0_sel:WORD_0 src1_sel:DWORD
	v_sub_u16_e32 v205, v203, v204
	v_sub_u16_sdwa v206, v203, v204 dst_sel:BYTE_1 dst_unused:UNUSED_PAD src0_sel:BYTE_1 src1_sel:BYTE_1
	v_sub_u16_sdwa v202, v202, v204 dst_sel:BYTE_1 dst_unused:UNUSED_PAD src0_sel:DWORD src1_sel:BYTE_3
	v_sub_u16_sdwa v203, v203, v204 dst_sel:DWORD dst_unused:UNUSED_PAD src0_sel:WORD_1 src1_sel:WORD_1
	v_or_b32_sdwa v205, v205, v206 dst_sel:DWORD dst_unused:UNUSED_PAD src0_sel:BYTE_0 src1_sel:DWORD
	v_or_b32_sdwa v202, v203, v202 dst_sel:WORD_1 dst_unused:UNUSED_PAD src0_sel:BYTE_0 src1_sel:DWORD
	v_add_u32_e32 v206, 0x4210, v208
	v_or_b32_sdwa v202, v205, v202 dst_sel:DWORD dst_unused:UNUSED_PAD src0_sel:WORD_0 src1_sel:DWORD
	ds_read2_b32 v[204:205], v119 offset0:4 offset1:5
	ds_read2_b32 v[206:207], v206 offset1:1
	s_waitcnt lgkmcnt(1)
	v_ashrrev_i32_e32 v203, s21, v204
	s_waitcnt lgkmcnt(0)
	v_ashrrev_i32_e32 v206, s18, v206
	v_lshlrev_b32_e32 v206, 2, v206
	v_and_b32_e32 v204, 0x3030303, v203
	v_bfe_u32 v203, v203, 24, 2
	v_and_b32_e32 v206, 0x4040404, v206
	v_sub_u16_e32 v209, v204, v206
	v_sub_u16_sdwa v210, v204, v206 dst_sel:BYTE_1 dst_unused:UNUSED_PAD src0_sel:BYTE_1 src1_sel:BYTE_1
	v_sub_u16_sdwa v203, v203, v206 dst_sel:BYTE_1 dst_unused:UNUSED_PAD src0_sel:DWORD src1_sel:BYTE_3
	v_sub_u16_sdwa v204, v204, v206 dst_sel:DWORD dst_unused:UNUSED_PAD src0_sel:WORD_1 src1_sel:WORD_1
	v_ashrrev_i32_e32 v206, s18, v207
	v_or_b32_sdwa v203, v204, v203 dst_sel:WORD_1 dst_unused:UNUSED_PAD src0_sel:BYTE_0 src1_sel:DWORD
	v_ashrrev_i32_e32 v204, s21, v205
	v_lshlrev_b32_e32 v206, 2, v206
	v_or_b32_sdwa v209, v209, v210 dst_sel:DWORD dst_unused:UNUSED_PAD src0_sel:BYTE_0 src1_sel:DWORD
	v_and_b32_e32 v205, 0x3030303, v204
	v_bfe_u32 v204, v204, 24, 2
	v_and_b32_e32 v206, 0x4040404, v206
	v_or_b32_sdwa v203, v209, v203 dst_sel:DWORD dst_unused:UNUSED_PAD src0_sel:WORD_0 src1_sel:DWORD
	v_sub_u16_e32 v207, v205, v206
	v_sub_u16_sdwa v209, v205, v206 dst_sel:BYTE_1 dst_unused:UNUSED_PAD src0_sel:BYTE_1 src1_sel:BYTE_1
	v_sub_u16_sdwa v204, v204, v206 dst_sel:BYTE_1 dst_unused:UNUSED_PAD src0_sel:DWORD src1_sel:BYTE_3
	v_sub_u16_sdwa v205, v205, v206 dst_sel:DWORD dst_unused:UNUSED_PAD src0_sel:WORD_1 src1_sel:WORD_1
	v_or_b32_sdwa v207, v207, v209 dst_sel:DWORD dst_unused:UNUSED_PAD src0_sel:BYTE_0 src1_sel:DWORD
	v_or_b32_sdwa v204, v205, v204 dst_sel:WORD_1 dst_unused:UNUSED_PAD src0_sel:BYTE_0 src1_sel:DWORD
	v_or_b32_sdwa v205, v207, v204 dst_sel:DWORD dst_unused:UNUSED_PAD src0_sel:WORD_0 src1_sel:DWORD
	ds_read2_b32 v[206:207], v119 offset0:6 offset1:7
	s_waitcnt lgkmcnt(0)
	v_ashrrev_i32_e32 v119, s21, v206
	v_add_u32_e32 v206, 0x4218, v208
	ds_read2_b32 v[208:209], v206 offset1:1
	v_and_b32_e32 v204, 0x3030303, v119
	v_bfe_u32 v119, v119, 24, 2
	s_waitcnt lgkmcnt(0)
	v_ashrrev_i32_e32 v206, s18, v208
	v_lshlrev_b32_e32 v206, 2, v206
	v_and_b32_e32 v206, 0x4040404, v206
	v_sub_u16_e32 v208, v204, v206
	v_sub_u16_sdwa v210, v204, v206 dst_sel:BYTE_1 dst_unused:UNUSED_PAD src0_sel:BYTE_1 src1_sel:BYTE_1
	v_sub_u16_sdwa v119, v119, v206 dst_sel:BYTE_1 dst_unused:UNUSED_PAD src0_sel:DWORD src1_sel:BYTE_3
	v_sub_u16_sdwa v204, v204, v206 dst_sel:DWORD dst_unused:UNUSED_PAD src0_sel:WORD_1 src1_sel:WORD_1
	v_or_b32_sdwa v208, v208, v210 dst_sel:DWORD dst_unused:UNUSED_PAD src0_sel:BYTE_0 src1_sel:DWORD
	v_or_b32_sdwa v119, v204, v119 dst_sel:WORD_1 dst_unused:UNUSED_PAD src0_sel:BYTE_0 src1_sel:DWORD
	v_or_b32_sdwa v206, v208, v119 dst_sel:DWORD dst_unused:UNUSED_PAD src0_sel:WORD_0 src1_sel:DWORD
	v_ashrrev_i32_e32 v119, s21, v207
	v_ashrrev_i32_e32 v207, s18, v209
	v_lshlrev_b32_e32 v207, 2, v207
	v_and_b32_e32 v204, 0x3030303, v119
	v_bfe_u32 v119, v119, 24, 2
	v_and_b32_e32 v207, 0x4040404, v207
	v_sub_u16_e32 v208, v204, v207
	v_sub_u16_sdwa v209, v204, v207 dst_sel:BYTE_1 dst_unused:UNUSED_PAD src0_sel:BYTE_1 src1_sel:BYTE_1
	v_sub_u16_sdwa v119, v119, v207 dst_sel:BYTE_1 dst_unused:UNUSED_PAD src0_sel:DWORD src1_sel:BYTE_3
	v_sub_u16_sdwa v204, v204, v207 dst_sel:DWORD dst_unused:UNUSED_PAD src0_sel:WORD_1 src1_sel:WORD_1
	v_or_b32_sdwa v208, v208, v209 dst_sel:DWORD dst_unused:UNUSED_PAD src0_sel:BYTE_0 src1_sel:DWORD
	v_or_b32_sdwa v119, v204, v119 dst_sel:WORD_1 dst_unused:UNUSED_PAD src0_sel:BYTE_0 src1_sel:DWORD
	v_or_b32_sdwa v207, v208, v119 dst_sel:DWORD dst_unused:UNUSED_PAD src0_sel:WORD_0 src1_sel:DWORD
	v_add_u32_e32 v119, s24, v136
	ds_read_b32 v204, v119
	v_mov_b32_e32 v119, 0
	v_dot4c_i32_i8_e32 v119, v198, v4
	ds_read_u16 v4, v118 offset:36594
	v_dot4c_i32_i8_e32 v119, v200, v5
	v_dot4c_i32_i8_e32 v119, v201, v6
	v_mov_b32_e32 v6, 0
	v_dot4c_i32_i8_e32 v6, v203, v0
	v_dot4c_i32_i8_e32 v6, v205, v1
	;; [unrolled: 1-line block ×3, first 2 shown]
	s_waitcnt lgkmcnt(0)
	v_lshrrev_b16_e32 v5, 8, v4
	v_bfe_i32 v208, v4, 0, 8
	v_dot4c_i32_i8_e32 v6, v206, v2
	v_mul_lo_u32 v4, v119, v208
	v_dot4c_i32_i8_e32 v6, v207, v3
	v_bfe_i32 v209, v5, 0, 8
	v_mov_b32_e32 v118, 0
	s_add_i32 s18, s18, 1
	v_mad_u64_u32 v[0:1], s[20:21], v6, v209, v[4:5]
	v_cvt_f32_i32_e32 v0, v0
	v_mul_f32_e32 v1, v116, v204
	v_mov_b32_e32 v116, 0
	s_cmp_lt_u32 s19, 30
	v_fmac_f32_e32 v75, v1, v0
	ds_read_b128 v[0:3], v164 offset:1024
	ds_read_b128 v[4:7], v164 offset:1040
	s_waitcnt lgkmcnt(1)
	v_dot4c_i32_i8_e32 v116, v166, v0
	v_dot4c_i32_i8_e32 v116, v167, v1
	s_waitcnt lgkmcnt(0)
	v_dot4c_i32_i8_e32 v118, v171, v4
	v_dot4c_i32_i8_e32 v116, v168, v2
	;; [unrolled: 1-line block ×6, first 2 shown]
	s_nop 0
	v_mul_lo_u32 v116, v116, v175
	s_nop 0
	v_mad_u64_u32 v[118:119], s[20:21], v118, v177, v[116:117]
	v_cvt_f32_i32_e32 v118, v118
	v_mul_f32_e32 v116, v170, v117
	v_fmac_f32_e32 v71, v116, v118
	v_mov_b32_e32 v116, 0
	v_dot4c_i32_i8_e32 v116, v176, v0
	v_mov_b32_e32 v118, 0
	v_dot4c_i32_i8_e32 v116, v178, v1
	v_dot4c_i32_i8_e32 v118, v181, v4
	;; [unrolled: 1-line block ×7, first 2 shown]
	s_nop 0
	v_mul_lo_u32 v116, v116, v186
	s_nop 0
	v_mad_u64_u32 v[118:119], s[20:21], v118, v188, v[116:117]
	v_cvt_f32_i32_e32 v118, v118
	v_mul_f32_e32 v116, v182, v117
	v_fmac_f32_e32 v69, v116, v118
	v_mov_b32_e32 v116, 0
	v_dot4c_i32_i8_e32 v116, v187, v0
	v_mov_b32_e32 v118, 0
	v_dot4c_i32_i8_e32 v116, v189, v1
	v_dot4c_i32_i8_e32 v118, v192, v4
	;; [unrolled: 1-line block ×7, first 2 shown]
	s_nop 0
	v_mul_lo_u32 v116, v116, v197
	s_nop 0
	v_mad_u64_u32 v[118:119], s[20:21], v118, v199, v[116:117]
	v_cvt_f32_i32_e32 v118, v118
	v_mul_f32_e32 v116, v193, v117
	v_mov_b32_e32 v119, 0
	v_fmac_f32_e32 v65, v116, v118
	v_mov_b32_e32 v116, 0
	v_dot4c_i32_i8_e32 v116, v198, v0
	v_dot4c_i32_i8_e32 v116, v200, v1
	v_mov_b32_e32 v1, 0
	v_dot4c_i32_i8_e32 v1, v203, v4
	v_dot4c_i32_i8_e32 v116, v201, v2
	;; [unrolled: 1-line block ×6, first 2 shown]
	v_mov_b32_e32 v118, 0
	v_mul_lo_u32 v0, v116, v208
	s_nop 0
	v_mad_u64_u32 v[0:1], s[20:21], v1, v209, v[0:1]
	v_cvt_f32_i32_e32 v0, v0
	v_mul_f32_e32 v1, v204, v117
	v_fmac_f32_e32 v61, v1, v0
	ds_read2_b32 v[116:117], v165 offset0:64 offset1:96
	ds_read_b128 v[0:3], v164 offset:2048
	ds_read_b128 v[4:7], v164 offset:2064
	s_waitcnt lgkmcnt(1)
	v_dot4c_i32_i8_e32 v118, v166, v0
	v_dot4c_i32_i8_e32 v118, v167, v1
	s_waitcnt lgkmcnt(0)
	v_dot4c_i32_i8_e32 v119, v171, v4
	v_dot4c_i32_i8_e32 v118, v168, v2
	;; [unrolled: 1-line block ×6, first 2 shown]
	s_nop 0
	v_mul_lo_u32 v118, v118, v175
	s_nop 0
	v_mad_u64_u32 v[118:119], s[20:21], v119, v177, v[118:119]
	v_cvt_f32_i32_e32 v118, v118
	v_mul_f32_e32 v119, v170, v116
	v_fmac_f32_e32 v59, v119, v118
	v_mov_b32_e32 v118, 0
	v_dot4c_i32_i8_e32 v118, v176, v0
	v_mov_b32_e32 v119, 0
	v_dot4c_i32_i8_e32 v118, v178, v1
	v_dot4c_i32_i8_e32 v119, v181, v4
	;; [unrolled: 1-line block ×7, first 2 shown]
	s_nop 0
	v_mul_lo_u32 v118, v118, v186
	s_nop 0
	v_mad_u64_u32 v[118:119], s[20:21], v119, v188, v[118:119]
	v_cvt_f32_i32_e32 v118, v118
	v_mul_f32_e32 v119, v182, v116
	v_fmac_f32_e32 v57, v119, v118
	v_mov_b32_e32 v118, 0
	v_dot4c_i32_i8_e32 v118, v187, v0
	v_mov_b32_e32 v119, 0
	v_dot4c_i32_i8_e32 v118, v189, v1
	v_dot4c_i32_i8_e32 v119, v192, v4
	;; [unrolled: 1-line block ×7, first 2 shown]
	s_nop 0
	v_mul_lo_u32 v118, v118, v197
	s_nop 0
	v_mad_u64_u32 v[118:119], s[20:21], v119, v199, v[118:119]
	v_cvt_f32_i32_e32 v118, v118
	v_mul_f32_e32 v119, v193, v116
	v_fmac_f32_e32 v55, v119, v118
	v_mov_b32_e32 v118, 0
	v_dot4c_i32_i8_e32 v118, v198, v0
	v_dot4c_i32_i8_e32 v118, v200, v1
	v_mov_b32_e32 v1, 0
	v_dot4c_i32_i8_e32 v1, v203, v4
	v_dot4c_i32_i8_e32 v118, v201, v2
	;; [unrolled: 1-line block ×6, first 2 shown]
	s_nop 0
	v_mul_lo_u32 v0, v118, v208
	v_mov_b32_e32 v118, 0
	v_mad_u64_u32 v[0:1], s[20:21], v1, v209, v[0:1]
	v_cvt_f32_i32_e32 v0, v0
	v_mul_f32_e32 v1, v204, v116
	v_mov_b32_e32 v116, 0
	v_fmac_f32_e32 v53, v1, v0
	ds_read_b128 v[0:3], v164 offset:3072
	ds_read_b128 v[4:7], v164 offset:3088
	s_waitcnt lgkmcnt(1)
	v_dot4c_i32_i8_e32 v116, v166, v0
	v_dot4c_i32_i8_e32 v116, v167, v1
	s_waitcnt lgkmcnt(0)
	v_dot4c_i32_i8_e32 v118, v171, v4
	v_dot4c_i32_i8_e32 v116, v168, v2
	;; [unrolled: 1-line block ×6, first 2 shown]
	s_nop 0
	v_mul_lo_u32 v116, v116, v175
	s_nop 0
	v_mad_u64_u32 v[118:119], s[20:21], v118, v177, v[116:117]
	v_cvt_f32_i32_e32 v118, v118
	v_mul_f32_e32 v116, v170, v117
	v_fmac_f32_e32 v51, v116, v118
	v_mov_b32_e32 v116, 0
	v_dot4c_i32_i8_e32 v116, v176, v0
	v_mov_b32_e32 v118, 0
	v_dot4c_i32_i8_e32 v116, v178, v1
	v_dot4c_i32_i8_e32 v118, v181, v4
	v_dot4c_i32_i8_e32 v116, v179, v2
	v_dot4c_i32_i8_e32 v118, v183, v5
	v_dot4c_i32_i8_e32 v116, v180, v3
	v_dot4c_i32_i8_e32 v118, v184, v6
	v_dot4c_i32_i8_e32 v118, v185, v7
	s_nop 0
	v_mul_lo_u32 v116, v116, v186
	s_nop 0
	v_mad_u64_u32 v[118:119], s[20:21], v118, v188, v[116:117]
	v_cvt_f32_i32_e32 v118, v118
	v_mul_f32_e32 v116, v182, v117
	v_fmac_f32_e32 v47, v116, v118
	v_mov_b32_e32 v116, 0
	v_dot4c_i32_i8_e32 v116, v187, v0
	v_mov_b32_e32 v118, 0
	v_dot4c_i32_i8_e32 v116, v189, v1
	v_dot4c_i32_i8_e32 v118, v192, v4
	v_dot4c_i32_i8_e32 v116, v190, v2
	v_dot4c_i32_i8_e32 v118, v194, v5
	v_dot4c_i32_i8_e32 v116, v191, v3
	v_dot4c_i32_i8_e32 v118, v195, v6
	v_dot4c_i32_i8_e32 v118, v196, v7
	s_nop 0
	v_mul_lo_u32 v116, v116, v197
	s_nop 0
	v_mad_u64_u32 v[118:119], s[20:21], v118, v199, v[116:117]
	v_cvt_f32_i32_e32 v118, v118
	v_mul_f32_e32 v116, v193, v117
	v_mov_b32_e32 v119, 0
	v_fmac_f32_e32 v43, v116, v118
	v_mov_b32_e32 v116, 0
	v_dot4c_i32_i8_e32 v116, v198, v0
	v_dot4c_i32_i8_e32 v116, v200, v1
	v_mov_b32_e32 v1, 0
	v_dot4c_i32_i8_e32 v1, v203, v4
	v_dot4c_i32_i8_e32 v116, v201, v2
	v_dot4c_i32_i8_e32 v1, v205, v5
	v_dot4c_i32_i8_e32 v116, v202, v3
	v_dot4c_i32_i8_e32 v1, v206, v6
	v_dot4c_i32_i8_e32 v1, v207, v7
	v_mov_b32_e32 v118, 0
	v_mul_lo_u32 v0, v116, v208
	s_nop 0
	v_mad_u64_u32 v[0:1], s[20:21], v1, v209, v[0:1]
	v_cvt_f32_i32_e32 v0, v0
	v_mul_f32_e32 v1, v204, v117
	v_fmac_f32_e32 v41, v1, v0
	ds_read2_b32 v[116:117], v165 offset0:128 offset1:160
	ds_read_b128 v[0:3], v164 offset:4096
	ds_read_b128 v[4:7], v164 offset:4112
	s_waitcnt lgkmcnt(1)
	v_dot4c_i32_i8_e32 v118, v166, v0
	v_dot4c_i32_i8_e32 v118, v167, v1
	s_waitcnt lgkmcnt(0)
	v_dot4c_i32_i8_e32 v119, v171, v4
	v_dot4c_i32_i8_e32 v118, v168, v2
	;; [unrolled: 1-line block ×6, first 2 shown]
	s_nop 0
	v_mul_lo_u32 v118, v118, v175
	s_nop 0
	v_mad_u64_u32 v[118:119], s[20:21], v119, v177, v[118:119]
	v_cvt_f32_i32_e32 v118, v118
	v_mul_f32_e32 v119, v170, v116
	v_fmac_f32_e32 v39, v119, v118
	v_mov_b32_e32 v118, 0
	v_dot4c_i32_i8_e32 v118, v176, v0
	v_mov_b32_e32 v119, 0
	v_dot4c_i32_i8_e32 v118, v178, v1
	v_dot4c_i32_i8_e32 v119, v181, v4
	;; [unrolled: 1-line block ×7, first 2 shown]
	s_nop 0
	v_mul_lo_u32 v118, v118, v186
	s_nop 0
	v_mad_u64_u32 v[118:119], s[20:21], v119, v188, v[118:119]
	v_cvt_f32_i32_e32 v118, v118
	v_mul_f32_e32 v119, v182, v116
	v_fmac_f32_e32 v37, v119, v118
	v_mov_b32_e32 v118, 0
	v_dot4c_i32_i8_e32 v118, v187, v0
	v_mov_b32_e32 v119, 0
	v_dot4c_i32_i8_e32 v118, v189, v1
	v_dot4c_i32_i8_e32 v119, v192, v4
	;; [unrolled: 1-line block ×7, first 2 shown]
	s_nop 0
	v_mul_lo_u32 v118, v118, v197
	s_nop 0
	v_mad_u64_u32 v[118:119], s[20:21], v119, v199, v[118:119]
	v_cvt_f32_i32_e32 v118, v118
	v_mul_f32_e32 v119, v193, v116
	v_fmac_f32_e32 v35, v119, v118
	v_mov_b32_e32 v118, 0
	v_dot4c_i32_i8_e32 v118, v198, v0
	v_dot4c_i32_i8_e32 v118, v200, v1
	v_mov_b32_e32 v1, 0
	v_dot4c_i32_i8_e32 v1, v203, v4
	v_dot4c_i32_i8_e32 v118, v201, v2
	;; [unrolled: 1-line block ×6, first 2 shown]
	s_nop 0
	v_mul_lo_u32 v0, v118, v208
	v_mov_b32_e32 v118, 0
	v_mad_u64_u32 v[0:1], s[20:21], v1, v209, v[0:1]
	v_cvt_f32_i32_e32 v0, v0
	v_mul_f32_e32 v1, v204, v116
	v_mov_b32_e32 v116, 0
	v_fmac_f32_e32 v33, v1, v0
	ds_read_b128 v[0:3], v164 offset:5120
	ds_read_b128 v[4:7], v164 offset:5136
	s_waitcnt lgkmcnt(1)
	v_dot4c_i32_i8_e32 v116, v166, v0
	v_dot4c_i32_i8_e32 v116, v167, v1
	s_waitcnt lgkmcnt(0)
	v_dot4c_i32_i8_e32 v118, v171, v4
	v_dot4c_i32_i8_e32 v116, v168, v2
	;; [unrolled: 1-line block ×6, first 2 shown]
	s_nop 0
	v_mul_lo_u32 v116, v116, v175
	s_nop 0
	v_mad_u64_u32 v[118:119], s[20:21], v118, v177, v[116:117]
	v_cvt_f32_i32_e32 v118, v118
	v_mul_f32_e32 v116, v170, v117
	v_fmac_f32_e32 v31, v116, v118
	v_mov_b32_e32 v116, 0
	v_dot4c_i32_i8_e32 v116, v176, v0
	v_mov_b32_e32 v118, 0
	v_dot4c_i32_i8_e32 v116, v178, v1
	v_dot4c_i32_i8_e32 v118, v181, v4
	;; [unrolled: 1-line block ×7, first 2 shown]
	s_nop 0
	v_mul_lo_u32 v116, v116, v186
	s_nop 0
	v_mad_u64_u32 v[118:119], s[20:21], v118, v188, v[116:117]
	v_cvt_f32_i32_e32 v118, v118
	v_mul_f32_e32 v116, v182, v117
	v_fmac_f32_e32 v29, v116, v118
	v_mov_b32_e32 v116, 0
	v_dot4c_i32_i8_e32 v116, v187, v0
	v_mov_b32_e32 v118, 0
	v_dot4c_i32_i8_e32 v116, v189, v1
	v_dot4c_i32_i8_e32 v118, v192, v4
	;; [unrolled: 1-line block ×7, first 2 shown]
	s_nop 0
	v_mul_lo_u32 v116, v116, v197
	s_nop 0
	v_mad_u64_u32 v[118:119], s[20:21], v118, v199, v[116:117]
	v_cvt_f32_i32_e32 v118, v118
	v_mul_f32_e32 v116, v193, v117
	v_mov_b32_e32 v119, 0
	v_fmac_f32_e32 v27, v116, v118
	v_mov_b32_e32 v116, 0
	v_dot4c_i32_i8_e32 v116, v198, v0
	v_dot4c_i32_i8_e32 v116, v200, v1
	v_mov_b32_e32 v1, 0
	v_dot4c_i32_i8_e32 v1, v203, v4
	v_dot4c_i32_i8_e32 v116, v201, v2
	;; [unrolled: 1-line block ×6, first 2 shown]
	v_mov_b32_e32 v118, 0
	v_mul_lo_u32 v0, v116, v208
	s_nop 0
	v_mad_u64_u32 v[0:1], s[20:21], v1, v209, v[0:1]
	v_cvt_f32_i32_e32 v0, v0
	v_mul_f32_e32 v1, v204, v117
	v_fmac_f32_e32 v25, v1, v0
	ds_read2_b32 v[116:117], v165 offset0:192 offset1:224
	ds_read_b128 v[4:7], v164 offset:6144
	ds_read_b128 v[0:3], v164 offset:6160
	v_add_u32_e32 v165, 4, v165
	s_waitcnt lgkmcnt(1)
	v_dot4c_i32_i8_e32 v118, v166, v4
	v_dot4c_i32_i8_e32 v118, v167, v5
	s_waitcnt lgkmcnt(0)
	v_dot4c_i32_i8_e32 v119, v171, v0
	v_dot4c_i32_i8_e32 v118, v168, v6
	v_dot4c_i32_i8_e32 v119, v172, v1
	v_dot4c_i32_i8_e32 v118, v169, v7
	v_dot4c_i32_i8_e32 v119, v173, v2
	v_dot4c_i32_i8_e32 v119, v174, v3
	s_nop 0
	v_mul_lo_u32 v118, v118, v175
	s_nop 0
	v_mad_u64_u32 v[118:119], s[20:21], v119, v177, v[118:119]
	v_cvt_f32_i32_e32 v118, v118
	v_mul_f32_e32 v119, v170, v116
	v_fmac_f32_e32 v23, v119, v118
	v_mov_b32_e32 v118, 0
	v_dot4c_i32_i8_e32 v118, v176, v4
	v_mov_b32_e32 v119, 0
	v_dot4c_i32_i8_e32 v118, v178, v5
	v_dot4c_i32_i8_e32 v119, v181, v0
	;; [unrolled: 1-line block ×7, first 2 shown]
	s_nop 0
	v_mul_lo_u32 v118, v118, v186
	s_nop 0
	v_mad_u64_u32 v[118:119], s[20:21], v119, v188, v[118:119]
	v_cvt_f32_i32_e32 v118, v118
	v_mul_f32_e32 v119, v182, v116
	v_fmac_f32_e32 v21, v119, v118
	v_mov_b32_e32 v118, 0
	v_dot4c_i32_i8_e32 v118, v187, v4
	v_mov_b32_e32 v119, 0
	v_dot4c_i32_i8_e32 v118, v189, v5
	v_dot4c_i32_i8_e32 v119, v192, v0
	;; [unrolled: 1-line block ×7, first 2 shown]
	s_nop 0
	v_mul_lo_u32 v118, v118, v197
	s_nop 0
	v_mad_u64_u32 v[118:119], s[20:21], v119, v199, v[118:119]
	v_cvt_f32_i32_e32 v118, v118
	v_mul_f32_e32 v119, v193, v116
	v_fmac_f32_e32 v19, v119, v118
	v_mov_b32_e32 v118, 0
	v_dot4c_i32_i8_e32 v118, v198, v4
	v_dot4c_i32_i8_e32 v118, v200, v5
	v_mov_b32_e32 v5, 0
	v_dot4c_i32_i8_e32 v5, v203, v0
	v_dot4c_i32_i8_e32 v118, v201, v6
	;; [unrolled: 1-line block ×6, first 2 shown]
	s_nop 0
	v_mul_lo_u32 v4, v118, v208
	v_mov_b32_e32 v118, 0
	v_mad_u64_u32 v[0:1], s[20:21], v5, v209, v[4:5]
	v_cvt_f32_i32_e32 v0, v0
	v_mul_f32_e32 v1, v204, v116
	v_mov_b32_e32 v116, 0
	v_fmac_f32_e32 v17, v1, v0
	ds_read_b128 v[0:3], v164 offset:7168
	ds_read_b128 v[4:7], v164 offset:7184
	v_add_u32_e32 v164, 32, v164
	s_waitcnt lgkmcnt(1)
	v_dot4c_i32_i8_e32 v116, v166, v0
	v_dot4c_i32_i8_e32 v116, v167, v1
	s_waitcnt lgkmcnt(0)
	v_dot4c_i32_i8_e32 v118, v171, v4
	v_dot4c_i32_i8_e32 v116, v168, v2
	;; [unrolled: 1-line block ×6, first 2 shown]
	s_nop 0
	v_mul_lo_u32 v116, v116, v175
	s_nop 0
	v_mad_u64_u32 v[118:119], s[20:21], v118, v177, v[116:117]
	v_cvt_f32_i32_e32 v118, v118
	v_mul_f32_e32 v116, v170, v117
	v_fmac_f32_e32 v15, v116, v118
	v_mov_b32_e32 v116, 0
	v_dot4c_i32_i8_e32 v116, v176, v0
	v_mov_b32_e32 v118, 0
	v_dot4c_i32_i8_e32 v116, v178, v1
	v_dot4c_i32_i8_e32 v118, v181, v4
	;; [unrolled: 1-line block ×7, first 2 shown]
	s_nop 0
	v_mul_lo_u32 v116, v116, v186
	s_nop 0
	v_mad_u64_u32 v[118:119], s[20:21], v118, v188, v[116:117]
	v_cvt_f32_i32_e32 v118, v118
	v_mul_f32_e32 v116, v182, v117
	v_fmac_f32_e32 v13, v116, v118
	v_mov_b32_e32 v116, 0
	v_dot4c_i32_i8_e32 v116, v187, v0
	v_mov_b32_e32 v118, 0
	v_dot4c_i32_i8_e32 v116, v189, v1
	v_dot4c_i32_i8_e32 v118, v192, v4
	;; [unrolled: 1-line block ×7, first 2 shown]
	s_nop 0
	v_mul_lo_u32 v116, v116, v197
	s_nop 0
	v_mad_u64_u32 v[118:119], s[20:21], v118, v199, v[116:117]
	v_cvt_f32_i32_e32 v118, v118
	v_mul_f32_e32 v116, v193, v117
	v_fmac_f32_e32 v11, v116, v118
	v_mov_b32_e32 v116, 0
	v_dot4c_i32_i8_e32 v116, v198, v0
	v_dot4c_i32_i8_e32 v116, v200, v1
	v_mov_b32_e32 v1, 0
	v_dot4c_i32_i8_e32 v1, v203, v4
	v_dot4c_i32_i8_e32 v116, v201, v2
	;; [unrolled: 1-line block ×6, first 2 shown]
	s_nop 0
	v_mul_lo_u32 v0, v116, v208
	s_nop 0
	v_mad_u64_u32 v[0:1], s[20:21], v1, v209, v[0:1]
	v_cvt_f32_i32_e32 v0, v0
	v_mul_f32_e32 v1, v204, v117
	s_mov_b32 s20, s19
	v_fmac_f32_e32 v9, v1, v0
	s_cbranch_scc1 .LBB170_14
; %bb.15:                               ;   in Loop: Header=BB170_6 Depth=1
	s_barrier
	s_branch .LBB170_5
.LBB170_16:
	v_mov_b32_e32 v1, v49
.LBB170_17:
	v_cmp_gt_u32_e32 vcc, s10, v67
	s_and_saveexec_b64 s[0:1], vcc
	s_cbranch_execz .LBB170_68
; %bb.18:
	v_add_u32_e32 v0, s6, v45
	v_mul_lo_u32 v5, v67, s14
	v_cmp_gt_u32_e32 vcc, s14, v0
	s_and_saveexec_b64 s[2:3], vcc
	s_cbranch_execz .LBB170_20
; %bb.19:
	v_bfe_u32 v2, v97, 16, 1
	s_movk_i32 s0, 0x7fff
	v_add3_u32 v2, v97, v2, s0
	v_lshrrev_b32_e32 v2, 16, v2
	v_mov_b32_e32 v3, 0x7fc0
	v_cmp_o_f32_e64 s[0:1], v97, v97
	v_cndmask_b32_e64 v4, v3, v2, s[0:1]
	v_add_u32_e32 v2, v0, v5
	v_mov_b32_e32 v3, 0
	v_lshlrev_b64 v[2:3], 1, v[2:3]
	s_waitcnt lgkmcnt(0)
	v_mov_b32_e32 v6, s13
	v_add_co_u32_e64 v2, s[0:1], s12, v2
	v_addc_co_u32_e64 v3, s[0:1], v6, v3, s[0:1]
	global_store_short v[2:3], v4, off
.LBB170_20:
	s_or_b64 exec, exec, s[2:3]
	v_add_u32_e32 v2, 32, v0
	v_cmp_gt_u32_e64 s[0:1], s14, v2
	s_and_saveexec_b64 s[4:5], s[0:1]
	s_cbranch_execz .LBB170_22
; %bb.21:
	v_bfe_u32 v3, v83, 16, 1
	s_movk_i32 s2, 0x7fff
	v_add3_u32 v3, v83, v3, s2
	v_add_u32_e32 v6, v2, v5
	v_mov_b32_e32 v7, 0
	v_lshrrev_b32_e32 v3, 16, v3
	v_mov_b32_e32 v4, 0x7fc0
	v_cmp_o_f32_e64 s[2:3], v83, v83
	v_lshlrev_b64 v[6:7], 1, v[6:7]
	v_cndmask_b32_e64 v3, v4, v3, s[2:3]
	s_waitcnt lgkmcnt(0)
	v_mov_b32_e32 v4, s13
	v_add_co_u32_e64 v6, s[2:3], s12, v6
	v_addc_co_u32_e64 v7, s[2:3], v4, v7, s[2:3]
	global_store_short v[6:7], v3, off
.LBB170_22:
	s_or_b64 exec, exec, s[4:5]
	v_add_u32_e32 v3, 64, v0
	v_cmp_gt_u32_e64 s[2:3], s14, v3
	s_and_saveexec_b64 s[6:7], s[2:3]
	s_cbranch_execz .LBB170_24
; %bb.23:
	v_bfe_u32 v4, v81, 16, 1
	s_movk_i32 s4, 0x7fff
	v_add3_u32 v4, v81, v4, s4
	v_lshrrev_b32_e32 v4, 16, v4
	v_mov_b32_e32 v6, 0x7fc0
	v_cmp_o_f32_e64 s[4:5], v81, v81
	v_cndmask_b32_e64 v4, v6, v4, s[4:5]
	v_add_u32_e32 v6, v3, v5
	v_mov_b32_e32 v7, 0
	v_lshlrev_b64 v[6:7], 1, v[6:7]
	s_waitcnt lgkmcnt(0)
	v_mov_b32_e32 v8, s13
	v_add_co_u32_e64 v6, s[4:5], s12, v6
	v_addc_co_u32_e64 v7, s[4:5], v8, v7, s[4:5]
	global_store_short v[6:7], v4, off
.LBB170_24:
	s_or_b64 exec, exec, s[6:7]
	v_add_u32_e32 v4, 0x60, v0
	v_cmp_gt_u32_e64 s[4:5], s14, v4
	s_and_saveexec_b64 s[8:9], s[4:5]
	s_cbranch_execz .LBB170_26
; %bb.25:
	v_bfe_u32 v6, v75, 16, 1
	s_movk_i32 s6, 0x7fff
	v_add3_u32 v6, v75, v6, s6
	v_lshrrev_b32_e32 v6, 16, v6
	v_mov_b32_e32 v7, 0x7fc0
	v_cmp_o_f32_e64 s[6:7], v75, v75
	v_cndmask_b32_e64 v8, v7, v6, s[6:7]
	v_add_u32_e32 v6, v4, v5
	v_mov_b32_e32 v7, 0
	v_lshlrev_b64 v[6:7], 1, v[6:7]
	s_waitcnt lgkmcnt(0)
	v_mov_b32_e32 v5, s13
	v_add_co_u32_e64 v6, s[6:7], s12, v6
	v_addc_co_u32_e64 v7, s[6:7], v5, v7, s[6:7]
	global_store_short v[6:7], v8, off
.LBB170_26:
	s_or_b64 exec, exec, s[8:9]
	v_add3_u32 v5, v1, s15, 8
	v_cmp_gt_u32_e64 s[6:7], s10, v5
	s_and_b64 exec, exec, s[6:7]
	s_cbranch_execz .LBB170_68
; %bb.27:
	v_mul_lo_u32 v5, v5, s14
	s_and_saveexec_b64 s[8:9], vcc
	s_cbranch_execnz .LBB170_69
; %bb.28:
	s_or_b64 exec, exec, s[8:9]
	s_and_saveexec_b64 s[8:9], s[0:1]
	s_cbranch_execnz .LBB170_70
.LBB170_29:
	s_or_b64 exec, exec, s[8:9]
	s_and_saveexec_b64 s[8:9], s[2:3]
	s_cbranch_execnz .LBB170_71
.LBB170_30:
	s_or_b64 exec, exec, s[8:9]
	s_and_saveexec_b64 s[8:9], s[4:5]
	s_cbranch_execz .LBB170_32
.LBB170_31:
	v_bfe_u32 v6, v61, 16, 1
	s_movk_i32 s6, 0x7fff
	v_add3_u32 v6, v61, v6, s6
	v_lshrrev_b32_e32 v6, 16, v6
	v_mov_b32_e32 v7, 0x7fc0
	v_cmp_o_f32_e64 s[6:7], v61, v61
	v_cndmask_b32_e64 v8, v7, v6, s[6:7]
	v_add_u32_e32 v6, v5, v4
	v_mov_b32_e32 v7, 0
	v_lshlrev_b64 v[6:7], 1, v[6:7]
	s_waitcnt lgkmcnt(0)
	v_mov_b32_e32 v5, s13
	v_add_co_u32_e64 v6, s[6:7], s12, v6
	v_addc_co_u32_e64 v7, s[6:7], v5, v7, s[6:7]
	global_store_short v[6:7], v8, off
.LBB170_32:
	s_or_b64 exec, exec, s[8:9]
	v_add3_u32 v5, v1, s15, 16
	v_cmp_gt_u32_e64 s[6:7], s10, v5
	s_and_b64 exec, exec, s[6:7]
	s_cbranch_execz .LBB170_68
; %bb.33:
	v_mul_lo_u32 v5, v5, s14
	s_and_saveexec_b64 s[8:9], vcc
	s_cbranch_execnz .LBB170_72
; %bb.34:
	s_or_b64 exec, exec, s[8:9]
	s_and_saveexec_b64 s[8:9], s[0:1]
	s_cbranch_execnz .LBB170_73
.LBB170_35:
	s_or_b64 exec, exec, s[8:9]
	s_and_saveexec_b64 s[8:9], s[2:3]
	s_cbranch_execnz .LBB170_74
.LBB170_36:
	s_or_b64 exec, exec, s[8:9]
	s_and_saveexec_b64 s[8:9], s[4:5]
	s_cbranch_execz .LBB170_38
.LBB170_37:
	v_bfe_u32 v6, v53, 16, 1
	s_movk_i32 s6, 0x7fff
	v_add3_u32 v6, v53, v6, s6
	v_lshrrev_b32_e32 v6, 16, v6
	v_mov_b32_e32 v7, 0x7fc0
	v_cmp_o_f32_e64 s[6:7], v53, v53
	v_cndmask_b32_e64 v8, v7, v6, s[6:7]
	v_add_u32_e32 v6, v5, v4
	v_mov_b32_e32 v7, 0
	v_lshlrev_b64 v[6:7], 1, v[6:7]
	s_waitcnt lgkmcnt(0)
	v_mov_b32_e32 v5, s13
	v_add_co_u32_e64 v6, s[6:7], s12, v6
	v_addc_co_u32_e64 v7, s[6:7], v5, v7, s[6:7]
	global_store_short v[6:7], v8, off
.LBB170_38:
	s_or_b64 exec, exec, s[8:9]
	v_add3_u32 v5, v1, s15, 24
	v_cmp_gt_u32_e64 s[6:7], s10, v5
	s_and_b64 exec, exec, s[6:7]
	s_cbranch_execz .LBB170_68
; %bb.39:
	v_mul_lo_u32 v5, v5, s14
	s_and_saveexec_b64 s[8:9], vcc
	s_cbranch_execnz .LBB170_75
; %bb.40:
	s_or_b64 exec, exec, s[8:9]
	s_and_saveexec_b64 s[8:9], s[0:1]
	s_cbranch_execnz .LBB170_76
.LBB170_41:
	s_or_b64 exec, exec, s[8:9]
	s_and_saveexec_b64 s[8:9], s[2:3]
	s_cbranch_execnz .LBB170_77
.LBB170_42:
	s_or_b64 exec, exec, s[8:9]
	s_and_saveexec_b64 s[8:9], s[4:5]
	s_cbranch_execz .LBB170_44
.LBB170_43:
	v_bfe_u32 v6, v41, 16, 1
	s_movk_i32 s6, 0x7fff
	v_add3_u32 v6, v41, v6, s6
	v_lshrrev_b32_e32 v6, 16, v6
	v_mov_b32_e32 v7, 0x7fc0
	v_cmp_o_f32_e64 s[6:7], v41, v41
	v_cndmask_b32_e64 v8, v7, v6, s[6:7]
	v_add_u32_e32 v6, v5, v4
	v_mov_b32_e32 v7, 0
	v_lshlrev_b64 v[6:7], 1, v[6:7]
	s_waitcnt lgkmcnt(0)
	v_mov_b32_e32 v5, s13
	v_add_co_u32_e64 v6, s[6:7], s12, v6
	v_addc_co_u32_e64 v7, s[6:7], v5, v7, s[6:7]
	global_store_short v[6:7], v8, off
.LBB170_44:
	s_or_b64 exec, exec, s[8:9]
	v_add3_u32 v5, v1, s15, 32
	v_cmp_gt_u32_e64 s[6:7], s10, v5
	s_and_b64 exec, exec, s[6:7]
	s_cbranch_execz .LBB170_68
; %bb.45:
	v_mul_lo_u32 v5, v5, s14
	s_and_saveexec_b64 s[8:9], vcc
	s_cbranch_execnz .LBB170_78
; %bb.46:
	s_or_b64 exec, exec, s[8:9]
	s_and_saveexec_b64 s[8:9], s[0:1]
	s_cbranch_execnz .LBB170_79
.LBB170_47:
	s_or_b64 exec, exec, s[8:9]
	s_and_saveexec_b64 s[8:9], s[2:3]
	s_cbranch_execnz .LBB170_80
.LBB170_48:
	s_or_b64 exec, exec, s[8:9]
	s_and_saveexec_b64 s[8:9], s[4:5]
	s_cbranch_execz .LBB170_50
.LBB170_49:
	v_bfe_u32 v6, v33, 16, 1
	s_movk_i32 s6, 0x7fff
	v_add3_u32 v6, v33, v6, s6
	v_lshrrev_b32_e32 v6, 16, v6
	v_mov_b32_e32 v7, 0x7fc0
	v_cmp_o_f32_e64 s[6:7], v33, v33
	v_cndmask_b32_e64 v8, v7, v6, s[6:7]
	v_add_u32_e32 v6, v5, v4
	v_mov_b32_e32 v7, 0
	v_lshlrev_b64 v[6:7], 1, v[6:7]
	s_waitcnt lgkmcnt(0)
	v_mov_b32_e32 v5, s13
	v_add_co_u32_e64 v6, s[6:7], s12, v6
	v_addc_co_u32_e64 v7, s[6:7], v5, v7, s[6:7]
	global_store_short v[6:7], v8, off
.LBB170_50:
	s_or_b64 exec, exec, s[8:9]
	v_add3_u32 v5, v1, s15, 40
	v_cmp_gt_u32_e64 s[6:7], s10, v5
	s_and_b64 exec, exec, s[6:7]
	s_cbranch_execz .LBB170_68
; %bb.51:
	v_mul_lo_u32 v5, v5, s14
	s_and_saveexec_b64 s[8:9], vcc
	s_cbranch_execnz .LBB170_81
; %bb.52:
	s_or_b64 exec, exec, s[8:9]
	s_and_saveexec_b64 s[8:9], s[0:1]
	s_cbranch_execnz .LBB170_82
.LBB170_53:
	s_or_b64 exec, exec, s[8:9]
	s_and_saveexec_b64 s[8:9], s[2:3]
	s_cbranch_execnz .LBB170_83
.LBB170_54:
	s_or_b64 exec, exec, s[8:9]
	s_and_saveexec_b64 s[8:9], s[4:5]
	s_cbranch_execz .LBB170_56
.LBB170_55:
	v_bfe_u32 v6, v25, 16, 1
	s_movk_i32 s6, 0x7fff
	v_add3_u32 v6, v25, v6, s6
	v_lshrrev_b32_e32 v6, 16, v6
	v_mov_b32_e32 v7, 0x7fc0
	v_cmp_o_f32_e64 s[6:7], v25, v25
	v_cndmask_b32_e64 v8, v7, v6, s[6:7]
	v_add_u32_e32 v6, v5, v4
	v_mov_b32_e32 v7, 0
	v_lshlrev_b64 v[6:7], 1, v[6:7]
	s_waitcnt lgkmcnt(0)
	v_mov_b32_e32 v5, s13
	v_add_co_u32_e64 v6, s[6:7], s12, v6
	v_addc_co_u32_e64 v7, s[6:7], v5, v7, s[6:7]
	global_store_short v[6:7], v8, off
.LBB170_56:
	s_or_b64 exec, exec, s[8:9]
	v_add3_u32 v5, v1, s15, 48
	v_cmp_gt_u32_e64 s[6:7], s10, v5
	s_and_b64 exec, exec, s[6:7]
	s_cbranch_execz .LBB170_68
; %bb.57:
	v_mul_lo_u32 v5, v5, s14
	s_and_saveexec_b64 s[8:9], vcc
	s_cbranch_execnz .LBB170_84
; %bb.58:
	s_or_b64 exec, exec, s[8:9]
	s_and_saveexec_b64 s[8:9], s[0:1]
	s_cbranch_execnz .LBB170_85
.LBB170_59:
	s_or_b64 exec, exec, s[8:9]
	s_and_saveexec_b64 s[8:9], s[2:3]
	s_cbranch_execnz .LBB170_86
.LBB170_60:
	s_or_b64 exec, exec, s[8:9]
	s_and_saveexec_b64 s[8:9], s[4:5]
	s_cbranch_execz .LBB170_62
.LBB170_61:
	v_bfe_u32 v6, v17, 16, 1
	s_movk_i32 s6, 0x7fff
	v_add3_u32 v6, v17, v6, s6
	v_lshrrev_b32_e32 v6, 16, v6
	v_mov_b32_e32 v7, 0x7fc0
	v_cmp_o_f32_e64 s[6:7], v17, v17
	v_cndmask_b32_e64 v8, v7, v6, s[6:7]
	v_add_u32_e32 v6, v5, v4
	v_mov_b32_e32 v7, 0
	v_lshlrev_b64 v[6:7], 1, v[6:7]
	s_waitcnt lgkmcnt(0)
	v_mov_b32_e32 v5, s13
	v_add_co_u32_e64 v6, s[6:7], s12, v6
	v_addc_co_u32_e64 v7, s[6:7], v5, v7, s[6:7]
	global_store_short v[6:7], v8, off
.LBB170_62:
	s_or_b64 exec, exec, s[8:9]
	v_add3_u32 v1, v1, s15, 56
	v_cmp_gt_u32_e64 s[6:7], s10, v1
	s_and_b64 exec, exec, s[6:7]
	s_cbranch_execz .LBB170_68
; %bb.63:
	v_mul_lo_u32 v1, v1, s14
	s_and_saveexec_b64 s[6:7], vcc
	s_cbranch_execnz .LBB170_87
; %bb.64:
	s_or_b64 exec, exec, s[6:7]
	s_and_saveexec_b64 s[6:7], s[0:1]
	s_cbranch_execnz .LBB170_88
.LBB170_65:
	s_or_b64 exec, exec, s[6:7]
	s_and_saveexec_b64 s[0:1], s[2:3]
	s_cbranch_execnz .LBB170_89
.LBB170_66:
	s_or_b64 exec, exec, s[0:1]
	s_and_b64 exec, exec, s[4:5]
	s_cbranch_execz .LBB170_68
.LBB170_67:
	v_bfe_u32 v0, v9, 16, 1
	s_movk_i32 s0, 0x7fff
	v_add3_u32 v0, v9, v0, s0
	v_lshrrev_b32_e32 v0, 16, v0
	v_mov_b32_e32 v2, 0x7fc0
	v_cmp_o_f32_e32 vcc, v9, v9
	v_cndmask_b32_e32 v2, v2, v0, vcc
	v_add_u32_e32 v0, v1, v4
	v_mov_b32_e32 v1, 0
	v_lshlrev_b64 v[0:1], 1, v[0:1]
	s_waitcnt lgkmcnt(0)
	v_mov_b32_e32 v3, s13
	v_add_co_u32_e32 v0, vcc, s12, v0
	v_addc_co_u32_e32 v1, vcc, v3, v1, vcc
	global_store_short v[0:1], v2, off
.LBB170_68:
	s_endpgm
.LBB170_69:
	v_bfe_u32 v6, v71, 16, 1
	s_movk_i32 s6, 0x7fff
	v_add3_u32 v6, v71, v6, s6
	v_lshrrev_b32_e32 v6, 16, v6
	v_mov_b32_e32 v7, 0x7fc0
	v_cmp_o_f32_e64 s[6:7], v71, v71
	v_cndmask_b32_e64 v8, v7, v6, s[6:7]
	v_add_u32_e32 v6, v5, v0
	v_mov_b32_e32 v7, 0
	v_lshlrev_b64 v[6:7], 1, v[6:7]
	s_waitcnt lgkmcnt(0)
	v_mov_b32_e32 v10, s13
	v_add_co_u32_e64 v6, s[6:7], s12, v6
	v_addc_co_u32_e64 v7, s[6:7], v10, v7, s[6:7]
	global_store_short v[6:7], v8, off
	s_or_b64 exec, exec, s[8:9]
	s_and_saveexec_b64 s[8:9], s[0:1]
	s_cbranch_execz .LBB170_29
.LBB170_70:
	v_bfe_u32 v6, v69, 16, 1
	s_movk_i32 s6, 0x7fff
	v_add3_u32 v6, v69, v6, s6
	v_lshrrev_b32_e32 v6, 16, v6
	v_mov_b32_e32 v7, 0x7fc0
	v_cmp_o_f32_e64 s[6:7], v69, v69
	v_cndmask_b32_e64 v8, v7, v6, s[6:7]
	v_add_u32_e32 v6, v5, v2
	v_mov_b32_e32 v7, 0
	v_lshlrev_b64 v[6:7], 1, v[6:7]
	s_waitcnt lgkmcnt(0)
	v_mov_b32_e32 v10, s13
	v_add_co_u32_e64 v6, s[6:7], s12, v6
	v_addc_co_u32_e64 v7, s[6:7], v10, v7, s[6:7]
	global_store_short v[6:7], v8, off
	s_or_b64 exec, exec, s[8:9]
	s_and_saveexec_b64 s[8:9], s[2:3]
	s_cbranch_execz .LBB170_30
.LBB170_71:
	v_bfe_u32 v6, v65, 16, 1
	s_movk_i32 s6, 0x7fff
	v_add3_u32 v6, v65, v6, s6
	v_lshrrev_b32_e32 v6, 16, v6
	v_mov_b32_e32 v7, 0x7fc0
	v_cmp_o_f32_e64 s[6:7], v65, v65
	v_cndmask_b32_e64 v8, v7, v6, s[6:7]
	v_add_u32_e32 v6, v5, v3
	v_mov_b32_e32 v7, 0
	v_lshlrev_b64 v[6:7], 1, v[6:7]
	s_waitcnt lgkmcnt(0)
	v_mov_b32_e32 v10, s13
	v_add_co_u32_e64 v6, s[6:7], s12, v6
	v_addc_co_u32_e64 v7, s[6:7], v10, v7, s[6:7]
	global_store_short v[6:7], v8, off
	s_or_b64 exec, exec, s[8:9]
	s_and_saveexec_b64 s[8:9], s[4:5]
	s_cbranch_execnz .LBB170_31
	s_branch .LBB170_32
.LBB170_72:
	v_bfe_u32 v6, v59, 16, 1
	s_movk_i32 s6, 0x7fff
	v_add3_u32 v6, v59, v6, s6
	v_lshrrev_b32_e32 v6, 16, v6
	v_mov_b32_e32 v7, 0x7fc0
	v_cmp_o_f32_e64 s[6:7], v59, v59
	v_cndmask_b32_e64 v8, v7, v6, s[6:7]
	v_add_u32_e32 v6, v5, v0
	v_mov_b32_e32 v7, 0
	v_lshlrev_b64 v[6:7], 1, v[6:7]
	s_waitcnt lgkmcnt(0)
	v_mov_b32_e32 v10, s13
	v_add_co_u32_e64 v6, s[6:7], s12, v6
	v_addc_co_u32_e64 v7, s[6:7], v10, v7, s[6:7]
	global_store_short v[6:7], v8, off
	s_or_b64 exec, exec, s[8:9]
	s_and_saveexec_b64 s[8:9], s[0:1]
	s_cbranch_execz .LBB170_35
.LBB170_73:
	v_bfe_u32 v6, v57, 16, 1
	s_movk_i32 s6, 0x7fff
	v_add3_u32 v6, v57, v6, s6
	v_lshrrev_b32_e32 v6, 16, v6
	v_mov_b32_e32 v7, 0x7fc0
	v_cmp_o_f32_e64 s[6:7], v57, v57
	v_cndmask_b32_e64 v8, v7, v6, s[6:7]
	v_add_u32_e32 v6, v5, v2
	v_mov_b32_e32 v7, 0
	v_lshlrev_b64 v[6:7], 1, v[6:7]
	s_waitcnt lgkmcnt(0)
	v_mov_b32_e32 v10, s13
	v_add_co_u32_e64 v6, s[6:7], s12, v6
	v_addc_co_u32_e64 v7, s[6:7], v10, v7, s[6:7]
	global_store_short v[6:7], v8, off
	s_or_b64 exec, exec, s[8:9]
	s_and_saveexec_b64 s[8:9], s[2:3]
	s_cbranch_execz .LBB170_36
.LBB170_74:
	v_bfe_u32 v6, v55, 16, 1
	s_movk_i32 s6, 0x7fff
	v_add3_u32 v6, v55, v6, s6
	v_lshrrev_b32_e32 v6, 16, v6
	v_mov_b32_e32 v7, 0x7fc0
	v_cmp_o_f32_e64 s[6:7], v55, v55
	v_cndmask_b32_e64 v8, v7, v6, s[6:7]
	v_add_u32_e32 v6, v5, v3
	v_mov_b32_e32 v7, 0
	v_lshlrev_b64 v[6:7], 1, v[6:7]
	s_waitcnt lgkmcnt(0)
	v_mov_b32_e32 v10, s13
	v_add_co_u32_e64 v6, s[6:7], s12, v6
	v_addc_co_u32_e64 v7, s[6:7], v10, v7, s[6:7]
	global_store_short v[6:7], v8, off
	s_or_b64 exec, exec, s[8:9]
	s_and_saveexec_b64 s[8:9], s[4:5]
	s_cbranch_execnz .LBB170_37
	s_branch .LBB170_38
.LBB170_75:
	v_bfe_u32 v6, v51, 16, 1
	s_movk_i32 s6, 0x7fff
	v_add3_u32 v6, v51, v6, s6
	v_lshrrev_b32_e32 v6, 16, v6
	v_mov_b32_e32 v7, 0x7fc0
	v_cmp_o_f32_e64 s[6:7], v51, v51
	v_cndmask_b32_e64 v8, v7, v6, s[6:7]
	v_add_u32_e32 v6, v5, v0
	v_mov_b32_e32 v7, 0
	v_lshlrev_b64 v[6:7], 1, v[6:7]
	s_waitcnt lgkmcnt(0)
	v_mov_b32_e32 v10, s13
	v_add_co_u32_e64 v6, s[6:7], s12, v6
	v_addc_co_u32_e64 v7, s[6:7], v10, v7, s[6:7]
	global_store_short v[6:7], v8, off
	s_or_b64 exec, exec, s[8:9]
	s_and_saveexec_b64 s[8:9], s[0:1]
	s_cbranch_execz .LBB170_41
.LBB170_76:
	v_bfe_u32 v6, v47, 16, 1
	s_movk_i32 s6, 0x7fff
	v_add3_u32 v6, v47, v6, s6
	v_lshrrev_b32_e32 v6, 16, v6
	v_mov_b32_e32 v7, 0x7fc0
	v_cmp_o_f32_e64 s[6:7], v47, v47
	v_cndmask_b32_e64 v8, v7, v6, s[6:7]
	v_add_u32_e32 v6, v5, v2
	v_mov_b32_e32 v7, 0
	v_lshlrev_b64 v[6:7], 1, v[6:7]
	s_waitcnt lgkmcnt(0)
	v_mov_b32_e32 v10, s13
	v_add_co_u32_e64 v6, s[6:7], s12, v6
	v_addc_co_u32_e64 v7, s[6:7], v10, v7, s[6:7]
	global_store_short v[6:7], v8, off
	s_or_b64 exec, exec, s[8:9]
	s_and_saveexec_b64 s[8:9], s[2:3]
	s_cbranch_execz .LBB170_42
.LBB170_77:
	v_bfe_u32 v6, v43, 16, 1
	s_movk_i32 s6, 0x7fff
	v_add3_u32 v6, v43, v6, s6
	v_lshrrev_b32_e32 v6, 16, v6
	v_mov_b32_e32 v7, 0x7fc0
	v_cmp_o_f32_e64 s[6:7], v43, v43
	v_cndmask_b32_e64 v8, v7, v6, s[6:7]
	v_add_u32_e32 v6, v5, v3
	v_mov_b32_e32 v7, 0
	v_lshlrev_b64 v[6:7], 1, v[6:7]
	s_waitcnt lgkmcnt(0)
	v_mov_b32_e32 v10, s13
	v_add_co_u32_e64 v6, s[6:7], s12, v6
	v_addc_co_u32_e64 v7, s[6:7], v10, v7, s[6:7]
	global_store_short v[6:7], v8, off
	s_or_b64 exec, exec, s[8:9]
	s_and_saveexec_b64 s[8:9], s[4:5]
	s_cbranch_execnz .LBB170_43
	s_branch .LBB170_44
.LBB170_78:
	v_bfe_u32 v6, v39, 16, 1
	s_movk_i32 s6, 0x7fff
	v_add3_u32 v6, v39, v6, s6
	v_lshrrev_b32_e32 v6, 16, v6
	v_mov_b32_e32 v7, 0x7fc0
	v_cmp_o_f32_e64 s[6:7], v39, v39
	v_cndmask_b32_e64 v8, v7, v6, s[6:7]
	v_add_u32_e32 v6, v5, v0
	v_mov_b32_e32 v7, 0
	v_lshlrev_b64 v[6:7], 1, v[6:7]
	s_waitcnt lgkmcnt(0)
	v_mov_b32_e32 v10, s13
	v_add_co_u32_e64 v6, s[6:7], s12, v6
	v_addc_co_u32_e64 v7, s[6:7], v10, v7, s[6:7]
	global_store_short v[6:7], v8, off
	s_or_b64 exec, exec, s[8:9]
	s_and_saveexec_b64 s[8:9], s[0:1]
	s_cbranch_execz .LBB170_47
.LBB170_79:
	v_bfe_u32 v6, v37, 16, 1
	s_movk_i32 s6, 0x7fff
	v_add3_u32 v6, v37, v6, s6
	v_lshrrev_b32_e32 v6, 16, v6
	v_mov_b32_e32 v7, 0x7fc0
	v_cmp_o_f32_e64 s[6:7], v37, v37
	v_cndmask_b32_e64 v8, v7, v6, s[6:7]
	v_add_u32_e32 v6, v5, v2
	v_mov_b32_e32 v7, 0
	v_lshlrev_b64 v[6:7], 1, v[6:7]
	s_waitcnt lgkmcnt(0)
	v_mov_b32_e32 v10, s13
	v_add_co_u32_e64 v6, s[6:7], s12, v6
	v_addc_co_u32_e64 v7, s[6:7], v10, v7, s[6:7]
	global_store_short v[6:7], v8, off
	s_or_b64 exec, exec, s[8:9]
	s_and_saveexec_b64 s[8:9], s[2:3]
	s_cbranch_execz .LBB170_48
.LBB170_80:
	v_bfe_u32 v6, v35, 16, 1
	s_movk_i32 s6, 0x7fff
	v_add3_u32 v6, v35, v6, s6
	v_lshrrev_b32_e32 v6, 16, v6
	v_mov_b32_e32 v7, 0x7fc0
	v_cmp_o_f32_e64 s[6:7], v35, v35
	v_cndmask_b32_e64 v8, v7, v6, s[6:7]
	v_add_u32_e32 v6, v5, v3
	v_mov_b32_e32 v7, 0
	v_lshlrev_b64 v[6:7], 1, v[6:7]
	s_waitcnt lgkmcnt(0)
	v_mov_b32_e32 v10, s13
	v_add_co_u32_e64 v6, s[6:7], s12, v6
	v_addc_co_u32_e64 v7, s[6:7], v10, v7, s[6:7]
	global_store_short v[6:7], v8, off
	s_or_b64 exec, exec, s[8:9]
	s_and_saveexec_b64 s[8:9], s[4:5]
	s_cbranch_execnz .LBB170_49
	s_branch .LBB170_50
.LBB170_81:
	v_bfe_u32 v6, v31, 16, 1
	s_movk_i32 s6, 0x7fff
	v_add3_u32 v6, v31, v6, s6
	v_lshrrev_b32_e32 v6, 16, v6
	v_mov_b32_e32 v7, 0x7fc0
	v_cmp_o_f32_e64 s[6:7], v31, v31
	v_cndmask_b32_e64 v8, v7, v6, s[6:7]
	v_add_u32_e32 v6, v5, v0
	v_mov_b32_e32 v7, 0
	v_lshlrev_b64 v[6:7], 1, v[6:7]
	s_waitcnt lgkmcnt(0)
	v_mov_b32_e32 v10, s13
	v_add_co_u32_e64 v6, s[6:7], s12, v6
	v_addc_co_u32_e64 v7, s[6:7], v10, v7, s[6:7]
	global_store_short v[6:7], v8, off
	s_or_b64 exec, exec, s[8:9]
	s_and_saveexec_b64 s[8:9], s[0:1]
	s_cbranch_execz .LBB170_53
.LBB170_82:
	v_bfe_u32 v6, v29, 16, 1
	s_movk_i32 s6, 0x7fff
	v_add3_u32 v6, v29, v6, s6
	v_lshrrev_b32_e32 v6, 16, v6
	v_mov_b32_e32 v7, 0x7fc0
	v_cmp_o_f32_e64 s[6:7], v29, v29
	v_cndmask_b32_e64 v8, v7, v6, s[6:7]
	v_add_u32_e32 v6, v5, v2
	v_mov_b32_e32 v7, 0
	v_lshlrev_b64 v[6:7], 1, v[6:7]
	s_waitcnt lgkmcnt(0)
	v_mov_b32_e32 v10, s13
	v_add_co_u32_e64 v6, s[6:7], s12, v6
	v_addc_co_u32_e64 v7, s[6:7], v10, v7, s[6:7]
	global_store_short v[6:7], v8, off
	s_or_b64 exec, exec, s[8:9]
	s_and_saveexec_b64 s[8:9], s[2:3]
	s_cbranch_execz .LBB170_54
.LBB170_83:
	v_bfe_u32 v6, v27, 16, 1
	s_movk_i32 s6, 0x7fff
	v_add3_u32 v6, v27, v6, s6
	v_lshrrev_b32_e32 v6, 16, v6
	v_mov_b32_e32 v7, 0x7fc0
	v_cmp_o_f32_e64 s[6:7], v27, v27
	v_cndmask_b32_e64 v8, v7, v6, s[6:7]
	v_add_u32_e32 v6, v5, v3
	v_mov_b32_e32 v7, 0
	v_lshlrev_b64 v[6:7], 1, v[6:7]
	s_waitcnt lgkmcnt(0)
	v_mov_b32_e32 v10, s13
	v_add_co_u32_e64 v6, s[6:7], s12, v6
	v_addc_co_u32_e64 v7, s[6:7], v10, v7, s[6:7]
	global_store_short v[6:7], v8, off
	s_or_b64 exec, exec, s[8:9]
	s_and_saveexec_b64 s[8:9], s[4:5]
	s_cbranch_execnz .LBB170_55
	s_branch .LBB170_56
.LBB170_84:
	v_bfe_u32 v6, v23, 16, 1
	s_movk_i32 s6, 0x7fff
	v_add3_u32 v6, v23, v6, s6
	v_lshrrev_b32_e32 v6, 16, v6
	v_mov_b32_e32 v7, 0x7fc0
	v_cmp_o_f32_e64 s[6:7], v23, v23
	v_cndmask_b32_e64 v8, v7, v6, s[6:7]
	v_add_u32_e32 v6, v5, v0
	v_mov_b32_e32 v7, 0
	v_lshlrev_b64 v[6:7], 1, v[6:7]
	s_waitcnt lgkmcnt(0)
	v_mov_b32_e32 v10, s13
	v_add_co_u32_e64 v6, s[6:7], s12, v6
	v_addc_co_u32_e64 v7, s[6:7], v10, v7, s[6:7]
	global_store_short v[6:7], v8, off
	s_or_b64 exec, exec, s[8:9]
	s_and_saveexec_b64 s[8:9], s[0:1]
	s_cbranch_execz .LBB170_59
.LBB170_85:
	v_bfe_u32 v6, v21, 16, 1
	s_movk_i32 s6, 0x7fff
	v_add3_u32 v6, v21, v6, s6
	v_lshrrev_b32_e32 v6, 16, v6
	v_mov_b32_e32 v7, 0x7fc0
	v_cmp_o_f32_e64 s[6:7], v21, v21
	v_cndmask_b32_e64 v8, v7, v6, s[6:7]
	v_add_u32_e32 v6, v5, v2
	v_mov_b32_e32 v7, 0
	v_lshlrev_b64 v[6:7], 1, v[6:7]
	s_waitcnt lgkmcnt(0)
	v_mov_b32_e32 v10, s13
	v_add_co_u32_e64 v6, s[6:7], s12, v6
	v_addc_co_u32_e64 v7, s[6:7], v10, v7, s[6:7]
	global_store_short v[6:7], v8, off
	s_or_b64 exec, exec, s[8:9]
	s_and_saveexec_b64 s[8:9], s[2:3]
	s_cbranch_execz .LBB170_60
.LBB170_86:
	v_bfe_u32 v6, v19, 16, 1
	s_movk_i32 s6, 0x7fff
	v_add3_u32 v6, v19, v6, s6
	v_lshrrev_b32_e32 v6, 16, v6
	v_mov_b32_e32 v7, 0x7fc0
	v_cmp_o_f32_e64 s[6:7], v19, v19
	v_cndmask_b32_e64 v8, v7, v6, s[6:7]
	v_add_u32_e32 v6, v5, v3
	v_mov_b32_e32 v7, 0
	v_lshlrev_b64 v[6:7], 1, v[6:7]
	s_waitcnt lgkmcnt(0)
	v_mov_b32_e32 v10, s13
	v_add_co_u32_e64 v6, s[6:7], s12, v6
	v_addc_co_u32_e64 v7, s[6:7], v10, v7, s[6:7]
	global_store_short v[6:7], v8, off
	s_or_b64 exec, exec, s[8:9]
	s_and_saveexec_b64 s[8:9], s[4:5]
	s_cbranch_execnz .LBB170_61
	s_branch .LBB170_62
.LBB170_87:
	v_bfe_u32 v5, v15, 16, 1
	s_movk_i32 s8, 0x7fff
	v_add3_u32 v5, v15, v5, s8
	v_lshrrev_b32_e32 v5, 16, v5
	v_mov_b32_e32 v6, 0x7fc0
	v_cmp_o_f32_e32 vcc, v15, v15
	v_cndmask_b32_e32 v5, v6, v5, vcc
	v_add_u32_e32 v6, v1, v0
	v_mov_b32_e32 v7, 0
	v_lshlrev_b64 v[6:7], 1, v[6:7]
	s_waitcnt lgkmcnt(0)
	v_mov_b32_e32 v0, s13
	v_add_co_u32_e32 v6, vcc, s12, v6
	v_addc_co_u32_e32 v7, vcc, v0, v7, vcc
	global_store_short v[6:7], v5, off
	s_or_b64 exec, exec, s[6:7]
	s_and_saveexec_b64 s[6:7], s[0:1]
	s_cbranch_execz .LBB170_65
.LBB170_88:
	v_bfe_u32 v0, v13, 16, 1
	s_movk_i32 s0, 0x7fff
	v_add3_u32 v0, v13, v0, s0
	v_add_u32_e32 v6, v1, v2
	v_mov_b32_e32 v7, 0
	v_lshrrev_b32_e32 v0, 16, v0
	v_mov_b32_e32 v5, 0x7fc0
	v_cmp_o_f32_e32 vcc, v13, v13
	v_lshlrev_b64 v[6:7], 1, v[6:7]
	v_cndmask_b32_e32 v0, v5, v0, vcc
	s_waitcnt lgkmcnt(0)
	v_mov_b32_e32 v2, s13
	v_add_co_u32_e32 v6, vcc, s12, v6
	v_addc_co_u32_e32 v7, vcc, v2, v7, vcc
	global_store_short v[6:7], v0, off
	s_or_b64 exec, exec, s[6:7]
	s_and_saveexec_b64 s[0:1], s[2:3]
	s_cbranch_execz .LBB170_66
.LBB170_89:
	v_bfe_u32 v0, v11, 16, 1
	s_movk_i32 s2, 0x7fff
	v_add3_u32 v0, v11, v0, s2
	v_lshrrev_b32_e32 v0, 16, v0
	v_mov_b32_e32 v2, 0x7fc0
	v_cmp_o_f32_e32 vcc, v11, v11
	v_cndmask_b32_e32 v0, v2, v0, vcc
	v_add_u32_e32 v2, v1, v3
	v_mov_b32_e32 v3, 0
	v_lshlrev_b64 v[2:3], 1, v[2:3]
	s_waitcnt lgkmcnt(0)
	v_mov_b32_e32 v5, s13
	v_add_co_u32_e32 v2, vcc, s12, v2
	v_addc_co_u32_e32 v3, vcc, v5, v3, vcc
	global_store_short v[2:3], v0, off
	s_or_b64 exec, exec, s[0:1]
	s_and_b64 exec, exec, s[4:5]
	s_cbranch_execnz .LBB170_67
	s_branch .LBB170_68
	.section	.rodata,"a",@progbits
	.p2align	6, 0x0
	.amdhsa_kernel _ZL12mul_mat_q3_KIN3c108BFloat16ELb1EEvPKvS3_PT_iiiii
		.amdhsa_group_segment_fixed_size 39840
		.amdhsa_private_segment_fixed_size 0
		.amdhsa_kernarg_size 44
		.amdhsa_user_sgpr_count 6
		.amdhsa_user_sgpr_private_segment_buffer 1
		.amdhsa_user_sgpr_dispatch_ptr 0
		.amdhsa_user_sgpr_queue_ptr 0
		.amdhsa_user_sgpr_kernarg_segment_ptr 1
		.amdhsa_user_sgpr_dispatch_id 0
		.amdhsa_user_sgpr_flat_scratch_init 0
		.amdhsa_user_sgpr_kernarg_preload_length 0
		.amdhsa_user_sgpr_kernarg_preload_offset 0
		.amdhsa_user_sgpr_private_segment_size 0
		.amdhsa_uses_dynamic_stack 0
		.amdhsa_system_sgpr_private_segment_wavefront_offset 0
		.amdhsa_system_sgpr_workgroup_id_x 1
		.amdhsa_system_sgpr_workgroup_id_y 1
		.amdhsa_system_sgpr_workgroup_id_z 0
		.amdhsa_system_sgpr_workgroup_info 0
		.amdhsa_system_vgpr_workitem_id 1
		.amdhsa_next_free_vgpr 214
		.amdhsa_next_free_sgpr 28
		.amdhsa_accum_offset 216
		.amdhsa_reserve_vcc 1
		.amdhsa_reserve_flat_scratch 0
		.amdhsa_float_round_mode_32 0
		.amdhsa_float_round_mode_16_64 0
		.amdhsa_float_denorm_mode_32 3
		.amdhsa_float_denorm_mode_16_64 3
		.amdhsa_dx10_clamp 1
		.amdhsa_ieee_mode 1
		.amdhsa_fp16_overflow 0
		.amdhsa_tg_split 0
		.amdhsa_exception_fp_ieee_invalid_op 0
		.amdhsa_exception_fp_denorm_src 0
		.amdhsa_exception_fp_ieee_div_zero 0
		.amdhsa_exception_fp_ieee_overflow 0
		.amdhsa_exception_fp_ieee_underflow 0
		.amdhsa_exception_fp_ieee_inexact 0
		.amdhsa_exception_int_div_zero 0
	.end_amdhsa_kernel
	.section	.text._ZL12mul_mat_q3_KIN3c108BFloat16ELb1EEvPKvS3_PT_iiiii,"axG",@progbits,_ZL12mul_mat_q3_KIN3c108BFloat16ELb1EEvPKvS3_PT_iiiii,comdat
.Lfunc_end170:
	.size	_ZL12mul_mat_q3_KIN3c108BFloat16ELb1EEvPKvS3_PT_iiiii, .Lfunc_end170-_ZL12mul_mat_q3_KIN3c108BFloat16ELb1EEvPKvS3_PT_iiiii
                                        ; -- End function
	.section	.AMDGPU.csdata,"",@progbits
; Kernel info:
; codeLenInByte = 34296
; NumSgprs: 32
; NumVgprs: 214
; NumAgprs: 0
; TotalNumVgprs: 214
; ScratchSize: 0
; MemoryBound: 0
; FloatMode: 240
; IeeeMode: 1
; LDSByteSize: 39840 bytes/workgroup (compile time only)
; SGPRBlocks: 3
; VGPRBlocks: 26
; NumSGPRsForWavesPerEU: 32
; NumVGPRsForWavesPerEU: 214
; AccumOffset: 216
; Occupancy: 1
; WaveLimiterHint : 0
; COMPUTE_PGM_RSRC2:SCRATCH_EN: 0
; COMPUTE_PGM_RSRC2:USER_SGPR: 6
; COMPUTE_PGM_RSRC2:TRAP_HANDLER: 0
; COMPUTE_PGM_RSRC2:TGID_X_EN: 1
; COMPUTE_PGM_RSRC2:TGID_Y_EN: 1
; COMPUTE_PGM_RSRC2:TGID_Z_EN: 0
; COMPUTE_PGM_RSRC2:TIDIG_COMP_CNT: 1
; COMPUTE_PGM_RSRC3_GFX90A:ACCUM_OFFSET: 53
; COMPUTE_PGM_RSRC3_GFX90A:TG_SPLIT: 0
	.section	.text._ZL12mul_mat_q4_KIN3c108BFloat16ELb0EEvPKvS3_PT_iiiii,"axG",@progbits,_ZL12mul_mat_q4_KIN3c108BFloat16ELb0EEvPKvS3_PT_iiiii,comdat
	.globl	_ZL12mul_mat_q4_KIN3c108BFloat16ELb0EEvPKvS3_PT_iiiii ; -- Begin function _ZL12mul_mat_q4_KIN3c108BFloat16ELb0EEvPKvS3_PT_iiiii
	.p2align	8
	.type	_ZL12mul_mat_q4_KIN3c108BFloat16ELb0EEvPKvS3_PT_iiiii,@function
_ZL12mul_mat_q4_KIN3c108BFloat16ELb0EEvPKvS3_PT_iiiii: ; @_ZL12mul_mat_q4_KIN3c108BFloat16ELb0EEvPKvS3_PT_iiiii
; %bb.0:
	s_mov_b64 s[22:23], s[2:3]
	s_mov_b64 s[20:21], s[0:1]
	s_add_u32 s20, s20, s8
	s_load_dword s14, s[4:5], 0x18
	s_load_dwordx4 s[8:11], s[4:5], 0x20
	s_addc_u32 s21, s21, 0
	s_waitcnt lgkmcnt(0)
	s_lshl_b32 s11, s7, 6
	v_bfe_u32 v11, v0, 10, 10
	s_cmpk_gt_i32 s14, 0xff
	s_cbranch_scc1 .LBB171_2
; %bb.1:
	v_bfe_u32 v1, v0, 10, 10
	v_and_b32_e32 v53, 0x3ff, v0
	v_add_u32_e32 v2, s11, v1
	s_mov_b64 s[0:1], 0
	s_mov_b32 s2, 0
	s_branch .LBB171_3
.LBB171_2:
	s_mov_b64 s[0:1], -1
                                        ; implicit-def: $sgpr2
                                        ; implicit-def: $vgpr1
                                        ; implicit-def: $vgpr53
                                        ; implicit-def: $vgpr2
.LBB171_3:
	s_load_dwordx2 s[12:13], s[4:5], 0x10
	s_lshl_b32 s6, s6, 7
	s_andn2_b64 vcc, exec, s[0:1]
	v_mov_b32_e32 v21, s2
	v_mov_b32_e32 v20, s2
	;; [unrolled: 1-line block ×32, first 2 shown]
	s_cbranch_vccnz .LBB171_11
; %bb.4:
	v_and_b32_e32 v53, 0x3ff, v0
	v_lshlrev_b32_e32 v3, 2, v53
	v_and_b32_e32 v0, 0x7c, v3
	buffer_store_dword v0, off, s[20:23], 0 ; 4-byte Folded Spill
	s_nop 0
	buffer_store_dword v1, off, s[20:23], 0 offset:4 ; 4-byte Folded Spill
	s_load_dwordx4 s[0:3], s[4:5], 0x0
	s_ashr_i32 s4, s14, 31
	s_lshr_b32 s4, s4, 24
	s_add_i32 s14, s14, s4
	s_ashr_i32 s7, s14, 8
	v_mul_i32_i24_e32 v0, s7, v11
	s_ashr_i32 s4, s9, 31
	s_lshr_b32 s4, s4, 27
	s_add_i32 s4, s9, s4
	s_ashr_i32 s16, s4, 5
	s_mul_i32 s4, s7, s6
	s_mul_hi_i32 s5, s4, 0x90
	s_mulk_i32 s4, 0x90
	s_waitcnt lgkmcnt(0)
	s_add_u32 s14, s0, s4
	s_addc_u32 s15, s1, s5
	s_lshl_b32 s4, s7, 3
	v_lshlrev_b32_e32 v91, 5, v11
	s_movk_i32 s1, 0x84
	v_mad_u32_u24 v59, v11, s1, v3
	s_movk_i32 s17, 0x6e40
	v_lshrrev_b32_e32 v5, 2, v53
	v_add_u32_e32 v12, s11, v11
	v_add_u32_e32 v138, 0x100, v91
	v_add_u32_e32 v141, 0x200, v91
	v_add_u32_e32 v144, 0x300, v91
	v_add_u32_e32 v147, 0x400, v91
	v_add_u32_e32 v150, 0x500, v91
	v_add_u32_e32 v153, 0x600, v91
	v_add_u32_e32 v156, 0x700, v91
	v_lshrrev_b32_e32 v52, 5, v53
	s_mov_b32 s0, 0
	v_mad_u32_u24 v167, v53, s1, 64
	v_mov_b32_e32 v10, s3
	v_lshrrev_b32_e32 v123, 3, v53
	s_movk_i32 s9, 0x90
	v_add_u32_e32 v69, 0x14a0, v59
	v_add_u32_e32 v71, 0x18c0, v59
	v_add_u32_e32 v73, 0x1ce0, v59
	v_add_u32_e32 v75, 0x2100, v59
	v_add_u32_e32 v77, 0x2520, v59
	v_add_u32_e32 v79, 0x2940, v59
	v_add_u32_e32 v81, 0x2d60, v59
	v_add_u32_e32 v83, 0x3180, v59
	v_add_u32_e32 v85, 0x35a0, v59
	v_add_u32_e32 v65, 0x39c0, v59
	v_add_u32_e32 v67, 0x3de0, v59
	v_mul_u32_u24_e32 v163, 0x84, v53
	v_lshlrev_b32_e32 v170, 4, v53
	v_lshlrev_b32_e32 v174, 2, v123
	buffer_store_dword v0, off, s[20:23], 0 offset:8 ; 4-byte Folded Spill
	s_nop 0
	buffer_store_dword v1, off, s[20:23], 0 offset:12 ; 4-byte Folded Spill
	v_mov_b32_e32 v0, s4
	v_mad_i32_i24 v58, s7, v11, v0
	v_add_u32_e32 v60, s4, v58
	v_add_u32_e32 v62, s4, v60
	;; [unrolled: 1-line block ×14, first 2 shown]
	s_movk_i32 s4, 0x6200
	buffer_store_dword v0, off, s[20:23], 0 offset:16 ; 4-byte Folded Spill
	s_nop 0
	buffer_store_dword v1, off, s[20:23], 0 offset:20 ; 4-byte Folded Spill
	v_add_u32_e32 v0, v91, v53
	v_and_b32_e32 v1, 0x7f, v0
	v_mul_i32_i24_e32 v2, s7, v1
	buffer_store_dword v2, off, s[20:23], 0 offset:24 ; 4-byte Folded Spill
	s_nop 0
	buffer_store_dword v3, off, s[20:23], 0 offset:28 ; 4-byte Folded Spill
	v_lshrrev_b32_e32 v0, 3, v0
	v_and_b32_e32 v0, 12, v0
	v_lshlrev_b32_e32 v1, 2, v1
	v_add3_u32 v93, v1, v0, s17
	v_and_b32_e32 v0, 3, v53
	v_add_u32_e32 v2, 0xfe, v0
	v_cmp_gt_u32_e32 vcc, 2, v0
	v_lshlrev_b32_e32 v1, 3, v11
	v_cndmask_b32_e32 v2, v2, v0, vcc
	v_add_u32_e32 v8, v5, v1
	v_and_b32_e32 v6, 0xff, v2
	v_cmp_ne_u32_e32 vcc, 0, v0
	v_add_u16_e32 v1, v5, v1
	v_addc_co_u32_e32 v2, vcc, 0, v6, vcc
	v_lshlrev_b32_e32 v117, 1, v6
	v_and_b32_e32 v6, 0x7f, v8
	v_lshlrev_b32_e32 v9, 2, v0
	v_lshrrev_b16_e32 v1, 1, v1
	v_lshl_or_b32 v7, v6, 4, v9
	v_and_b32_e32 v1, 60, v1
	v_add3_u32 v119, v7, v1, s4
	v_xor_b32_e32 v1, 64, v6
	v_mul_i32_i24_e32 v92, s7, v1
	v_lshl_or_b32 v5, v1, 4, v9
	v_lshrrev_b32_e32 v1, 1, v1
	v_and_b32_e32 v1, 60, v1
	v_cmp_lt_u32_e32 vcc, 1, v0
	v_add3_u32 v121, v5, v1, s4
	s_add_i32 s4, s8, -1
	v_mul_i32_i24_e32 v90, s7, v6
	v_cvt_f64_i32_e32 v[6:7], s4
	v_and_b32_e32 v5, 31, v53
	v_lshlrev_b32_e32 v175, 2, v2
	buffer_store_dword v12, off, s[20:23], 0 offset:36 ; 4-byte Folded Spill
	buffer_store_dword v11, off, s[20:23], 0 offset:32 ; 4-byte Folded Spill
	v_and_b32_e32 v4, 4, v3
	v_and_b32_e32 v1, 28, v3
	v_cndmask_b32_e32 v115, 0, v4, vcc
	v_cndmask_b32_e64 v4, 0, 1, vcc
	v_add_co_u32_e32 v94, vcc, s2, v1
	v_and_b32_e32 v1, 63, v8
	v_or_b32_e32 v8, s11, v1
	v_min_i32_e32 v8, s4, v8
	v_mad_u64_u32 v[96:97], s[4:5], v8, s16, v[0:1]
	v_lshl_or_b32 v0, v1, 4, v9
	v_add_u32_e32 v97, 0x6a40, v0
	v_cvt_f64_u32_e32 v[0:1], v12
	v_min_f64 v[0:1], v[0:1], v[6:7]
	v_cvt_i32_f64_e32 v0, v[0:1]
	v_mul_lo_u32 v125, s16, v0
	v_or_b32_e32 v0, v91, v5
	v_mov_b32_e32 v8, 0x4200
	v_lshl_add_u32 v136, v0, 2, v8
	v_add_u32_e32 v0, 8, v12
	v_cvt_f64_u32_e32 v[0:1], v0
	v_min_f64 v[0:1], v[0:1], v[6:7]
	v_cvt_i32_f64_e32 v0, v[0:1]
	v_mul_lo_u32 v137, s16, v0
	v_or_b32_e32 v0, v138, v5
	v_lshl_add_u32 v139, v0, 2, v8
	v_add_u32_e32 v0, 16, v12
	v_cvt_f64_u32_e32 v[0:1], v0
	v_min_f64 v[0:1], v[0:1], v[6:7]
	v_cvt_i32_f64_e32 v0, v[0:1]
	v_mul_lo_u32 v140, s16, v0
	v_or_b32_e32 v0, v141, v5
	v_lshl_add_u32 v142, v0, 2, v8
	v_add_u32_e32 v0, 24, v12
	v_cvt_f64_u32_e32 v[0:1], v0
	v_min_f64 v[0:1], v[0:1], v[6:7]
	v_cvt_i32_f64_e32 v0, v[0:1]
	v_mul_lo_u32 v143, s16, v0
	v_or_b32_e32 v0, v144, v5
	v_lshl_add_u32 v145, v0, 2, v8
	v_add_u32_e32 v0, 32, v12
	v_cvt_f64_u32_e32 v[0:1], v0
	v_min_f64 v[0:1], v[0:1], v[6:7]
	v_cvt_i32_f64_e32 v0, v[0:1]
	v_mul_lo_u32 v146, s16, v0
	v_or_b32_e32 v0, v147, v5
	v_lshl_add_u32 v148, v0, 2, v8
	v_add_u32_e32 v0, 40, v12
	v_cvt_f64_u32_e32 v[0:1], v0
	v_min_f64 v[0:1], v[0:1], v[6:7]
	v_cvt_i32_f64_e32 v0, v[0:1]
	v_mul_lo_u32 v149, s16, v0
	v_or_b32_e32 v0, v150, v5
	v_lshl_add_u32 v151, v0, 2, v8
	v_add_u32_e32 v0, 48, v12
	v_cvt_f64_u32_e32 v[0:1], v0
	v_min_f64 v[0:1], v[0:1], v[6:7]
	v_cvt_i32_f64_e32 v0, v[0:1]
	v_mul_lo_u32 v152, s16, v0
	v_or_b32_e32 v0, v153, v5
	v_lshl_add_u32 v154, v0, 2, v8
	v_add_u32_e32 v0, 56, v12
	v_cvt_f64_u32_e32 v[0:1], v0
	v_min_f64 v[0:1], v[0:1], v[6:7]
	v_cvt_i32_f64_e32 v0, v[0:1]
	v_mul_lo_u32 v155, s16, v0
	v_or_b32_e32 v0, v156, v5
	v_lshl_add_u32 v157, v0, 2, v8
	v_lshlrev_b32_e32 v0, 2, v52
	v_add3_u32 v158, v0, v3, s17
	v_add_u32_e32 v0, 32, v53
	v_lshrrev_b32_e32 v159, 3, v0
	v_lshlrev_b32_e32 v1, 2, v0
	v_and_b32_e32 v0, 60, v159
	v_add3_u32 v160, v3, v0, s17
	v_add_u32_e32 v0, 64, v53
	v_lshlrev_b32_e32 v5, 2, v0
	v_lshrrev_b32_e32 v0, 3, v0
	v_and_b32_e32 v6, 60, v0
	v_add3_u32 v161, v3, v6, s17
	v_add_u32_e32 v6, 0x60, v53
	v_lshlrev_b32_e32 v7, 2, v6
	v_lshrrev_b32_e32 v6, 3, v6
	v_and_b32_e32 v9, 60, v6
	v_add3_u32 v162, v3, v9, s17
	v_mov_b32_e32 v9, 0x1080
	v_mad_u32_u24 v164, v53, s1, v9
	v_mov_b32_e32 v9, 0x2100
	v_mad_u32_u24 v165, v53, s1, v9
	;; [unrolled: 2-line block ×3, first 2 shown]
	s_mov_b32 s1, s0
	v_mov_b32_e32 v9, 0x6a40
	v_pk_mov_b32 v[50:51], s[0:1], s[0:1] op_sel:[0,1]
	v_addc_co_u32_e32 v95, vcc, 0, v10, vcc
	v_lshl_add_u32 v168, v11, 4, v9
	v_lshl_add_u32 v169, v11, 7, v8
	v_lshlrev_b32_e32 v171, 2, v6
	v_lshlrev_b32_e32 v172, 2, v0
	;; [unrolled: 1-line block ×4, first 2 shown]
	s_mov_b32 s1, 0x30303030
	v_lshlrev_b32_e32 v177, 2, v1
	v_lshlrev_b32_e32 v178, 2, v5
	;; [unrolled: 1-line block ×4, first 2 shown]
	v_pk_mov_b32 v[42:43], v[50:51], v[50:51] op_sel:[0,1]
	v_pk_mov_b32 v[34:35], v[50:51], v[50:51] op_sel:[0,1]
	;; [unrolled: 1-line block ×15, first 2 shown]
.LBB171_5:                              ; =>This Loop Header: Depth=1
                                        ;     Child Loop BB171_6 Depth 2
                                        ;     Child Loop BB171_8 Depth 2
	buffer_load_dword v4, off, s[20:23], 0  ; 4-byte Folded Reload
	buffer_load_dword v5, off, s[20:23], 0 offset:4 ; 4-byte Folded Reload
	s_mul_i32 s4, s0, 0x90
	s_mul_hi_u32 s5, s0, 0x90
	s_add_u32 s4, s14, s4
	s_addc_u32 s5, s15, s5
	v_pk_mov_b32 v[0:1], s[4:5], s[4:5] op_sel:[0,1]
	v_mad_u64_u32 v[2:3], s[4:5], v52, s9, v[0:1]
	s_lshl_b32 s16, s0, 3
	v_add_u32_e32 v111, s16, v96
	s_mov_b32 s18, 0
	s_waitcnt vmcnt(1)
	v_add_co_u32_e32 v2, vcc, v2, v4
	buffer_load_dword v4, off, s[20:23], 0 offset:8 ; 4-byte Folded Reload
	buffer_load_dword v5, off, s[20:23], 0 offset:12 ; 4-byte Folded Reload
	v_addc_co_u32_e32 v3, vcc, 0, v3, vcc
	v_add_co_u32_e32 v2, vcc, 16, v2
	v_addc_co_u32_e32 v3, vcc, 0, v3, vcc
	v_mad_u64_u32 v[18:19], s[4:5], v70, s9, v[2:3]
	v_mad_u64_u32 v[6:7], s[4:5], v58, s9, v[2:3]
	;; [unrolled: 1-line block ×7, first 2 shown]
	s_waitcnt vmcnt(0)
	v_mad_u64_u32 v[4:5], s[4:5], v4, s9, v[2:3]
	global_load_dword v54, v[4:5], off
	global_load_dword v55, v[6:7], off
	;; [unrolled: 1-line block ×7, first 2 shown]
	s_nop 0
	global_load_dword v18, v[18:19], off
	s_nop 0
	buffer_load_dword v88, off, s[20:23], 0 offset:16 ; 4-byte Folded Reload
	buffer_load_dword v89, off, s[20:23], 0 offset:20 ; 4-byte Folded Reload
	v_mad_u64_u32 v[4:5], s[4:5], v72, s9, v[2:3]
	v_mad_u64_u32 v[6:7], s[4:5], v74, s9, v[2:3]
	;; [unrolled: 1-line block ×7, first 2 shown]
	s_waitcnt vmcnt(1)
	v_mad_u64_u32 v[2:3], s[4:5], v88, s9, v[2:3]
	global_load_dword v19, v[4:5], off
	global_load_dword v87, v[6:7], off
	;; [unrolled: 1-line block ×6, first 2 shown]
	s_nop 0
	global_load_dword v16, v[16:17], off
	s_nop 0
	global_load_dword v17, v[2:3], off
	s_nop 0
	buffer_load_dword v2, off, s[20:23], 0 offset:24 ; 4-byte Folded Reload
	buffer_load_dword v3, off, s[20:23], 0 offset:28 ; 4-byte Folded Reload
	v_mad_u64_u32 v[4:5], s[4:5], v90, s9, v[0:1]
	v_add_co_u32_e32 v6, vcc, 4, v4
	v_addc_co_u32_e32 v7, vcc, 0, v5, vcc
	v_add_co_u32_e32 v4, vcc, v6, v175
	v_addc_co_u32_e32 v5, vcc, 0, v7, vcc
	;; [unrolled: 2-line block ×3, first 2 shown]
	v_add_u32_e32 v14, s16, v123
	v_add_u32_e32 v10, v14, v149
	;; [unrolled: 1-line block ×3, first 2 shown]
	v_mad_i64_i32 v[10:11], s[4:5], v10, 36, v[94:95]
	v_mad_i64_i32 v[12:13], s[4:5], v12, 36, v[94:95]
	s_waitcnt vmcnt(0)
	v_mad_u64_u32 v[2:3], s[4:5], v2, s9, v[0:1]
	v_mad_u64_u32 v[0:1], s[4:5], v92, s9, v[0:1]
	v_add_co_u32_e32 v8, vcc, 4, v0
	v_addc_co_u32_e32 v9, vcc, 0, v1, vcc
	v_add_co_u32_e32 v0, vcc, v8, v175
	v_addc_co_u32_e32 v1, vcc, 0, v9, vcc
	;; [unrolled: 2-line block ×3, first 2 shown]
	global_load_dword v100, v[2:3], off
	global_load_dword v101, v[4:5], off
	;; [unrolled: 1-line block ×5, first 2 shown]
	v_add_u32_e32 v0, v14, v125
	v_add_u32_e32 v2, v14, v137
	;; [unrolled: 1-line block ×5, first 2 shown]
	v_mad_i64_i32 v[0:1], s[4:5], v0, 36, v[94:95]
	v_mad_i64_i32 v[2:3], s[4:5], v2, 36, v[94:95]
	;; [unrolled: 1-line block ×5, first 2 shown]
	v_add_u32_e32 v14, v14, v155
	v_mad_i64_i32 v[14:15], s[4:5], v14, 36, v[94:95]
	global_load_dword v105, v[0:1], off offset:4
	s_nop 0
	global_load_dword v2, v[2:3], off offset:4
	s_nop 0
	;; [unrolled: 2-line block ×3, first 2 shown]
	global_load_dword v4, v[6:7], off offset:4
	global_load_dword v5, v[8:9], off offset:4
	s_nop 0
	global_load_dword v6, v[10:11], off offset:4
	global_load_dword v7, v[12:13], off offset:4
	;; [unrolled: 1-line block ×3, first 2 shown]
	v_mad_u64_u32 v[0:1], s[4:5], v111, 36, s[2:3]
	global_load_dword v0, v[0:1], off
	v_add_u32_e32 v1, 0x420, v59
	ds_write_b32 v1, v55
	v_add_u32_e32 v1, 0x840, v59
	ds_write_b32 v1, v56
	;; [unrolled: 2-line block ×4, first 2 shown]
	s_mov_b64 s[4:5], -1
	ds_write_b32 v1, v61
	ds_write_b32 v69, v63
	;; [unrolled: 1-line block ×12, first 2 shown]
	s_waitcnt vmcnt(13)
	ds_write_b32 v93, v100
	s_waitcnt vmcnt(12)
	v_ashrrev_i32_e32 v1, v115, v101
	v_and_b32_e32 v1, 0xf0f0f0f, v1
	s_waitcnt vmcnt(11)
	v_ashrrev_i32_e32 v9, v117, v102
	v_and_or_b32 v1, v9, s1, v1
	ds_write_b32 v119, v1
	s_waitcnt vmcnt(10)
	v_ashrrev_i32_e32 v1, v115, v103
	v_and_b32_e32 v1, 0xf0f0f0f, v1
	s_waitcnt vmcnt(9)
	v_ashrrev_i32_e32 v9, v117, v104
	v_and_or_b32 v1, v9, s1, v1
	ds_write_b32 v121, v1
	s_waitcnt vmcnt(8)
	ds_write_b32 v136, v105
	s_waitcnt vmcnt(7)
	;; [unrolled: 2-line block ×9, first 2 shown]
	ds_write_b32 v97, v0
	s_waitcnt lgkmcnt(0)
	s_barrier
	ds_read_b32 v0, v158
	ds_read_b32 v1, v160 offset:128
	ds_read_b32 v2, v161 offset:256
	;; [unrolled: 1-line block ×3, first 2 shown]
	s_waitcnt lgkmcnt(3)
	v_cvt_f32_f16_e32 v16, v0
	v_cvt_f32_f16_sdwa v18, v0 dst_sel:DWORD dst_unused:UNUSED_PAD src0_sel:WORD_1
	s_waitcnt lgkmcnt(2)
	v_cvt_f32_f16_e32 v98, v1
	v_cvt_f32_f16_sdwa v100, v1 dst_sel:DWORD dst_unused:UNUSED_PAD src0_sel:WORD_1
	;; [unrolled: 3-line block ×4, first 2 shown]
	v_mov_b32_e32 v17, v16
	v_mov_b32_e32 v19, v18
	;; [unrolled: 1-line block ×8, first 2 shown]
.LBB171_6:                              ;   Parent Loop BB171_5 Depth=1
                                        ; =>  This Inner Loop Header: Depth=2
	s_lshl_b32 s17, s18, 1
	s_lshr_b32 s19, s18, 2
	v_or_b32_e32 v0, s17, v91
	s_lshl_b32 s18, s18, 2
	v_lshlrev_b32_e32 v1, 2, v0
	v_lshrrev_b32_e32 v54, 1, v0
	v_add_u32_e32 v63, s18, v163
	ds_read_b128 v[12:15], v1 offset:16896
	ds_read_b128 v[8:11], v1 offset:16912
	;; [unrolled: 1-line block ×4, first 2 shown]
	ds_read_b64 v[126:127], v54 offset:27200
	ds_read2_b32 v[54:55], v63 offset1:1
	ds_read2_b32 v[56:57], v63 offset0:2 offset1:3
	ds_read2_b32 v[112:113], v63 offset0:4 offset1:5
	;; [unrolled: 1-line block ×3, first 2 shown]
	s_addk_i32 s19, 0x6200
	s_waitcnt lgkmcnt(3)
	v_and_b32_e32 v193, 0xf0f0f0f, v54
	v_lshrrev_b32_e32 v54, 4, v54
	v_and_b32_e32 v192, 0xf0f0f0f, v54
	v_lshrrev_b32_e32 v54, 4, v55
	v_and_b32_e32 v212, 0xf0f0f0f, v54
	s_waitcnt lgkmcnt(2)
	v_lshrrev_b32_e32 v54, 4, v56
	v_add3_u32 v61, s19, v174, v180
	v_and_b32_e32 v213, 0xf0f0f0f, v54
	v_lshrrev_b32_e32 v54, 4, v57
	ds_read_u16 v63, v61
	ds_read_u8 v86, v61 offset:8
	ds_read_u8 v61, v61 offset:9
	v_and_b32_e32 v214, 0xf0f0f0f, v54
	s_waitcnt lgkmcnt(4)
	v_lshrrev_b32_e32 v54, 4, v112
	v_and_b32_e32 v215, 0xf0f0f0f, v54
	v_lshrrev_b32_e32 v54, 4, v113
	v_and_b32_e32 v216, 0xf0f0f0f, v54
	s_waitcnt lgkmcnt(3)
	v_lshrrev_b32_e32 v54, 4, v128
	v_and_b32_e32 v194, 0xf0f0f0f, v55
	v_and_b32_e32 v217, 0xf0f0f0f, v54
	v_lshrrev_b32_e32 v54, 4, v129
	v_add_u32_e32 v55, s18, v164
	v_and_b32_e32 v195, 0xf0f0f0f, v56
	v_and_b32_e32 v196, 0xf0f0f0f, v57
	;; [unrolled: 1-line block ×3, first 2 shown]
	v_add3_u32 v54, s19, v173, v177
	ds_read2_b32 v[56:57], v55 offset1:1
	v_and_b32_e32 v197, 0xf0f0f0f, v112
	v_and_b32_e32 v198, 0xf0f0f0f, v113
	ds_read2_b32 v[112:113], v55 offset0:2 offset1:3
	v_and_b32_e32 v199, 0xf0f0f0f, v128
	v_and_b32_e32 v200, 0xf0f0f0f, v129
	ds_read2_b32 v[128:129], v55 offset0:4 offset1:5
	ds_read2_b32 v[130:131], v55 offset0:6 offset1:7
	s_waitcnt lgkmcnt(4)
	v_cvt_f32_ubyte0_e32 v118, v61
	ds_read_u16 v61, v54
	ds_read_u8 v55, v54 offset:8
	ds_read_u8 v54, v54 offset:9
	s_waitcnt lgkmcnt(6)
	v_and_b32_e32 v190, 0xf0f0f0f, v56
	s_waitcnt lgkmcnt(5)
	v_and_b32_e32 v205, 0xf0f0f0f, v112
	v_and_b32_e32 v206, 0xf0f0f0f, v113
	s_waitcnt lgkmcnt(1)
	v_cvt_f32_ubyte0_e32 v116, v55
	v_lshrrev_b32_e32 v55, 4, v56
	v_lshrrev_b32_e32 v56, 4, v57
	v_and_b32_e32 v221, 0xf0f0f0f, v56
	v_lshrrev_b32_e32 v56, 4, v112
	v_and_b32_e32 v222, 0xf0f0f0f, v56
	;; [unrolled: 2-line block ×7, first 2 shown]
	v_add_u32_e32 v56, s18, v165
	ds_read2_b32 v[112:113], v56 offset1:1
	v_and_b32_e32 v207, 0xf0f0f0f, v128
	v_and_b32_e32 v208, 0xf0f0f0f, v129
	ds_read2_b32 v[128:129], v56 offset0:2 offset1:3
	v_and_b32_e32 v209, 0xf0f0f0f, v130
	v_and_b32_e32 v210, 0xf0f0f0f, v131
	ds_read2_b32 v[130:131], v56 offset0:4 offset1:5
	ds_read2_b32 v[132:133], v56 offset0:6 offset1:7
	v_and_b32_e32 v201, 0xff, v61
	v_lshrrev_b16_e32 v225, 8, v61
	s_waitcnt lgkmcnt(3)
	v_lshrrev_b32_e32 v61, 4, v113
	v_and_b32_e32 v237, 0xf0f0f0f, v61
	s_waitcnt lgkmcnt(2)
	v_lshrrev_b32_e32 v61, 4, v128
	v_and_b32_e32 v238, 0xf0f0f0f, v61
	v_lshrrev_b32_e32 v61, 4, v129
	v_and_b32_e32 v239, 0xf0f0f0f, v61
	s_waitcnt lgkmcnt(1)
	v_lshrrev_b32_e32 v61, 4, v130
	v_and_b32_e32 v240, 0xf0f0f0f, v61
	;; [unrolled: 5-line block ×3, first 2 shown]
	v_lshrrev_b32_e32 v61, 4, v133
	v_cvt_f32_ubyte0_e32 v122, v54
	v_add3_u32 v54, s19, v172, v178
	v_and_b32_e32 v244, 0xf0f0f0f, v61
	v_add_u32_e32 v61, s18, v166
	v_and_b32_e32 v204, 0xf0f0f0f, v57
	v_and_b32_e32 v231, 0xf0f0f0f, v128
	;; [unrolled: 1-line block ×3, first 2 shown]
	ds_read_u16 v56, v54
	ds_read_u8 v57, v54 offset:8
	ds_read_u8 v54, v54 offset:9
	ds_read2_b32 v[128:129], v61 offset1:1
	v_mov_b32_e32 v252, 0
	v_mov_b32_e32 v253, 0
	v_and_b32_e32 v203, 0xf0f0f0f, v112
	v_mov_b32_e32 v255, 0
	s_waitcnt lgkmcnt(1)
	v_cvt_f32_ubyte0_e32 v124, v54
	s_waitcnt lgkmcnt(0)
	v_and_b32_e32 v226, 0xf0f0f0f, v128
	v_mov_b32_e32 v54, 0
	v_dot4c_i32_i8_e32 v252, v193, v12
	v_dot4c_i32_i8_e32 v253, v190, v12
	;; [unrolled: 1-line block ×3, first 2 shown]
	v_and_b32_e32 v230, 0xf0f0f0f, v113
	v_dot4c_i32_i8_e32 v54, v226, v12
	v_and_b32_e32 v245, 0xf0f0f0f, v129
	v_dot4c_i32_i8_e32 v252, v194, v13
	v_dot4c_i32_i8_e32 v253, v204, v13
	;; [unrolled: 1-line block ×4, first 2 shown]
	ds_read2_b32 v[12:13], v61 offset0:2 offset1:3
	v_dot4c_i32_i8_e32 v252, v195, v14
	v_dot4c_i32_i8_e32 v253, v205, v14
	;; [unrolled: 1-line block ×4, first 2 shown]
	s_waitcnt lgkmcnt(0)
	v_and_b32_e32 v246, 0xf0f0f0f, v12
	v_dot4c_i32_i8_e32 v54, v246, v14
	v_and_b32_e32 v247, 0xf0f0f0f, v13
	v_dot4c_i32_i8_e32 v253, v206, v15
	v_dot4c_i32_i8_e32 v255, v232, v15
	;; [unrolled: 1-line block ×3, first 2 shown]
	ds_read2_b32 v[14:15], v61 offset0:4 offset1:5
	v_and_b32_e32 v233, 0xf0f0f0f, v130
	v_dot4c_i32_i8_e32 v252, v197, v8
	v_dot4c_i32_i8_e32 v253, v207, v8
	;; [unrolled: 1-line block ×3, first 2 shown]
	s_waitcnt lgkmcnt(0)
	v_and_b32_e32 v248, 0xf0f0f0f, v14
	v_and_b32_e32 v234, 0xf0f0f0f, v131
	v_dot4c_i32_i8_e32 v54, v248, v8
	v_and_b32_e32 v249, 0xf0f0f0f, v15
	v_dot4c_i32_i8_e32 v252, v198, v9
	v_dot4c_i32_i8_e32 v253, v208, v9
	;; [unrolled: 1-line block ×4, first 2 shown]
	ds_read2_b32 v[8:9], v61 offset0:6 offset1:7
	v_and_b32_e32 v235, 0xf0f0f0f, v132
	v_dot4c_i32_i8_e32 v252, v199, v10
	v_dot4c_i32_i8_e32 v253, v209, v10
	;; [unrolled: 1-line block ×3, first 2 shown]
	s_waitcnt lgkmcnt(0)
	v_and_b32_e32 v250, 0xf0f0f0f, v8
	v_and_b32_e32 v236, 0xf0f0f0f, v133
	;; [unrolled: 1-line block ×3, first 2 shown]
	v_lshrrev_b16_e32 v241, 8, v56
	v_add3_u32 v56, s19, v171, v179
	v_dot4c_i32_i8_e32 v54, v250, v10
	v_and_b32_e32 v251, 0xf0f0f0f, v9
	v_dot4c_i32_i8_e32 v252, v200, v11
	v_dot4c_i32_i8_e32 v253, v210, v11
	;; [unrolled: 1-line block ×4, first 2 shown]
	ds_read_u16 v10, v56
	ds_read_u8 v11, v56 offset:8
	ds_read_u8 v61, v56 offset:9
	v_cvt_f32_ubyte0_e32 v120, v57
	v_lshrrev_b32_e32 v57, 4, v112
	v_mov_b32_e32 v254, 0
	s_waitcnt lgkmcnt(1)
	v_cvt_f32_ubyte0_e32 v112, v11
	v_lshrrev_b32_e32 v11, 4, v128
	v_and_b32_e32 v202, 0xf0f0f0f, v55
	v_mov_b32_e32 v55, 0
	v_and_b32_e32 v220, 0xf0f0f0f, v57
	v_mov_b32_e32 v57, 0
	;; [unrolled: 2-line block ×3, first 2 shown]
	v_dot4c_i32_i8_e32 v254, v192, v4
	v_dot4c_i32_i8_e32 v55, v202, v4
	;; [unrolled: 1-line block ×4, first 2 shown]
	v_lshrrev_b32_e32 v4, 4, v129
	v_and_b32_e32 v189, 0xf0f0f0f, v4
	v_lshrrev_b32_e32 v4, 4, v12
	v_dot4c_i32_i8_e32 v254, v212, v5
	v_dot4c_i32_i8_e32 v55, v221, v5
	v_dot4c_i32_i8_e32 v57, v237, v5
	v_dot4c_i32_i8_e32 v56, v189, v5
	v_and_b32_e32 v187, 0xf0f0f0f, v4
	v_lshrrev_b32_e32 v4, 4, v13
	v_dot4c_i32_i8_e32 v254, v213, v6
	v_dot4c_i32_i8_e32 v55, v222, v6
	v_dot4c_i32_i8_e32 v57, v238, v6
	v_dot4c_i32_i8_e32 v56, v187, v6
	;; [unrolled: 6-line block ×3, first 2 shown]
	v_and_b32_e32 v183, 0xf0f0f0f, v4
	v_dot4c_i32_i8_e32 v254, v215, v0
	v_dot4c_i32_i8_e32 v55, v224, v0
	;; [unrolled: 1-line block ×4, first 2 shown]
	v_lshrrev_b32_e32 v0, 4, v15
	v_and_b32_e32 v184, 0xf0f0f0f, v0
	v_lshrrev_b32_e32 v0, 4, v8
	v_and_b32_e32 v185, 0xf0f0f0f, v0
	v_lshrrev_b32_e32 v0, 4, v9
	v_dot4c_i32_i8_e32 v254, v216, v1
	v_dot4c_i32_i8_e32 v55, v227, v1
	;; [unrolled: 1-line block ×4, first 2 shown]
	v_and_b32_e32 v186, 0xf0f0f0f, v0
	v_or_b32_e32 v0, s17, v138
	v_dot4c_i32_i8_e32 v254, v217, v2
	v_dot4c_i32_i8_e32 v55, v228, v2
	;; [unrolled: 1-line block ×4, first 2 shown]
	s_waitcnt lgkmcnt(0)
	v_cvt_f32_ubyte0_e32 v110, v61
	v_lshlrev_b32_e32 v1, 2, v0
	v_lshrrev_b32_e32 v61, 1, v0
	v_dot4c_i32_i8_e32 v254, v218, v3
	v_dot4c_i32_i8_e32 v55, v229, v3
	v_dot4c_i32_i8_e32 v57, v244, v3
	v_and_b32_e32 v113, 0xff, v10
	v_dot4c_i32_i8_e32 v56, v186, v3
	v_lshrrev_b16_e32 v181, 8, v10
	ds_read_b128 v[12:15], v1 offset:16896
	ds_read_b128 v[8:11], v1 offset:16912
	;; [unrolled: 1-line block ×4, first 2 shown]
	ds_read_b64 v[130:131], v61 offset:27200
	v_mov_b32_e32 v61, 0
	s_waitcnt lgkmcnt(4)
	v_dot4c_i32_i8_e32 v61, v193, v12
	v_and_b32_e32 v191, 0xff, v63
	v_lshrrev_b16_e32 v211, 8, v63
	v_dot4c_i32_i8_e32 v61, v194, v13
	v_mov_b32_e32 v63, 0
	v_dot4c_i32_i8_e32 v61, v195, v14
	s_waitcnt lgkmcnt(2)
	v_dot4c_i32_i8_e32 v63, v192, v4
	v_dot4c_i32_i8_e32 v61, v196, v15
	;; [unrolled: 1-line block ×8, first 2 shown]
	s_waitcnt lgkmcnt(1)
	v_dot4c_i32_i8_e32 v63, v215, v0
	v_dot4c_i32_i8_e32 v61, v200, v11
	;; [unrolled: 1-line block ×5, first 2 shown]
	v_mul_lo_u32 v61, v61, v191
	s_waitcnt lgkmcnt(0)
	v_cvt_f32_f16_e32 v133, v130
	v_cvt_f32_f16_sdwa v135, v130 dst_sel:DWORD dst_unused:UNUSED_PAD src0_sel:WORD_1
	v_cvt_f32_f16_e32 v128, v127
	v_cvt_f32_f16_sdwa v130, v127 dst_sel:DWORD dst_unused:UNUSED_PAD src0_sel:WORD_1
	v_cvt_f32_i32_e32 v127, v61
	v_mul_lo_u32 v61, v254, v211
	v_mul_lo_u32 v63, v63, v211
	v_cvt_f32_i32_e32 v88, v61
	v_mov_b32_e32 v61, 0
	v_cvt_f32_ubyte0_e32 v114, v86
	v_cvt_f32_f16_sdwa v134, v126 dst_sel:DWORD dst_unused:UNUSED_PAD src0_sel:WORD_1
	v_mul_lo_u32 v86, v252, v191
	v_cvt_f32_i32_e32 v89, v63
	v_dot4c_i32_i8_e32 v61, v190, v12
	v_mov_b32_e32 v63, 0
	v_cvt_f32_f16_e32 v132, v126
	v_cvt_f32_f16_e32 v129, v131
	v_cvt_f32_f16_sdwa v131, v131 dst_sel:DWORD dst_unused:UNUSED_PAD src0_sel:WORD_1
	v_cvt_f32_i32_e32 v126, v86
	v_dot4c_i32_i8_e32 v61, v204, v13
	v_dot4c_i32_i8_e32 v63, v202, v4
	;; [unrolled: 1-line block ×6, first 2 shown]
	v_pk_fma_f32 v[86:87], v[114:115], v[134:135], 0 op_sel_hi:[0,1,0]
	v_dot4c_i32_i8_e32 v61, v207, v8
	v_dot4c_i32_i8_e32 v63, v223, v7
	v_pk_fma_f32 v[126:127], v[132:133], v[126:127], 0 op_sel_hi:[1,1,0]
	v_pk_fma_f32 v[86:87], v[118:119], v[130:131], v[86:87] op_sel_hi:[0,1,1]
	v_dot4c_i32_i8_e32 v61, v208, v9
	v_dot4c_i32_i8_e32 v63, v224, v0
	v_mul_lo_u32 v55, v55, v225
	v_pk_fma_f32 v[88:89], v[128:129], v[88:89], v[126:127]
	v_pk_mul_f32 v[86:87], v[86:87], v[18:19]
	v_dot4c_i32_i8_e32 v61, v209, v10
	v_dot4c_i32_i8_e32 v63, v227, v1
	v_cvt_f32_i32_e32 v126, v55
	v_mov_b32_e32 v55, 0
	v_pk_fma_f32 v[86:87], v[88:89], v[16:17], v[86:87] neg_lo:[0,0,1] neg_hi:[0,0,1]
	v_dot4c_i32_i8_e32 v61, v210, v11
	v_dot4c_i32_i8_e32 v63, v228, v2
	;; [unrolled: 1-line block ×3, first 2 shown]
	v_pk_add_f32 v[50:51], v[50:51], v[86:87]
	v_dot4c_i32_i8_e32 v63, v229, v3
	v_mul_lo_u32 v86, v253, v201
	v_mul_lo_u32 v61, v61, v201
	v_dot4c_i32_i8_e32 v55, v230, v13
	v_cvt_f32_i32_e32 v87, v61
	v_cvt_f32_i32_e32 v86, v86
	v_mul_lo_u32 v61, v63, v225
	v_dot4c_i32_i8_e32 v55, v231, v14
	v_cvt_f32_i32_e32 v127, v61
	v_dot4c_i32_i8_e32 v55, v232, v15
	v_dot4c_i32_i8_e32 v55, v233, v8
	v_pk_fma_f32 v[88:89], v[116:117], v[134:135], 0 op_sel_hi:[0,1,0]
	v_dot4c_i32_i8_e32 v55, v234, v9
	v_pk_fma_f32 v[86:87], v[132:133], v[86:87], 0 op_sel_hi:[1,1,0]
	v_pk_fma_f32 v[88:89], v[122:123], v[130:131], v[88:89] op_sel_hi:[0,1,1]
	v_dot4c_i32_i8_e32 v55, v235, v10
	v_pk_fma_f32 v[86:87], v[128:129], v[126:127], v[86:87]
	v_pk_mul_f32 v[88:89], v[88:89], v[100:101]
	v_dot4c_i32_i8_e32 v55, v236, v11
	v_pk_fma_f32 v[86:87], v[86:87], v[98:99], v[88:89] neg_lo:[0,0,1] neg_hi:[0,0,1]
	v_pk_add_f32 v[48:49], v[48:49], v[86:87]
	v_mov_b32_e32 v61, 0
	v_mul_lo_u32 v55, v55, v219
	v_cvt_f32_i32_e32 v87, v55
	v_mul_lo_u32 v55, v57, v241
	v_cvt_f32_i32_e32 v126, v55
	v_mov_b32_e32 v55, 0
	v_dot4c_i32_i8_e32 v55, v226, v12
	v_dot4c_i32_i8_e32 v55, v245, v13
	;; [unrolled: 1-line block ×5, first 2 shown]
	v_mov_b32_e32 v8, 0
	v_dot4c_i32_i8_e32 v8, v188, v4
	v_dot4c_i32_i8_e32 v8, v189, v5
	;; [unrolled: 1-line block ×17, first 2 shown]
	v_mul_lo_u32 v0, v54, v113
	v_mul_lo_u32 v1, v55, v113
	v_cvt_f32_i32_e32 v1, v1
	v_cvt_f32_i32_e32 v0, v0
	v_mul_lo_u32 v4, v56, v181
	v_mul_lo_u32 v5, v8, v181
	v_cvt_f32_i32_e32 v5, v5
	v_cvt_f32_i32_e32 v4, v4
	v_dot4c_i32_i8_e32 v61, v243, v2
	v_dot4c_i32_i8_e32 v61, v244, v3
	v_mul_lo_u32 v63, v255, v219
	v_pk_fma_f32 v[2:3], v[112:113], v[134:135], 0 op_sel_hi:[0,1,0]
	v_cvt_f32_i32_e32 v86, v63
	v_mul_lo_u32 v57, v61, v241
	v_pk_fma_f32 v[0:1], v[132:133], v[0:1], 0 op_sel_hi:[1,1,0]
	v_pk_fma_f32 v[2:3], v[110:111], v[130:131], v[2:3] op_sel_hi:[0,1,1]
	v_cvt_f32_i32_e32 v127, v57
	v_pk_fma_f32 v[0:1], v[128:129], v[4:5], v[0:1]
	v_pk_mul_f32 v[2:3], v[2:3], v[108:109]
	v_pk_fma_f32 v[0:1], v[0:1], v[106:107], v[2:3] neg_lo:[0,0,1] neg_hi:[0,0,1]
	v_pk_add_f32 v[44:45], v[44:45], v[0:1]
	v_or_b32_e32 v0, s17, v141
	v_pk_fma_f32 v[86:87], v[132:133], v[86:87], 0 op_sel_hi:[1,1,0]
	v_lshlrev_b32_e32 v1, 2, v0
	v_pk_fma_f32 v[86:87], v[128:129], v[126:127], v[86:87]
	v_lshrrev_b32_e32 v54, 1, v0
	ds_read_b128 v[12:15], v1 offset:16896
	ds_read_b128 v[8:11], v1 offset:16912
	ds_read_b128 v[4:7], v1 offset:16928
	ds_read_b128 v[0:3], v1 offset:16944
	ds_read_b64 v[126:127], v54 offset:27200
	v_mov_b32_e32 v61, 0
	v_mov_b32_e32 v63, 0
	v_mov_b32_e32 v252, 0
	v_mov_b32_e32 v253, 0
	v_mov_b32_e32 v56, 0
	v_mov_b32_e32 v57, 0
	v_mov_b32_e32 v54, 0
	v_mov_b32_e32 v55, 0
	s_waitcnt lgkmcnt(4)
	v_dot4c_i32_i8_e32 v61, v193, v12
	s_waitcnt lgkmcnt(2)
	v_dot4c_i32_i8_e32 v63, v192, v4
	v_dot4c_i32_i8_e32 v252, v190, v12
	;; [unrolled: 1-line block ×15, first 2 shown]
	v_pk_fma_f32 v[88:89], v[120:121], v[134:135], 0 op_sel_hi:[0,1,0]
	v_dot4c_i32_i8_e32 v61, v195, v14
	v_dot4c_i32_i8_e32 v63, v213, v6
	;; [unrolled: 1-line block ×8, first 2 shown]
	v_pk_fma_f32 v[88:89], v[124:125], v[130:131], v[88:89] op_sel_hi:[0,1,1]
	v_dot4c_i32_i8_e32 v61, v196, v15
	v_dot4c_i32_i8_e32 v63, v214, v7
	;; [unrolled: 1-line block ×8, first 2 shown]
	v_pk_mul_f32 v[88:89], v[88:89], v[104:105]
	v_dot4c_i32_i8_e32 v61, v197, v8
	s_waitcnt lgkmcnt(1)
	v_dot4c_i32_i8_e32 v63, v215, v0
	v_dot4c_i32_i8_e32 v252, v207, v8
	;; [unrolled: 1-line block ×7, first 2 shown]
	v_pk_fma_f32 v[86:87], v[86:87], v[102:103], v[88:89] neg_lo:[0,0,1] neg_hi:[0,0,1]
	v_dot4c_i32_i8_e32 v61, v198, v9
	v_dot4c_i32_i8_e32 v63, v216, v1
	;; [unrolled: 1-line block ×8, first 2 shown]
	v_or_b32_e32 v0, s17, v144
	v_pk_add_f32 v[46:47], v[46:47], v[86:87]
	v_dot4c_i32_i8_e32 v61, v199, v10
	v_dot4c_i32_i8_e32 v63, v217, v2
	;; [unrolled: 1-line block ×8, first 2 shown]
	v_lshlrev_b32_e32 v1, 2, v0
	v_lshrrev_b32_e32 v86, 1, v0
	v_dot4c_i32_i8_e32 v61, v200, v11
	v_dot4c_i32_i8_e32 v63, v218, v3
	;; [unrolled: 1-line block ×8, first 2 shown]
	ds_read_b128 v[12:15], v1 offset:16896
	ds_read_b128 v[8:11], v1 offset:16912
	;; [unrolled: 1-line block ×4, first 2 shown]
	ds_read_b64 v[86:87], v86 offset:27200
	v_mov_b32_e32 v88, 0
	s_waitcnt lgkmcnt(4)
	v_dot4c_i32_i8_e32 v88, v193, v12
	v_dot4c_i32_i8_e32 v88, v194, v13
	;; [unrolled: 1-line block ×3, first 2 shown]
	v_mov_b32_e32 v254, 0
	v_dot4c_i32_i8_e32 v88, v196, v15
	s_waitcnt lgkmcnt(2)
	v_dot4c_i32_i8_e32 v254, v192, v4
	v_dot4c_i32_i8_e32 v88, v197, v8
	;; [unrolled: 1-line block ×8, first 2 shown]
	s_waitcnt lgkmcnt(1)
	v_dot4c_i32_i8_e32 v254, v215, v0
	v_dot4c_i32_i8_e32 v254, v216, v1
	s_waitcnt lgkmcnt(0)
	v_cvt_f32_f16_e32 v133, v86
	v_cvt_f32_f16_sdwa v135, v86 dst_sel:DWORD dst_unused:UNUSED_PAD src0_sel:WORD_1
	v_mul_lo_u32 v61, v61, v191
	v_mul_lo_u32 v86, v88, v191
	v_dot4c_i32_i8_e32 v254, v217, v2
	v_cvt_f32_f16_e32 v129, v87
	v_cvt_f32_f16_sdwa v131, v87 dst_sel:DWORD dst_unused:UNUSED_PAD src0_sel:WORD_1
	v_cvt_f32_i32_e32 v87, v86
	v_cvt_f32_i32_e32 v86, v61
	v_mul_lo_u32 v61, v63, v211
	v_dot4c_i32_i8_e32 v254, v218, v3
	v_cvt_f32_f16_e32 v132, v126
	v_cvt_f32_f16_sdwa v134, v126 dst_sel:DWORD dst_unused:UNUSED_PAD src0_sel:WORD_1
	v_cvt_f32_i32_e32 v126, v61
	v_mov_b32_e32 v61, 0
	v_mul_lo_u32 v63, v254, v211
	v_dot4c_i32_i8_e32 v61, v190, v12
	v_cvt_f32_f16_e32 v128, v127
	v_cvt_f32_f16_sdwa v130, v127 dst_sel:DWORD dst_unused:UNUSED_PAD src0_sel:WORD_1
	v_cvt_f32_i32_e32 v127, v63
	v_dot4c_i32_i8_e32 v61, v204, v13
	v_mov_b32_e32 v63, 0
	v_dot4c_i32_i8_e32 v61, v205, v14
	v_dot4c_i32_i8_e32 v63, v202, v4
	;; [unrolled: 1-line block ×6, first 2 shown]
	v_pk_fma_f32 v[88:89], v[114:115], v[134:135], 0 op_sel_hi:[0,1,0]
	v_dot4c_i32_i8_e32 v61, v208, v9
	v_dot4c_i32_i8_e32 v63, v223, v7
	v_pk_fma_f32 v[86:87], v[86:87], v[132:133], 0 op_sel_hi:[1,1,0]
	v_pk_fma_f32 v[88:89], v[118:119], v[130:131], v[88:89] op_sel_hi:[0,1,1]
	v_dot4c_i32_i8_e32 v61, v209, v10
	v_dot4c_i32_i8_e32 v63, v224, v0
	v_pk_fma_f32 v[86:87], v[126:127], v[128:129], v[86:87]
	v_pk_mul_f32 v[88:89], v[88:89], v[18:19]
	v_dot4c_i32_i8_e32 v61, v210, v11
	v_dot4c_i32_i8_e32 v63, v227, v1
	v_pk_fma_f32 v[86:87], v[86:87], v[16:17], v[88:89] neg_lo:[0,0,1] neg_hi:[0,0,1]
	v_dot4c_i32_i8_e32 v63, v228, v2
	v_mul_lo_u32 v61, v61, v201
	v_pk_add_f32 v[42:43], v[42:43], v[86:87]
	v_dot4c_i32_i8_e32 v63, v229, v3
	v_cvt_f32_i32_e32 v87, v61
	v_mul_lo_u32 v61, v253, v225
	v_cvt_f32_i32_e32 v126, v61
	v_mul_lo_u32 v63, v63, v225
	v_mov_b32_e32 v61, 0
	v_cvt_f32_i32_e32 v127, v63
	v_dot4c_i32_i8_e32 v61, v203, v12
	v_mov_b32_e32 v63, 0
	v_mul_lo_u32 v86, v252, v201
	v_dot4c_i32_i8_e32 v61, v230, v13
	v_dot4c_i32_i8_e32 v63, v220, v4
	v_cvt_f32_i32_e32 v86, v86
	v_dot4c_i32_i8_e32 v61, v231, v14
	v_dot4c_i32_i8_e32 v63, v237, v5
	;; [unrolled: 1-line block ×6, first 2 shown]
	v_pk_fma_f32 v[88:89], v[116:117], v[134:135], 0 op_sel_hi:[0,1,0]
	v_dot4c_i32_i8_e32 v61, v234, v9
	v_dot4c_i32_i8_e32 v63, v240, v0
	v_pk_fma_f32 v[86:87], v[86:87], v[132:133], 0 op_sel_hi:[1,1,0]
	v_pk_fma_f32 v[88:89], v[122:123], v[130:131], v[88:89] op_sel_hi:[0,1,1]
	v_dot4c_i32_i8_e32 v61, v235, v10
	v_dot4c_i32_i8_e32 v63, v242, v1
	v_pk_fma_f32 v[86:87], v[126:127], v[128:129], v[86:87]
	v_pk_mul_f32 v[88:89], v[88:89], v[100:101]
	v_dot4c_i32_i8_e32 v61, v236, v11
	v_dot4c_i32_i8_e32 v63, v243, v2
	v_pk_fma_f32 v[86:87], v[86:87], v[98:99], v[88:89] neg_lo:[0,0,1] neg_hi:[0,0,1]
	v_dot4c_i32_i8_e32 v63, v244, v3
	v_mul_lo_u32 v56, v56, v219
	v_mul_lo_u32 v61, v61, v219
	v_pk_add_f32 v[40:41], v[40:41], v[86:87]
	v_cvt_f32_i32_e32 v87, v61
	v_cvt_f32_i32_e32 v86, v56
	v_mul_lo_u32 v56, v57, v241
	v_mul_lo_u32 v57, v63, v241
	v_cvt_f32_i32_e32 v57, v57
	v_cvt_f32_i32_e32 v56, v56
	v_pk_fma_f32 v[86:87], v[86:87], v[132:133], 0 op_sel_hi:[1,1,0]
	v_pk_fma_f32 v[88:89], v[120:121], v[134:135], 0 op_sel_hi:[0,1,0]
	v_mov_b32_e32 v61, 0
	v_pk_fma_f32 v[56:57], v[56:57], v[128:129], v[86:87]
	v_pk_fma_f32 v[86:87], v[124:125], v[130:131], v[88:89] op_sel_hi:[0,1,1]
	v_pk_mul_f32 v[86:87], v[86:87], v[104:105]
	v_pk_fma_f32 v[56:57], v[56:57], v[102:103], v[86:87] neg_lo:[0,0,1] neg_hi:[0,0,1]
	v_pk_add_f32 v[38:39], v[38:39], v[56:57]
	v_mov_b32_e32 v56, 0
	v_dot4c_i32_i8_e32 v56, v226, v12
	v_dot4c_i32_i8_e32 v56, v245, v13
	;; [unrolled: 1-line block ×5, first 2 shown]
	v_mov_b32_e32 v8, 0
	v_dot4c_i32_i8_e32 v8, v188, v4
	v_dot4c_i32_i8_e32 v8, v189, v5
	;; [unrolled: 1-line block ×11, first 2 shown]
	v_mul_lo_u32 v0, v54, v113
	v_mul_lo_u32 v1, v56, v113
	v_cvt_f32_i32_e32 v1, v1
	v_cvt_f32_i32_e32 v0, v0
	v_mul_lo_u32 v4, v55, v181
	v_mul_lo_u32 v5, v8, v181
	v_cvt_f32_i32_e32 v5, v5
	v_cvt_f32_i32_e32 v4, v4
	v_pk_fma_f32 v[2:3], v[112:113], v[134:135], 0 op_sel_hi:[0,1,0]
	v_pk_fma_f32 v[0:1], v[0:1], v[132:133], 0 op_sel_hi:[1,1,0]
	;; [unrolled: 1-line block ×3, first 2 shown]
	v_pk_fma_f32 v[0:1], v[4:5], v[128:129], v[0:1]
	v_pk_mul_f32 v[2:3], v[2:3], v[108:109]
	v_pk_fma_f32 v[0:1], v[0:1], v[106:107], v[2:3] neg_lo:[0,0,1] neg_hi:[0,0,1]
	v_pk_add_f32 v[36:37], v[36:37], v[0:1]
	v_or_b32_e32 v0, s17, v147
	v_lshlrev_b32_e32 v1, 2, v0
	v_lshrrev_b32_e32 v54, 1, v0
	ds_read_b128 v[12:15], v1 offset:16896
	ds_read_b128 v[8:11], v1 offset:16912
	ds_read_b128 v[4:7], v1 offset:16928
	ds_read_b128 v[0:3], v1 offset:16944
	ds_read_b64 v[126:127], v54 offset:27200
	v_mov_b32_e32 v63, 0
	v_mov_b32_e32 v252, 0
	;; [unrolled: 1-line block ×7, first 2 shown]
	s_waitcnt lgkmcnt(4)
	v_dot4c_i32_i8_e32 v61, v193, v12
	s_waitcnt lgkmcnt(2)
	v_dot4c_i32_i8_e32 v63, v192, v4
	v_dot4c_i32_i8_e32 v252, v190, v12
	;; [unrolled: 1-line block ×32, first 2 shown]
	s_waitcnt lgkmcnt(1)
	v_dot4c_i32_i8_e32 v63, v215, v0
	v_dot4c_i32_i8_e32 v252, v207, v8
	;; [unrolled: 1-line block ×15, first 2 shown]
	v_or_b32_e32 v0, s17, v150
	v_dot4c_i32_i8_e32 v61, v199, v10
	v_dot4c_i32_i8_e32 v63, v217, v2
	;; [unrolled: 1-line block ×8, first 2 shown]
	v_lshlrev_b32_e32 v1, 2, v0
	v_lshrrev_b32_e32 v86, 1, v0
	v_dot4c_i32_i8_e32 v61, v200, v11
	v_dot4c_i32_i8_e32 v63, v218, v3
	;; [unrolled: 1-line block ×8, first 2 shown]
	ds_read_b128 v[12:15], v1 offset:16896
	ds_read_b128 v[8:11], v1 offset:16912
	;; [unrolled: 1-line block ×4, first 2 shown]
	ds_read_b64 v[86:87], v86 offset:27200
	v_mov_b32_e32 v88, 0
	s_waitcnt lgkmcnt(4)
	v_dot4c_i32_i8_e32 v88, v193, v12
	v_dot4c_i32_i8_e32 v88, v194, v13
	;; [unrolled: 1-line block ×3, first 2 shown]
	v_mov_b32_e32 v254, 0
	v_dot4c_i32_i8_e32 v88, v196, v15
	s_waitcnt lgkmcnt(2)
	v_dot4c_i32_i8_e32 v254, v192, v4
	v_dot4c_i32_i8_e32 v88, v197, v8
	;; [unrolled: 1-line block ×8, first 2 shown]
	s_waitcnt lgkmcnt(1)
	v_dot4c_i32_i8_e32 v254, v215, v0
	v_dot4c_i32_i8_e32 v254, v216, v1
	s_waitcnt lgkmcnt(0)
	v_cvt_f32_f16_e32 v133, v86
	v_cvt_f32_f16_sdwa v135, v86 dst_sel:DWORD dst_unused:UNUSED_PAD src0_sel:WORD_1
	v_mul_lo_u32 v61, v61, v191
	v_mul_lo_u32 v86, v88, v191
	v_dot4c_i32_i8_e32 v254, v217, v2
	v_cvt_f32_f16_e32 v129, v87
	v_cvt_f32_f16_sdwa v131, v87 dst_sel:DWORD dst_unused:UNUSED_PAD src0_sel:WORD_1
	v_cvt_f32_i32_e32 v87, v86
	v_cvt_f32_i32_e32 v86, v61
	v_mul_lo_u32 v61, v63, v211
	v_dot4c_i32_i8_e32 v254, v218, v3
	v_cvt_f32_f16_e32 v132, v126
	v_cvt_f32_f16_sdwa v134, v126 dst_sel:DWORD dst_unused:UNUSED_PAD src0_sel:WORD_1
	v_cvt_f32_i32_e32 v126, v61
	v_mov_b32_e32 v61, 0
	v_mul_lo_u32 v63, v254, v211
	v_dot4c_i32_i8_e32 v61, v190, v12
	v_cvt_f32_f16_e32 v128, v127
	v_cvt_f32_f16_sdwa v130, v127 dst_sel:DWORD dst_unused:UNUSED_PAD src0_sel:WORD_1
	v_cvt_f32_i32_e32 v127, v63
	v_dot4c_i32_i8_e32 v61, v204, v13
	v_mov_b32_e32 v63, 0
	v_dot4c_i32_i8_e32 v61, v205, v14
	v_dot4c_i32_i8_e32 v63, v202, v4
	;; [unrolled: 1-line block ×6, first 2 shown]
	v_pk_fma_f32 v[88:89], v[114:115], v[134:135], 0 op_sel_hi:[0,1,0]
	v_dot4c_i32_i8_e32 v61, v208, v9
	v_dot4c_i32_i8_e32 v63, v223, v7
	v_pk_fma_f32 v[86:87], v[86:87], v[132:133], 0 op_sel_hi:[1,1,0]
	v_pk_fma_f32 v[88:89], v[118:119], v[130:131], v[88:89] op_sel_hi:[0,1,1]
	v_dot4c_i32_i8_e32 v61, v209, v10
	v_dot4c_i32_i8_e32 v63, v224, v0
	v_pk_fma_f32 v[86:87], v[126:127], v[128:129], v[86:87]
	v_pk_mul_f32 v[88:89], v[88:89], v[18:19]
	v_dot4c_i32_i8_e32 v61, v210, v11
	v_dot4c_i32_i8_e32 v63, v227, v1
	v_pk_fma_f32 v[86:87], v[86:87], v[16:17], v[88:89] neg_lo:[0,0,1] neg_hi:[0,0,1]
	v_dot4c_i32_i8_e32 v63, v228, v2
	v_mul_lo_u32 v61, v61, v201
	v_pk_add_f32 v[34:35], v[34:35], v[86:87]
	v_dot4c_i32_i8_e32 v63, v229, v3
	v_cvt_f32_i32_e32 v87, v61
	v_mul_lo_u32 v61, v253, v225
	v_cvt_f32_i32_e32 v126, v61
	v_mul_lo_u32 v63, v63, v225
	v_mov_b32_e32 v61, 0
	v_cvt_f32_i32_e32 v127, v63
	v_dot4c_i32_i8_e32 v61, v203, v12
	v_mov_b32_e32 v63, 0
	v_mul_lo_u32 v86, v252, v201
	v_dot4c_i32_i8_e32 v61, v230, v13
	v_dot4c_i32_i8_e32 v63, v220, v4
	v_cvt_f32_i32_e32 v86, v86
	v_dot4c_i32_i8_e32 v61, v231, v14
	v_dot4c_i32_i8_e32 v63, v237, v5
	;; [unrolled: 1-line block ×6, first 2 shown]
	v_pk_fma_f32 v[88:89], v[116:117], v[134:135], 0 op_sel_hi:[0,1,0]
	v_dot4c_i32_i8_e32 v61, v234, v9
	v_dot4c_i32_i8_e32 v63, v240, v0
	v_pk_fma_f32 v[86:87], v[86:87], v[132:133], 0 op_sel_hi:[1,1,0]
	v_pk_fma_f32 v[88:89], v[122:123], v[130:131], v[88:89] op_sel_hi:[0,1,1]
	v_dot4c_i32_i8_e32 v61, v235, v10
	v_dot4c_i32_i8_e32 v63, v242, v1
	v_pk_fma_f32 v[86:87], v[126:127], v[128:129], v[86:87]
	v_pk_mul_f32 v[88:89], v[88:89], v[100:101]
	v_dot4c_i32_i8_e32 v61, v236, v11
	v_dot4c_i32_i8_e32 v63, v243, v2
	v_pk_fma_f32 v[86:87], v[86:87], v[98:99], v[88:89] neg_lo:[0,0,1] neg_hi:[0,0,1]
	v_dot4c_i32_i8_e32 v63, v244, v3
	v_mul_lo_u32 v56, v56, v219
	v_mul_lo_u32 v61, v61, v219
	v_pk_add_f32 v[32:33], v[32:33], v[86:87]
	v_cvt_f32_i32_e32 v87, v61
	v_cvt_f32_i32_e32 v86, v56
	v_mul_lo_u32 v56, v57, v241
	v_mul_lo_u32 v57, v63, v241
	v_cvt_f32_i32_e32 v57, v57
	v_cvt_f32_i32_e32 v56, v56
	v_pk_fma_f32 v[86:87], v[86:87], v[132:133], 0 op_sel_hi:[1,1,0]
	v_pk_fma_f32 v[88:89], v[120:121], v[134:135], 0 op_sel_hi:[0,1,0]
	v_mov_b32_e32 v61, 0
	v_pk_fma_f32 v[56:57], v[56:57], v[128:129], v[86:87]
	v_pk_fma_f32 v[86:87], v[124:125], v[130:131], v[88:89] op_sel_hi:[0,1,1]
	v_pk_mul_f32 v[86:87], v[86:87], v[104:105]
	v_pk_fma_f32 v[56:57], v[56:57], v[102:103], v[86:87] neg_lo:[0,0,1] neg_hi:[0,0,1]
	v_pk_add_f32 v[30:31], v[30:31], v[56:57]
	v_mov_b32_e32 v56, 0
	v_dot4c_i32_i8_e32 v56, v226, v12
	v_dot4c_i32_i8_e32 v56, v245, v13
	;; [unrolled: 1-line block ×5, first 2 shown]
	v_mov_b32_e32 v8, 0
	v_dot4c_i32_i8_e32 v8, v188, v4
	v_dot4c_i32_i8_e32 v8, v189, v5
	;; [unrolled: 1-line block ×11, first 2 shown]
	v_mul_lo_u32 v0, v54, v113
	v_mul_lo_u32 v1, v56, v113
	v_cvt_f32_i32_e32 v1, v1
	v_cvt_f32_i32_e32 v0, v0
	v_mul_lo_u32 v4, v55, v181
	v_mul_lo_u32 v5, v8, v181
	v_cvt_f32_i32_e32 v5, v5
	v_cvt_f32_i32_e32 v4, v4
	v_pk_fma_f32 v[2:3], v[112:113], v[134:135], 0 op_sel_hi:[0,1,0]
	v_pk_fma_f32 v[0:1], v[0:1], v[132:133], 0 op_sel_hi:[1,1,0]
	;; [unrolled: 1-line block ×3, first 2 shown]
	v_pk_fma_f32 v[0:1], v[4:5], v[128:129], v[0:1]
	v_pk_mul_f32 v[2:3], v[2:3], v[108:109]
	v_pk_fma_f32 v[0:1], v[0:1], v[106:107], v[2:3] neg_lo:[0,0,1] neg_hi:[0,0,1]
	v_pk_add_f32 v[28:29], v[28:29], v[0:1]
	v_or_b32_e32 v0, s17, v153
	v_lshlrev_b32_e32 v1, 2, v0
	v_lshrrev_b32_e32 v54, 1, v0
	ds_read_b128 v[12:15], v1 offset:16896
	ds_read_b128 v[8:11], v1 offset:16912
	;; [unrolled: 1-line block ×4, first 2 shown]
	ds_read_b64 v[134:135], v54 offset:27200
	v_mov_b32_e32 v63, 0
	v_mov_b32_e32 v254, 0
	v_mov_b32_e32 v255, 0
	v_mov_b32_e32 v54, 0
	v_mov_b32_e32 v55, 0
	v_mov_b32_e32 v253, 0
	v_mov_b32_e32 v252, 0
	s_waitcnt lgkmcnt(4)
	v_dot4c_i32_i8_e32 v61, v193, v12
	s_waitcnt lgkmcnt(2)
	v_dot4c_i32_i8_e32 v63, v192, v4
	v_dot4c_i32_i8_e32 v254, v190, v12
	;; [unrolled: 1-line block ×32, first 2 shown]
	s_waitcnt lgkmcnt(1)
	v_dot4c_i32_i8_e32 v63, v215, v0
	v_dot4c_i32_i8_e32 v254, v207, v8
	;; [unrolled: 1-line block ×15, first 2 shown]
	v_or_b32_e32 v0, s17, v156
	v_dot4c_i32_i8_e32 v61, v199, v10
	v_dot4c_i32_i8_e32 v63, v217, v2
	v_dot4c_i32_i8_e32 v254, v209, v10
	v_dot4c_i32_i8_e32 v255, v228, v2
	v_dot4c_i32_i8_e32 v54, v235, v10
	v_dot4c_i32_i8_e32 v55, v243, v2
	v_dot4c_i32_i8_e32 v253, v250, v10
	v_dot4c_i32_i8_e32 v252, v185, v2
	v_lshlrev_b32_e32 v1, 2, v0
	v_lshrrev_b32_e32 v56, 1, v0
	v_dot4c_i32_i8_e32 v61, v200, v11
	v_dot4c_i32_i8_e32 v63, v218, v3
	;; [unrolled: 1-line block ×8, first 2 shown]
	ds_read_b128 v[12:15], v1 offset:16896
	ds_read_b128 v[8:11], v1 offset:16912
	;; [unrolled: 1-line block ×4, first 2 shown]
	ds_read_b64 v[56:57], v56 offset:27200
	v_mov_b32_e32 v86, 0
	s_waitcnt lgkmcnt(4)
	v_dot4c_i32_i8_e32 v86, v193, v12
	v_mov_b32_e32 v88, 0
	v_dot4c_i32_i8_e32 v86, v194, v13
	s_waitcnt lgkmcnt(2)
	v_dot4c_i32_i8_e32 v88, v192, v4
	v_dot4c_i32_i8_e32 v86, v195, v14
	;; [unrolled: 1-line block ×8, first 2 shown]
	s_waitcnt lgkmcnt(1)
	v_dot4c_i32_i8_e32 v88, v215, v0
	v_dot4c_i32_i8_e32 v86, v199, v10
	;; [unrolled: 1-line block ×6, first 2 shown]
	s_waitcnt lgkmcnt(0)
	v_cvt_f32_f16_e32 v133, v56
	v_cvt_f32_f16_sdwa v131, v56 dst_sel:DWORD dst_unused:UNUSED_PAD src0_sel:WORD_1
	v_cvt_f32_f16_sdwa v130, v134 dst_sel:DWORD dst_unused:UNUSED_PAD src0_sel:WORD_1
	v_cvt_f32_f16_e32 v129, v57
	v_cvt_f32_f16_sdwa v127, v57 dst_sel:DWORD dst_unused:UNUSED_PAD src0_sel:WORD_1
	v_mul_lo_u32 v56, v61, v191
	v_mul_lo_u32 v57, v86, v191
	v_cvt_f32_f16_e32 v132, v134
	v_cvt_f32_f16_sdwa v126, v135 dst_sel:DWORD dst_unused:UNUSED_PAD src0_sel:WORD_1
	v_cvt_f32_i32_e32 v57, v57
	v_cvt_f32_i32_e32 v56, v56
	v_mul_lo_u32 v61, v63, v211
	v_mul_lo_u32 v63, v88, v211
	v_cvt_f32_f16_e32 v128, v135
	v_cvt_f32_i32_e32 v89, v63
	v_cvt_f32_i32_e32 v88, v61
	v_pk_fma_f32 v[86:87], v[114:115], v[130:131], 0 op_sel_hi:[0,1,0]
	v_pk_fma_f32 v[56:57], v[56:57], v[132:133], 0 op_sel_hi:[1,1,0]
	;; [unrolled: 1-line block ×3, first 2 shown]
	v_pk_fma_f32 v[56:57], v[88:89], v[128:129], v[56:57]
	v_pk_mul_f32 v[86:87], v[86:87], v[18:19]
	v_pk_fma_f32 v[56:57], v[56:57], v[16:17], v[86:87] neg_lo:[0,0,1] neg_hi:[0,0,1]
	v_pk_add_f32 v[26:27], v[26:27], v[56:57]
	v_mov_b32_e32 v56, 0
	v_dot4c_i32_i8_e32 v56, v190, v12
	v_mov_b32_e32 v61, 0
	v_dot4c_i32_i8_e32 v56, v204, v13
	v_dot4c_i32_i8_e32 v61, v202, v4
	;; [unrolled: 1-line block ×15, first 2 shown]
	v_mul_lo_u32 v63, v254, v201
	v_mul_lo_u32 v56, v56, v201
	v_cvt_f32_i32_e32 v57, v56
	v_cvt_f32_i32_e32 v56, v63
	v_mul_lo_u32 v63, v255, v225
	v_mul_lo_u32 v61, v61, v225
	v_cvt_f32_i32_e32 v89, v61
	v_cvt_f32_i32_e32 v88, v63
	v_pk_fma_f32 v[86:87], v[116:117], v[130:131], 0 op_sel_hi:[0,1,0]
	v_pk_fma_f32 v[56:57], v[56:57], v[132:133], 0 op_sel_hi:[1,1,0]
	;; [unrolled: 1-line block ×3, first 2 shown]
	v_pk_fma_f32 v[56:57], v[88:89], v[128:129], v[56:57]
	v_pk_mul_f32 v[86:87], v[86:87], v[100:101]
	v_pk_fma_f32 v[56:57], v[56:57], v[98:99], v[86:87] neg_lo:[0,0,1] neg_hi:[0,0,1]
	v_pk_add_f32 v[24:25], v[24:25], v[56:57]
	v_mov_b32_e32 v56, 0
	v_mov_b32_e32 v114, 0
	v_dot4c_i32_i8_e32 v56, v203, v12
	v_dot4c_i32_i8_e32 v114, v226, v12
	;; [unrolled: 1-line block ×7, first 2 shown]
	v_mov_b32_e32 v61, 0
	v_dot4c_i32_i8_e32 v114, v247, v15
	v_dot4c_i32_i8_e32 v56, v233, v8
	;; [unrolled: 1-line block ×4, first 2 shown]
	v_mov_b32_e32 v8, 0
	v_dot4c_i32_i8_e32 v61, v237, v5
	v_dot4c_i32_i8_e32 v8, v188, v4
	v_dot4c_i32_i8_e32 v61, v238, v6
	v_dot4c_i32_i8_e32 v8, v189, v5
	v_dot4c_i32_i8_e32 v61, v239, v7
	v_dot4c_i32_i8_e32 v8, v187, v6
	v_dot4c_i32_i8_e32 v56, v234, v9
	v_dot4c_i32_i8_e32 v61, v240, v0
	v_dot4c_i32_i8_e32 v8, v182, v7
	v_dot4c_i32_i8_e32 v56, v235, v10
	v_dot4c_i32_i8_e32 v61, v242, v1
	v_dot4c_i32_i8_e32 v114, v249, v9
	v_dot4c_i32_i8_e32 v8, v183, v0
	v_dot4c_i32_i8_e32 v56, v236, v11
	v_dot4c_i32_i8_e32 v61, v243, v2
	v_dot4c_i32_i8_e32 v114, v250, v10
	v_dot4c_i32_i8_e32 v8, v184, v1
	v_dot4c_i32_i8_e32 v61, v244, v3
	v_mul_lo_u32 v54, v54, v219
	v_mul_lo_u32 v56, v56, v219
	v_dot4c_i32_i8_e32 v114, v251, v11
	v_dot4c_i32_i8_e32 v8, v185, v2
	v_cvt_f32_i32_e32 v57, v56
	v_cvt_f32_i32_e32 v56, v54
	v_mul_lo_u32 v54, v55, v241
	v_mul_lo_u32 v55, v61, v241
	v_dot4c_i32_i8_e32 v8, v186, v3
	v_mul_lo_u32 v0, v253, v113
	v_mul_lo_u32 v1, v114, v113
	v_cvt_f32_i32_e32 v55, v55
	v_cvt_f32_i32_e32 v54, v54
	;; [unrolled: 1-line block ×4, first 2 shown]
	v_mul_lo_u32 v4, v252, v181
	v_mul_lo_u32 v5, v8, v181
	v_cvt_f32_i32_e32 v5, v5
	v_cvt_f32_i32_e32 v4, v4
	v_pk_fma_f32 v[56:57], v[56:57], v[132:133], 0 op_sel_hi:[1,1,0]
	v_pk_fma_f32 v[86:87], v[120:121], v[130:131], 0 op_sel_hi:[0,1,0]
	;; [unrolled: 1-line block ×3, first 2 shown]
	v_pk_fma_f32 v[54:55], v[54:55], v[128:129], v[56:57]
	v_pk_fma_f32 v[56:57], v[124:125], v[126:127], v[86:87] op_sel_hi:[0,1,1]
	v_pk_fma_f32 v[0:1], v[0:1], v[132:133], 0 op_sel_hi:[1,1,0]
	;; [unrolled: 1-line block ×3, first 2 shown]
	v_pk_mul_f32 v[56:57], v[56:57], v[104:105]
	v_pk_fma_f32 v[0:1], v[4:5], v[128:129], v[0:1]
	v_pk_mul_f32 v[2:3], v[2:3], v[108:109]
	v_pk_fma_f32 v[54:55], v[54:55], v[102:103], v[56:57] neg_lo:[0,0,1] neg_hi:[0,0,1]
	v_pk_fma_f32 v[0:1], v[0:1], v[106:107], v[2:3] neg_lo:[0,0,1] neg_hi:[0,0,1]
	v_pk_add_f32 v[22:23], v[22:23], v[54:55]
	v_pk_add_f32 v[20:21], v[20:21], v[0:1]
	s_mov_b32 s18, 8
	s_and_b64 vcc, exec, s[4:5]
	s_mov_b64 s[4:5], 0
	s_cbranch_vccnz .LBB171_6
; %bb.7:                                ;   in Loop: Header=BB171_5 Depth=1
	v_add_u32_e32 v14, s16, v159
	v_add_u32_e32 v0, v14, v125
	v_add_u32_e32 v2, v14, v137
	v_add_u32_e32 v4, v14, v140
	v_add_u32_e32 v6, v14, v143
	v_add_u32_e32 v8, v14, v146
	v_mad_i64_i32 v[0:1], s[4:5], v0, 36, v[94:95]
	v_mad_i64_i32 v[2:3], s[4:5], v2, 36, v[94:95]
	;; [unrolled: 1-line block ×5, first 2 shown]
	v_add_u32_e32 v10, v14, v149
	v_add_u32_e32 v12, v14, v152
	;; [unrolled: 1-line block ×3, first 2 shown]
	s_barrier
	v_mad_i64_i32 v[10:11], s[4:5], v10, 36, v[94:95]
	v_mad_i64_i32 v[12:13], s[4:5], v12, 36, v[94:95]
	;; [unrolled: 1-line block ×3, first 2 shown]
	global_load_dword v16, v[0:1], off offset:4
	s_nop 0
	global_load_dword v2, v[2:3], off offset:4
	s_nop 0
	;; [unrolled: 2-line block ×3, first 2 shown]
	global_load_dword v4, v[6:7], off offset:4
	global_load_dword v5, v[8:9], off offset:4
	s_nop 0
	global_load_dword v6, v[10:11], off offset:4
	global_load_dword v7, v[12:13], off offset:4
	;; [unrolled: 1-line block ×3, first 2 shown]
	v_add_u32_e32 v0, 4, v111
	v_mad_u64_u32 v[0:1], s[4:5], v0, 36, s[2:3]
	global_load_dword v0, v[0:1], off
	s_mov_b32 s4, 16
	s_mov_b32 s5, 0
	v_mov_b32_e32 v127, v169
	v_mov_b32_e32 v129, v168
	s_mov_b32 s16, 0
	v_mov_b32_e32 v181, v167
	s_waitcnt vmcnt(8)
	ds_write_b32 v136, v16
	s_waitcnt vmcnt(7)
	ds_write_b32 v139, v2
	;; [unrolled: 2-line block ×9, first 2 shown]
	s_waitcnt lgkmcnt(0)
	s_barrier
	ds_read_b32 v0, v158
	ds_read_b32 v1, v160 offset:128
	ds_read_b32 v2, v161 offset:256
	;; [unrolled: 1-line block ×3, first 2 shown]
	s_waitcnt lgkmcnt(2)
	v_cvt_f32_f16_e32 v102, v1
	v_cvt_f32_f16_e32 v98, v0
	v_cvt_f32_f16_sdwa v100, v0 dst_sel:DWORD dst_unused:UNUSED_PAD src0_sel:WORD_1
	v_cvt_f32_f16_sdwa v104, v1 dst_sel:DWORD dst_unused:UNUSED_PAD src0_sel:WORD_1
	s_waitcnt lgkmcnt(1)
	v_cvt_f32_f16_e32 v106, v2
	v_cvt_f32_f16_sdwa v108, v2 dst_sel:DWORD dst_unused:UNUSED_PAD src0_sel:WORD_1
	s_waitcnt lgkmcnt(0)
	v_cvt_f32_f16_e32 v110, v3
	v_cvt_f32_f16_sdwa v112, v3 dst_sel:DWORD dst_unused:UNUSED_PAD src0_sel:WORD_1
	v_mov_b32_e32 v99, v98
	v_mov_b32_e32 v101, v100
	;; [unrolled: 1-line block ×8, first 2 shown]
.LBB171_8:                              ;   Parent Loop BB171_5 Depth=1
                                        ; =>  This Inner Loop Header: Depth=2
	s_lshr_b32 s17, s4, 2
	s_and_b32 s17, s17, 0x3ffffffc
	v_add_u32_e32 v56, s5, v170
	ds_read_b128 v[16:19], v127
	ds_read_b128 v[12:15], v127 offset:16
	ds_read_b128 v[8:11], v127 offset:32
	;; [unrolled: 1-line block ×3, first 2 shown]
	ds_read2_b64 v[0:3], v129 offset1:16
	v_add3_u32 v54, v174, s17, v56
	ds_read2_b32 v[86:87], v181 offset1:1
	ds_read2_b32 v[88:89], v181 offset0:2 offset1:3
	ds_read2_b32 v[130:131], v181 offset0:4 offset1:5
	;; [unrolled: 1-line block ×3, first 2 shown]
	ds_read_u16 v57, v54 offset:25088
	ds_read_u16 v54, v54 offset:25096
	s_waitcnt lgkmcnt(5)
	v_lshrrev_b32_e32 v61, 4, v87
	v_and_b32_e32 v199, 0xf0f0f0f, v86
	v_and_b32_e32 v198, 0xf0f0f0f, v87
	s_waitcnt lgkmcnt(1)
	v_and_b32_e32 v208, 0xff, v57
	v_lshrrev_b16_e32 v221, 8, v57
	v_add_u32_e32 v57, 0x1080, v181
	v_lshrrev_b32_e32 v55, 4, v86
	v_and_b32_e32 v222, 0xf0f0f0f, v61
	v_lshrrev_b32_e32 v61, 4, v88
	ds_read2_b32 v[86:87], v57 offset1:1
	v_add_u32_e32 v57, 0x1088, v181
	v_and_b32_e32 v201, 0xf0f0f0f, v88
	v_and_b32_e32 v202, 0xf0f0f0f, v89
	;; [unrolled: 1-line block ×3, first 2 shown]
	v_lshrrev_b32_e32 v61, 4, v89
	ds_read2_b32 v[88:89], v57 offset1:1
	v_and_b32_e32 v224, 0xf0f0f0f, v61
	v_lshrrev_b32_e32 v61, 4, v130
	v_add_u32_e32 v57, 0x1090, v181
	v_and_b32_e32 v205, 0xf0f0f0f, v130
	v_and_b32_e32 v206, 0xf0f0f0f, v131
	;; [unrolled: 1-line block ×3, first 2 shown]
	v_lshrrev_b32_e32 v61, 4, v131
	ds_read2_b32 v[130:131], v57 offset1:1
	v_and_b32_e32 v226, 0xf0f0f0f, v61
	v_lshrrev_b32_e32 v61, 4, v132
	v_add_u32_e32 v57, 0x1098, v181
	v_and_b32_e32 v210, 0xf0f0f0f, v132
	v_and_b32_e32 v211, 0xf0f0f0f, v133
	;; [unrolled: 1-line block ×3, first 2 shown]
	v_lshrrev_b32_e32 v61, 4, v133
	ds_read2_b32 v[132:133], v57 offset1:1
	s_waitcnt lgkmcnt(3)
	v_lshrrev_b32_e32 v63, 4, v87
	v_cvt_f32_ubyte0_e32 v118, v54
	v_cvt_f32_ubyte1_e32 v122, v54
	v_add3_u32 v54, v173, s17, v56
	v_and_b32_e32 v232, 0xf0f0f0f, v63
	s_waitcnt lgkmcnt(2)
	v_lshrrev_b32_e32 v63, 4, v88
	v_and_b32_e32 v230, 0xf0f0f0f, v61
	ds_read_u16 v57, v54 offset:25600
	ds_read_u16 v61, v54 offset:25608
	v_and_b32_e32 v234, 0xf0f0f0f, v63
	v_lshrrev_b32_e32 v63, 4, v89
	v_and_b32_e32 v236, 0xf0f0f0f, v63
	s_waitcnt lgkmcnt(3)
	v_lshrrev_b32_e32 v63, 4, v130
	v_and_b32_e32 v238, 0xf0f0f0f, v63
	v_lshrrev_b32_e32 v63, 4, v131
	v_and_b32_e32 v241, 0xf0f0f0f, v63
	s_waitcnt lgkmcnt(2)
	v_lshrrev_b32_e32 v63, 4, v132
	s_waitcnt lgkmcnt(1)
	v_and_b32_e32 v215, 0xff, v57
	v_and_b32_e32 v242, 0xf0f0f0f, v63
	v_lshrrev_b32_e32 v63, 4, v133
	v_lshrrev_b16_e32 v239, 8, v57
	v_add_u32_e32 v57, 0x2100, v181
	v_and_b32_e32 v200, 0xf0f0f0f, v86
	v_and_b32_e32 v203, 0xf0f0f0f, v87
	v_lshrrev_b32_e32 v54, 4, v86
	v_and_b32_e32 v244, 0xf0f0f0f, v63
	ds_read2_b32 v[86:87], v57 offset1:1
	v_add_u32_e32 v63, 0x2108, v181
	v_and_b32_e32 v207, 0xf0f0f0f, v88
	v_and_b32_e32 v209, 0xf0f0f0f, v89
	ds_read2_b32 v[88:89], v63 offset1:1
	v_add_u32_e32 v63, 0x2110, v181
	v_and_b32_e32 v213, 0xf0f0f0f, v130
	v_and_b32_e32 v214, 0xf0f0f0f, v131
	ds_read2_b32 v[130:131], v63 offset1:1
	s_waitcnt lgkmcnt(3)
	v_cvt_f32_ubyte0_e32 v120, v61
	v_cvt_f32_ubyte1_e32 v126, v61
	v_add3_u32 v61, v172, s17, v56
	v_add_u32_e32 v63, 0x2118, v181
	v_and_b32_e32 v216, 0xf0f0f0f, v132
	v_and_b32_e32 v217, 0xf0f0f0f, v133
	s_waitcnt lgkmcnt(2)
	v_and_b32_e32 v218, 0xf0f0f0f, v86
	ds_read2_b32 v[132:133], v63 offset1:1
	ds_read_u16 v63, v61 offset:26112
	ds_read_u16 v114, v61 offset:26120
	v_lshrrev_b32_e32 v61, 4, v86
	v_lshrrev_b32_e32 v86, 4, v87
	v_and_b32_e32 v246, 0xf0f0f0f, v86
	s_waitcnt lgkmcnt(4)
	v_lshrrev_b32_e32 v86, 4, v88
	v_and_b32_e32 v247, 0xf0f0f0f, v86
	v_lshrrev_b32_e32 v86, 4, v89
	v_and_b32_e32 v248, 0xf0f0f0f, v86
	s_waitcnt lgkmcnt(3)
	v_lshrrev_b32_e32 v86, 4, v130
	v_and_b32_e32 v249, 0xf0f0f0f, v86
	v_lshrrev_b32_e32 v86, 4, v131
	v_and_b32_e32 v251, 0xf0f0f0f, v86
	s_waitcnt lgkmcnt(2)
	v_lshrrev_b32_e32 v86, 4, v132
	s_waitcnt lgkmcnt(1)
	v_and_b32_e32 v231, 0xff, v63
	v_and_b32_e32 v252, 0xf0f0f0f, v86
	v_lshrrev_b32_e32 v86, 4, v133
	v_lshrrev_b16_e32 v250, 8, v63
	v_add3_u32 v63, v171, s17, v56
	v_add_u32_e32 v56, 0x3180, v181
	v_and_b32_e32 v220, 0xf0f0f0f, v87
	v_and_b32_e32 v253, 0xf0f0f0f, v86
	ds_read2_b32 v[86:87], v56 offset1:1
	v_mov_b32_e32 v254, 0
	v_mov_b32_e32 v255, 0
	;; [unrolled: 1-line block ×4, first 2 shown]
	s_waitcnt lgkmcnt(0)
	v_and_b32_e32 v245, 0xf0f0f0f, v86
	v_dot4c_i32_i8_e32 v254, v199, v16
	v_dot4c_i32_i8_e32 v255, v200, v16
	;; [unrolled: 1-line block ×4, first 2 shown]
	v_and_b32_e32 v204, 0xf0f0f0f, v87
	v_add_u32_e32 v16, 0x3188, v181
	v_dot4c_i32_i8_e32 v254, v198, v17
	v_dot4c_i32_i8_e32 v255, v203, v17
	v_dot4c_i32_i8_e32 v57, v220, v17
	v_dot4c_i32_i8_e32 v56, v204, v17
	ds_read2_b32 v[16:17], v16 offset1:1
	v_and_b32_e32 v228, 0xf0f0f0f, v88
	v_dot4c_i32_i8_e32 v254, v201, v18
	v_dot4c_i32_i8_e32 v255, v207, v18
	v_dot4c_i32_i8_e32 v57, v228, v18
	s_waitcnt lgkmcnt(0)
	v_and_b32_e32 v193, 0xf0f0f0f, v16
	v_and_b32_e32 v229, 0xf0f0f0f, v89
	v_dot4c_i32_i8_e32 v56, v193, v18
	v_and_b32_e32 v192, 0xf0f0f0f, v17
	v_add_u32_e32 v18, 0x3190, v181
	v_dot4c_i32_i8_e32 v254, v202, v19
	v_dot4c_i32_i8_e32 v255, v209, v19
	v_dot4c_i32_i8_e32 v57, v229, v19
	v_dot4c_i32_i8_e32 v56, v192, v19
	ds_read2_b32 v[18:19], v18 offset1:1
	v_and_b32_e32 v233, 0xf0f0f0f, v130
	v_dot4c_i32_i8_e32 v254, v205, v12
	v_dot4c_i32_i8_e32 v255, v213, v12
	v_dot4c_i32_i8_e32 v57, v233, v12
	s_waitcnt lgkmcnt(0)
	v_and_b32_e32 v194, 0xf0f0f0f, v18
	v_and_b32_e32 v235, 0xf0f0f0f, v131
	v_dot4c_i32_i8_e32 v56, v194, v12
	;; [unrolled: 15-line block ×3, first 2 shown]
	v_and_b32_e32 v197, 0xf0f0f0f, v13
	v_dot4c_i32_i8_e32 v254, v211, v15
	v_dot4c_i32_i8_e32 v255, v217, v15
	;; [unrolled: 1-line block ×4, first 2 shown]
	ds_read_u16 v14, v63 offset:26624
	ds_read_u16 v15, v63 offset:26632
	v_lshrrev_b32_e32 v63, 4, v86
	v_and_b32_e32 v212, 0xf0f0f0f, v55
	v_mov_b32_e32 v55, 0
	v_and_b32_e32 v219, 0xf0f0f0f, v54
	v_mov_b32_e32 v54, 0
	;; [unrolled: 2-line block ×4, first 2 shown]
	v_dot4c_i32_i8_e32 v55, v212, v8
	v_dot4c_i32_i8_e32 v54, v219, v8
	;; [unrolled: 1-line block ×4, first 2 shown]
	v_lshrrev_b32_e32 v8, 4, v87
	v_and_b32_e32 v191, 0xf0f0f0f, v8
	v_lshrrev_b32_e32 v8, 4, v16
	v_dot4c_i32_i8_e32 v55, v222, v9
	v_dot4c_i32_i8_e32 v54, v232, v9
	v_dot4c_i32_i8_e32 v61, v246, v9
	v_dot4c_i32_i8_e32 v63, v191, v9
	v_and_b32_e32 v190, 0xf0f0f0f, v8
	v_lshrrev_b32_e32 v8, 4, v17
	v_dot4c_i32_i8_e32 v55, v223, v10
	v_dot4c_i32_i8_e32 v54, v234, v10
	v_dot4c_i32_i8_e32 v61, v247, v10
	v_dot4c_i32_i8_e32 v63, v190, v10
	;; [unrolled: 6-line block ×3, first 2 shown]
	v_and_b32_e32 v185, 0xf0f0f0f, v8
	v_dot4c_i32_i8_e32 v55, v225, v4
	v_dot4c_i32_i8_e32 v54, v238, v4
	;; [unrolled: 1-line block ×4, first 2 shown]
	v_lshrrev_b32_e32 v4, 4, v19
	v_and_b32_e32 v186, 0xf0f0f0f, v4
	v_lshrrev_b32_e32 v4, 4, v12
	v_dot4c_i32_i8_e32 v55, v226, v5
	v_dot4c_i32_i8_e32 v54, v241, v5
	;; [unrolled: 1-line block ×4, first 2 shown]
	v_and_b32_e32 v187, 0xf0f0f0f, v4
	v_lshrrev_b32_e32 v4, 4, v13
	v_dot4c_i32_i8_e32 v55, v227, v6
	v_dot4c_i32_i8_e32 v54, v242, v6
	v_dot4c_i32_i8_e32 v61, v252, v6
	v_dot4c_i32_i8_e32 v63, v187, v6
	v_and_b32_e32 v189, 0xf0f0f0f, v4
	v_dot4c_i32_i8_e32 v55, v230, v7
	v_dot4c_i32_i8_e32 v54, v244, v7
	v_cvt_f32_ubyte0_e32 v124, v114
	v_dot4c_i32_i8_e32 v61, v253, v7
	v_cvt_f32_ubyte1_e32 v128, v114
	s_waitcnt lgkmcnt(1)
	v_and_b32_e32 v183, 0xff, v14
	s_waitcnt lgkmcnt(0)
	v_cvt_f32_ubyte0_e32 v116, v15
	v_dot4c_i32_i8_e32 v63, v189, v7
	v_lshrrev_b16_e32 v182, 8, v14
	v_cvt_f32_ubyte1_e32 v114, v15
	ds_read_b128 v[16:19], v127 offset:1024
	ds_read_b128 v[12:15], v127 offset:1040
	;; [unrolled: 1-line block ×4, first 2 shown]
	v_mov_b32_e32 v86, 0
	s_waitcnt lgkmcnt(3)
	v_dot4c_i32_i8_e32 v86, v199, v16
	v_mov_b32_e32 v88, 0
	v_dot4c_i32_i8_e32 v86, v198, v17
	s_waitcnt lgkmcnt(1)
	v_dot4c_i32_i8_e32 v88, v212, v8
	v_dot4c_i32_i8_e32 v86, v201, v18
	;; [unrolled: 1-line block ×8, first 2 shown]
	s_waitcnt lgkmcnt(0)
	v_dot4c_i32_i8_e32 v88, v225, v4
	v_dot4c_i32_i8_e32 v86, v210, v14
	;; [unrolled: 1-line block ×6, first 2 shown]
	v_cvt_f32_f16_e32 v133, v2
	v_cvt_f32_f16_e32 v132, v0
	v_cvt_f32_f16_sdwa v135, v2 dst_sel:DWORD dst_unused:UNUSED_PAD src0_sel:WORD_1
	v_cvt_f32_f16_sdwa v134, v0 dst_sel:DWORD dst_unused:UNUSED_PAD src0_sel:WORD_1
	v_cvt_f32_f16_e32 v130, v1
	v_cvt_f32_f16_sdwa v2, v1 dst_sel:DWORD dst_unused:UNUSED_PAD src0_sel:WORD_1
	v_mul_lo_u32 v0, v254, v208
	v_mul_lo_u32 v1, v86, v208
	v_cvt_f32_f16_e32 v131, v3
	v_cvt_f32_f16_sdwa v3, v3 dst_sel:DWORD dst_unused:UNUSED_PAD src0_sel:WORD_1
	v_cvt_f32_i32_e32 v1, v1
	v_cvt_f32_i32_e32 v0, v0
	v_mul_lo_u32 v55, v55, v221
	v_mul_lo_u32 v88, v88, v221
	v_cvt_f32_i32_e32 v89, v88
	v_cvt_f32_i32_e32 v88, v55
	v_pk_fma_f32 v[86:87], v[118:119], v[134:135], 0 op_sel_hi:[0,1,0]
	v_pk_fma_f32 v[0:1], v[132:133], v[0:1], 0 op_sel_hi:[1,1,0]
	;; [unrolled: 1-line block ×3, first 2 shown]
	v_pk_fma_f32 v[0:1], v[130:131], v[88:89], v[0:1]
	v_pk_mul_f32 v[86:87], v[86:87], v[100:101]
	v_pk_fma_f32 v[0:1], v[0:1], v[98:99], v[86:87] neg_lo:[0,0,1] neg_hi:[0,0,1]
	v_pk_add_f32 v[50:51], v[50:51], v[0:1]
	v_mov_b32_e32 v0, 0
	v_dot4c_i32_i8_e32 v0, v200, v16
	v_mov_b32_e32 v55, 0
	v_dot4c_i32_i8_e32 v0, v203, v17
	v_dot4c_i32_i8_e32 v55, v219, v8
	;; [unrolled: 1-line block ×15, first 2 shown]
	v_mul_lo_u32 v86, v255, v215
	v_mul_lo_u32 v0, v0, v215
	v_cvt_f32_i32_e32 v1, v0
	v_cvt_f32_i32_e32 v0, v86
	v_mul_lo_u32 v54, v54, v239
	v_mul_lo_u32 v55, v55, v239
	v_cvt_f32_i32_e32 v55, v55
	v_cvt_f32_i32_e32 v54, v54
	v_pk_fma_f32 v[0:1], v[132:133], v[0:1], 0 op_sel_hi:[1,1,0]
	v_pk_fma_f32 v[86:87], v[120:121], v[134:135], 0 op_sel_hi:[0,1,0]
	v_mov_b32_e32 v254, 0
	v_pk_fma_f32 v[0:1], v[130:131], v[54:55], v[0:1]
	v_pk_fma_f32 v[54:55], v[126:127], v[2:3], v[86:87] op_sel_hi:[0,1,1]
	v_pk_mul_f32 v[54:55], v[54:55], v[104:105]
	v_pk_fma_f32 v[0:1], v[0:1], v[102:103], v[54:55] neg_lo:[0,0,1] neg_hi:[0,0,1]
	v_pk_add_f32 v[48:49], v[48:49], v[0:1]
	v_mov_b32_e32 v0, 0
	v_dot4c_i32_i8_e32 v0, v218, v16
	v_mov_b32_e32 v86, 0
	v_dot4c_i32_i8_e32 v0, v220, v17
	v_dot4c_i32_i8_e32 v86, v243, v8
	v_dot4c_i32_i8_e32 v0, v228, v18
	v_dot4c_i32_i8_e32 v86, v246, v9
	v_dot4c_i32_i8_e32 v0, v229, v19
	v_dot4c_i32_i8_e32 v86, v247, v10
	v_dot4c_i32_i8_e32 v0, v233, v12
	v_dot4c_i32_i8_e32 v86, v248, v11
	v_dot4c_i32_i8_e32 v0, v235, v13
	v_dot4c_i32_i8_e32 v86, v249, v4
	v_dot4c_i32_i8_e32 v0, v237, v14
	v_dot4c_i32_i8_e32 v86, v251, v5
	v_dot4c_i32_i8_e32 v0, v240, v15
	v_dot4c_i32_i8_e32 v86, v252, v6
	v_dot4c_i32_i8_e32 v86, v253, v7
	v_mul_lo_u32 v54, v57, v231
	v_mul_lo_u32 v0, v0, v231
	v_cvt_f32_i32_e32 v1, v0
	v_cvt_f32_i32_e32 v0, v54
	v_mul_lo_u32 v57, v61, v250
	v_mul_lo_u32 v61, v86, v250
	v_cvt_f32_i32_e32 v87, v61
	v_cvt_f32_i32_e32 v86, v57
	v_pk_fma_f32 v[54:55], v[124:125], v[134:135], 0 op_sel_hi:[0,1,0]
	v_pk_fma_f32 v[0:1], v[132:133], v[0:1], 0 op_sel_hi:[1,1,0]
	;; [unrolled: 1-line block ×3, first 2 shown]
	v_pk_fma_f32 v[0:1], v[130:131], v[86:87], v[0:1]
	v_pk_mul_f32 v[54:55], v[54:55], v[108:109]
	v_pk_fma_f32 v[0:1], v[0:1], v[106:107], v[54:55] neg_lo:[0,0,1] neg_hi:[0,0,1]
	v_pk_add_f32 v[46:47], v[46:47], v[0:1]
	v_mov_b32_e32 v0, 0
	v_dot4c_i32_i8_e32 v0, v245, v16
	v_dot4c_i32_i8_e32 v0, v204, v17
	;; [unrolled: 1-line block ×5, first 2 shown]
	v_mov_b32_e32 v12, 0
	v_dot4c_i32_i8_e32 v12, v188, v8
	v_dot4c_i32_i8_e32 v12, v191, v9
	;; [unrolled: 1-line block ×11, first 2 shown]
	v_mul_lo_u32 v4, v56, v183
	v_mul_lo_u32 v0, v0, v183
	v_cvt_f32_i32_e32 v1, v0
	v_cvt_f32_i32_e32 v0, v4
	v_mul_lo_u32 v6, v63, v182
	v_mul_lo_u32 v7, v12, v182
	v_cvt_f32_i32_e32 v7, v7
	v_cvt_f32_i32_e32 v6, v6
	v_pk_fma_f32 v[4:5], v[116:117], v[134:135], 0 op_sel_hi:[0,1,0]
	v_pk_fma_f32 v[0:1], v[132:133], v[0:1], 0 op_sel_hi:[1,1,0]
	;; [unrolled: 1-line block ×3, first 2 shown]
	v_pk_fma_f32 v[0:1], v[130:131], v[6:7], v[0:1]
	v_pk_mul_f32 v[2:3], v[2:3], v[112:113]
	v_pk_fma_f32 v[0:1], v[0:1], v[110:111], v[2:3] neg_lo:[0,0,1] neg_hi:[0,0,1]
	v_pk_add_f32 v[44:45], v[44:45], v[0:1]
	ds_read_b128 v[8:11], v127 offset:2048
	ds_read_b128 v[12:15], v127 offset:2064
	ds_read2_b64 v[16:19], v129 offset0:32 offset1:48
	ds_read_b128 v[4:7], v127 offset:2080
	ds_read_b128 v[0:3], v127 offset:2096
	v_mov_b32_e32 v57, 0
	v_mov_b32_e32 v61, 0
	;; [unrolled: 1-line block ×7, first 2 shown]
	s_waitcnt lgkmcnt(4)
	v_dot4c_i32_i8_e32 v57, v199, v8
	s_waitcnt lgkmcnt(1)
	v_dot4c_i32_i8_e32 v61, v212, v4
	v_dot4c_i32_i8_e32 v63, v200, v8
	;; [unrolled: 1-line block ×32, first 2 shown]
	s_waitcnt lgkmcnt(0)
	v_dot4c_i32_i8_e32 v61, v225, v0
	v_dot4c_i32_i8_e32 v63, v213, v12
	;; [unrolled: 1-line block ×31, first 2 shown]
	ds_read_b128 v[12:15], v127 offset:3072
	ds_read_b128 v[8:11], v127 offset:3088
	;; [unrolled: 1-line block ×4, first 2 shown]
	v_mov_b32_e32 v86, 0
	s_waitcnt lgkmcnt(3)
	v_dot4c_i32_i8_e32 v86, v199, v12
	v_mov_b32_e32 v88, 0
	v_dot4c_i32_i8_e32 v86, v198, v13
	s_waitcnt lgkmcnt(1)
	v_dot4c_i32_i8_e32 v88, v212, v4
	v_dot4c_i32_i8_e32 v86, v201, v14
	;; [unrolled: 1-line block ×8, first 2 shown]
	s_waitcnt lgkmcnt(0)
	v_dot4c_i32_i8_e32 v88, v225, v0
	v_dot4c_i32_i8_e32 v86, v210, v10
	;; [unrolled: 1-line block ×6, first 2 shown]
	v_cvt_f32_f16_e32 v133, v18
	v_cvt_f32_f16_e32 v132, v16
	v_cvt_f32_f16_sdwa v135, v18 dst_sel:DWORD dst_unused:UNUSED_PAD src0_sel:WORD_1
	v_cvt_f32_f16_sdwa v134, v16 dst_sel:DWORD dst_unused:UNUSED_PAD src0_sel:WORD_1
	v_cvt_f32_f16_e32 v130, v17
	v_cvt_f32_f16_sdwa v18, v17 dst_sel:DWORD dst_unused:UNUSED_PAD src0_sel:WORD_1
	v_mul_lo_u32 v16, v57, v208
	v_mul_lo_u32 v17, v86, v208
	v_cvt_f32_f16_e32 v131, v19
	v_cvt_f32_f16_sdwa v19, v19 dst_sel:DWORD dst_unused:UNUSED_PAD src0_sel:WORD_1
	v_cvt_f32_i32_e32 v17, v17
	v_cvt_f32_i32_e32 v16, v16
	v_mul_lo_u32 v57, v61, v221
	v_mul_lo_u32 v61, v88, v221
	v_cvt_f32_i32_e32 v89, v61
	v_cvt_f32_i32_e32 v88, v57
	v_pk_fma_f32 v[86:87], v[118:119], v[134:135], 0 op_sel_hi:[0,1,0]
	v_pk_fma_f32 v[16:17], v[16:17], v[132:133], 0 op_sel_hi:[1,1,0]
	;; [unrolled: 1-line block ×3, first 2 shown]
	v_pk_fma_f32 v[16:17], v[88:89], v[130:131], v[16:17]
	v_pk_mul_f32 v[86:87], v[86:87], v[100:101]
	v_pk_fma_f32 v[16:17], v[16:17], v[98:99], v[86:87] neg_lo:[0,0,1] neg_hi:[0,0,1]
	v_pk_add_f32 v[42:43], v[42:43], v[16:17]
	v_mov_b32_e32 v16, 0
	v_dot4c_i32_i8_e32 v16, v200, v12
	v_mov_b32_e32 v57, 0
	v_dot4c_i32_i8_e32 v16, v203, v13
	v_dot4c_i32_i8_e32 v57, v219, v4
	;; [unrolled: 1-line block ×15, first 2 shown]
	v_mul_lo_u32 v61, v63, v215
	v_mul_lo_u32 v16, v16, v215
	v_cvt_f32_i32_e32 v17, v16
	v_cvt_f32_i32_e32 v16, v61
	v_mul_lo_u32 v61, v254, v239
	v_mul_lo_u32 v57, v57, v239
	v_cvt_f32_i32_e32 v89, v57
	v_cvt_f32_i32_e32 v88, v61
	v_pk_fma_f32 v[86:87], v[120:121], v[134:135], 0 op_sel_hi:[0,1,0]
	v_pk_fma_f32 v[16:17], v[16:17], v[132:133], 0 op_sel_hi:[1,1,0]
	;; [unrolled: 1-line block ×3, first 2 shown]
	v_pk_fma_f32 v[16:17], v[88:89], v[130:131], v[16:17]
	v_pk_mul_f32 v[86:87], v[86:87], v[104:105]
	v_pk_fma_f32 v[16:17], v[16:17], v[102:103], v[86:87] neg_lo:[0,0,1] neg_hi:[0,0,1]
	v_pk_add_f32 v[40:41], v[40:41], v[16:17]
	v_mov_b32_e32 v16, 0
	v_dot4c_i32_i8_e32 v16, v218, v12
	v_mov_b32_e32 v61, 0
	v_dot4c_i32_i8_e32 v16, v220, v13
	v_dot4c_i32_i8_e32 v61, v243, v4
	;; [unrolled: 1-line block ×15, first 2 shown]
	v_mul_lo_u32 v56, v56, v231
	v_mul_lo_u32 v16, v16, v231
	v_cvt_f32_i32_e32 v17, v16
	v_cvt_f32_i32_e32 v16, v56
	v_mul_lo_u32 v63, v255, v250
	v_mul_lo_u32 v61, v61, v250
	v_cvt_f32_i32_e32 v87, v61
	v_cvt_f32_i32_e32 v86, v63
	v_pk_fma_f32 v[56:57], v[124:125], v[134:135], 0 op_sel_hi:[0,1,0]
	v_pk_fma_f32 v[16:17], v[16:17], v[132:133], 0 op_sel_hi:[1,1,0]
	;; [unrolled: 1-line block ×3, first 2 shown]
	v_pk_fma_f32 v[16:17], v[86:87], v[130:131], v[16:17]
	v_pk_mul_f32 v[56:57], v[56:57], v[108:109]
	v_pk_fma_f32 v[16:17], v[16:17], v[106:107], v[56:57] neg_lo:[0,0,1] neg_hi:[0,0,1]
	v_pk_add_f32 v[38:39], v[38:39], v[16:17]
	v_mov_b32_e32 v16, 0
	v_dot4c_i32_i8_e32 v16, v245, v12
	v_dot4c_i32_i8_e32 v16, v204, v13
	;; [unrolled: 1-line block ×5, first 2 shown]
	v_mov_b32_e32 v8, 0
	v_dot4c_i32_i8_e32 v8, v188, v4
	v_dot4c_i32_i8_e32 v8, v191, v5
	;; [unrolled: 1-line block ×11, first 2 shown]
	v_mul_lo_u32 v0, v54, v183
	v_mul_lo_u32 v1, v16, v183
	v_cvt_f32_i32_e32 v1, v1
	v_cvt_f32_i32_e32 v0, v0
	v_mul_lo_u32 v4, v55, v182
	v_mul_lo_u32 v5, v8, v182
	v_cvt_f32_i32_e32 v5, v5
	v_cvt_f32_i32_e32 v4, v4
	v_pk_fma_f32 v[2:3], v[116:117], v[134:135], 0 op_sel_hi:[0,1,0]
	v_pk_fma_f32 v[0:1], v[0:1], v[132:133], 0 op_sel_hi:[1,1,0]
	;; [unrolled: 1-line block ×3, first 2 shown]
	v_pk_fma_f32 v[0:1], v[4:5], v[130:131], v[0:1]
	v_pk_mul_f32 v[2:3], v[2:3], v[112:113]
	v_pk_fma_f32 v[0:1], v[0:1], v[110:111], v[2:3] neg_lo:[0,0,1] neg_hi:[0,0,1]
	v_pk_add_f32 v[36:37], v[36:37], v[0:1]
	ds_read_b128 v[12:15], v127 offset:4096
	ds_read_b128 v[8:11], v127 offset:4112
	ds_read2_b64 v[16:19], v129 offset0:64 offset1:80
	ds_read_b128 v[4:7], v127 offset:4128
	ds_read_b128 v[0:3], v127 offset:4144
	v_mov_b32_e32 v61, 0
	v_mov_b32_e32 v63, 0
	;; [unrolled: 1-line block ×8, first 2 shown]
	s_waitcnt lgkmcnt(4)
	v_dot4c_i32_i8_e32 v61, v199, v12
	s_waitcnt lgkmcnt(1)
	v_dot4c_i32_i8_e32 v63, v212, v4
	v_dot4c_i32_i8_e32 v254, v200, v12
	;; [unrolled: 1-line block ×32, first 2 shown]
	s_waitcnt lgkmcnt(0)
	v_dot4c_i32_i8_e32 v63, v225, v0
	v_dot4c_i32_i8_e32 v254, v213, v8
	;; [unrolled: 1-line block ×31, first 2 shown]
	ds_read_b128 v[12:15], v127 offset:5120
	ds_read_b128 v[8:11], v127 offset:5136
	;; [unrolled: 1-line block ×4, first 2 shown]
	v_mov_b32_e32 v86, 0
	s_waitcnt lgkmcnt(3)
	v_dot4c_i32_i8_e32 v86, v199, v12
	v_mov_b32_e32 v88, 0
	v_dot4c_i32_i8_e32 v86, v198, v13
	s_waitcnt lgkmcnt(1)
	v_dot4c_i32_i8_e32 v88, v212, v4
	v_dot4c_i32_i8_e32 v86, v201, v14
	;; [unrolled: 1-line block ×8, first 2 shown]
	s_waitcnt lgkmcnt(0)
	v_dot4c_i32_i8_e32 v88, v225, v0
	v_dot4c_i32_i8_e32 v86, v210, v10
	;; [unrolled: 1-line block ×6, first 2 shown]
	v_cvt_f32_f16_e32 v133, v18
	v_cvt_f32_f16_e32 v132, v16
	v_cvt_f32_f16_sdwa v135, v18 dst_sel:DWORD dst_unused:UNUSED_PAD src0_sel:WORD_1
	v_cvt_f32_f16_sdwa v134, v16 dst_sel:DWORD dst_unused:UNUSED_PAD src0_sel:WORD_1
	v_cvt_f32_f16_e32 v130, v17
	v_cvt_f32_f16_sdwa v18, v17 dst_sel:DWORD dst_unused:UNUSED_PAD src0_sel:WORD_1
	v_mul_lo_u32 v16, v61, v208
	v_mul_lo_u32 v17, v86, v208
	v_cvt_f32_f16_e32 v131, v19
	v_cvt_f32_f16_sdwa v19, v19 dst_sel:DWORD dst_unused:UNUSED_PAD src0_sel:WORD_1
	v_cvt_f32_i32_e32 v17, v17
	v_cvt_f32_i32_e32 v16, v16
	v_mul_lo_u32 v61, v63, v221
	v_mul_lo_u32 v63, v88, v221
	v_cvt_f32_i32_e32 v89, v63
	v_cvt_f32_i32_e32 v88, v61
	v_pk_fma_f32 v[86:87], v[118:119], v[134:135], 0 op_sel_hi:[0,1,0]
	v_pk_fma_f32 v[16:17], v[16:17], v[132:133], 0 op_sel_hi:[1,1,0]
	;; [unrolled: 1-line block ×3, first 2 shown]
	v_pk_fma_f32 v[16:17], v[88:89], v[130:131], v[16:17]
	v_pk_mul_f32 v[86:87], v[86:87], v[100:101]
	v_pk_fma_f32 v[16:17], v[16:17], v[98:99], v[86:87] neg_lo:[0,0,1] neg_hi:[0,0,1]
	v_pk_add_f32 v[34:35], v[34:35], v[16:17]
	v_mov_b32_e32 v16, 0
	v_dot4c_i32_i8_e32 v16, v200, v12
	v_mov_b32_e32 v61, 0
	v_dot4c_i32_i8_e32 v16, v203, v13
	v_dot4c_i32_i8_e32 v61, v219, v4
	;; [unrolled: 1-line block ×15, first 2 shown]
	v_mul_lo_u32 v63, v254, v215
	v_mul_lo_u32 v16, v16, v215
	v_cvt_f32_i32_e32 v17, v16
	v_cvt_f32_i32_e32 v16, v63
	v_mul_lo_u32 v63, v255, v239
	v_mul_lo_u32 v61, v61, v239
	v_cvt_f32_i32_e32 v89, v61
	v_cvt_f32_i32_e32 v88, v63
	v_pk_fma_f32 v[86:87], v[120:121], v[134:135], 0 op_sel_hi:[0,1,0]
	v_pk_fma_f32 v[16:17], v[16:17], v[132:133], 0 op_sel_hi:[1,1,0]
	;; [unrolled: 1-line block ×3, first 2 shown]
	v_pk_fma_f32 v[16:17], v[88:89], v[130:131], v[16:17]
	v_pk_mul_f32 v[86:87], v[86:87], v[104:105]
	v_pk_fma_f32 v[16:17], v[16:17], v[102:103], v[86:87] neg_lo:[0,0,1] neg_hi:[0,0,1]
	v_pk_add_f32 v[32:33], v[32:33], v[16:17]
	v_mov_b32_e32 v16, 0
	v_dot4c_i32_i8_e32 v16, v218, v12
	v_mov_b32_e32 v61, 0
	v_dot4c_i32_i8_e32 v16, v220, v13
	v_dot4c_i32_i8_e32 v61, v243, v4
	;; [unrolled: 1-line block ×15, first 2 shown]
	v_mul_lo_u32 v56, v56, v231
	v_mul_lo_u32 v16, v16, v231
	v_cvt_f32_i32_e32 v17, v16
	v_cvt_f32_i32_e32 v16, v56
	v_mul_lo_u32 v56, v57, v250
	v_mul_lo_u32 v57, v61, v250
	v_cvt_f32_i32_e32 v57, v57
	v_cvt_f32_i32_e32 v56, v56
	v_pk_fma_f32 v[16:17], v[16:17], v[132:133], 0 op_sel_hi:[1,1,0]
	v_pk_fma_f32 v[86:87], v[124:125], v[134:135], 0 op_sel_hi:[0,1,0]
	v_mov_b32_e32 v61, 0
	v_pk_fma_f32 v[16:17], v[56:57], v[130:131], v[16:17]
	v_pk_fma_f32 v[56:57], v[128:129], v[18:19], v[86:87] op_sel_hi:[0,1,1]
	v_pk_mul_f32 v[56:57], v[56:57], v[108:109]
	v_pk_fma_f32 v[16:17], v[16:17], v[106:107], v[56:57] neg_lo:[0,0,1] neg_hi:[0,0,1]
	v_pk_add_f32 v[30:31], v[30:31], v[16:17]
	v_mov_b32_e32 v16, 0
	v_dot4c_i32_i8_e32 v16, v245, v12
	v_dot4c_i32_i8_e32 v16, v204, v13
	;; [unrolled: 1-line block ×5, first 2 shown]
	v_mov_b32_e32 v8, 0
	v_dot4c_i32_i8_e32 v8, v188, v4
	v_dot4c_i32_i8_e32 v8, v191, v5
	;; [unrolled: 1-line block ×11, first 2 shown]
	v_mul_lo_u32 v0, v54, v183
	v_mul_lo_u32 v1, v16, v183
	v_cvt_f32_i32_e32 v1, v1
	v_cvt_f32_i32_e32 v0, v0
	v_mul_lo_u32 v4, v55, v182
	v_mul_lo_u32 v5, v8, v182
	v_cvt_f32_i32_e32 v5, v5
	v_cvt_f32_i32_e32 v4, v4
	v_pk_fma_f32 v[2:3], v[116:117], v[134:135], 0 op_sel_hi:[0,1,0]
	v_pk_fma_f32 v[0:1], v[0:1], v[132:133], 0 op_sel_hi:[1,1,0]
	;; [unrolled: 1-line block ×3, first 2 shown]
	v_pk_fma_f32 v[0:1], v[4:5], v[130:131], v[0:1]
	v_pk_mul_f32 v[2:3], v[2:3], v[112:113]
	v_pk_fma_f32 v[0:1], v[0:1], v[110:111], v[2:3] neg_lo:[0,0,1] neg_hi:[0,0,1]
	v_pk_add_f32 v[28:29], v[28:29], v[0:1]
	ds_read_b128 v[0:3], v127 offset:6144
	ds_read_b128 v[4:7], v127 offset:6160
	ds_read2_b64 v[16:19], v129 offset0:96 offset1:112
	ds_read_b128 v[8:11], v127 offset:6176
	ds_read_b128 v[12:15], v127 offset:6192
	v_mov_b32_e32 v63, 0
	v_mov_b32_e32 v56, 0
	;; [unrolled: 1-line block ×7, first 2 shown]
	s_waitcnt lgkmcnt(4)
	v_dot4c_i32_i8_e32 v61, v199, v0
	s_waitcnt lgkmcnt(1)
	v_dot4c_i32_i8_e32 v63, v212, v8
	v_dot4c_i32_i8_e32 v56, v200, v0
	;; [unrolled: 1-line block ×32, first 2 shown]
	s_waitcnt lgkmcnt(0)
	v_dot4c_i32_i8_e32 v63, v225, v12
	v_dot4c_i32_i8_e32 v56, v213, v4
	;; [unrolled: 1-line block ×31, first 2 shown]
	ds_read_b128 v[8:11], v127 offset:7168
	ds_read_b128 v[12:15], v127 offset:7184
	;; [unrolled: 1-line block ×4, first 2 shown]
	v_mov_b32_e32 v86, 0
	s_waitcnt lgkmcnt(3)
	v_dot4c_i32_i8_e32 v86, v199, v8
	v_mov_b32_e32 v88, 0
	v_dot4c_i32_i8_e32 v86, v198, v9
	s_waitcnt lgkmcnt(1)
	v_dot4c_i32_i8_e32 v88, v212, v4
	v_dot4c_i32_i8_e32 v86, v201, v10
	;; [unrolled: 1-line block ×8, first 2 shown]
	s_waitcnt lgkmcnt(0)
	v_dot4c_i32_i8_e32 v88, v225, v0
	v_dot4c_i32_i8_e32 v86, v210, v14
	;; [unrolled: 1-line block ×6, first 2 shown]
	v_cvt_f32_f16_e32 v135, v18
	v_cvt_f32_f16_e32 v134, v16
	v_cvt_f32_f16_sdwa v133, v18 dst_sel:DWORD dst_unused:UNUSED_PAD src0_sel:WORD_1
	v_cvt_f32_f16_sdwa v132, v16 dst_sel:DWORD dst_unused:UNUSED_PAD src0_sel:WORD_1
	v_cvt_f32_f16_e32 v130, v17
	v_cvt_f32_f16_sdwa v18, v17 dst_sel:DWORD dst_unused:UNUSED_PAD src0_sel:WORD_1
	v_mul_lo_u32 v16, v61, v208
	v_mul_lo_u32 v17, v86, v208
	v_cvt_f32_f16_e32 v131, v19
	v_cvt_f32_f16_sdwa v19, v19 dst_sel:DWORD dst_unused:UNUSED_PAD src0_sel:WORD_1
	v_cvt_f32_i32_e32 v17, v17
	v_cvt_f32_i32_e32 v16, v16
	v_mul_lo_u32 v61, v63, v221
	v_mul_lo_u32 v63, v88, v221
	v_cvt_f32_i32_e32 v89, v63
	v_cvt_f32_i32_e32 v88, v61
	v_pk_fma_f32 v[86:87], v[118:119], v[132:133], 0 op_sel_hi:[0,1,0]
	v_pk_fma_f32 v[16:17], v[16:17], v[134:135], 0 op_sel_hi:[1,1,0]
	;; [unrolled: 1-line block ×3, first 2 shown]
	v_pk_fma_f32 v[16:17], v[88:89], v[130:131], v[16:17]
	v_pk_mul_f32 v[86:87], v[86:87], v[100:101]
	v_pk_fma_f32 v[16:17], v[16:17], v[98:99], v[86:87] neg_lo:[0,0,1] neg_hi:[0,0,1]
	v_pk_add_f32 v[26:27], v[26:27], v[16:17]
	v_mov_b32_e32 v16, 0
	v_dot4c_i32_i8_e32 v16, v200, v8
	v_mov_b32_e32 v61, 0
	v_dot4c_i32_i8_e32 v16, v203, v9
	v_dot4c_i32_i8_e32 v61, v219, v4
	;; [unrolled: 1-line block ×15, first 2 shown]
	v_mul_lo_u32 v56, v56, v215
	v_mul_lo_u32 v16, v16, v215
	v_cvt_f32_i32_e32 v17, v16
	v_cvt_f32_i32_e32 v16, v56
	v_mul_lo_u32 v56, v57, v239
	v_mul_lo_u32 v57, v61, v239
	v_cvt_f32_i32_e32 v57, v57
	v_cvt_f32_i32_e32 v56, v56
	v_pk_fma_f32 v[16:17], v[16:17], v[134:135], 0 op_sel_hi:[1,1,0]
	v_pk_fma_f32 v[86:87], v[120:121], v[132:133], 0 op_sel_hi:[0,1,0]
	v_mov_b32_e32 v61, 0
	v_pk_fma_f32 v[16:17], v[56:57], v[130:131], v[16:17]
	v_pk_fma_f32 v[56:57], v[126:127], v[18:19], v[86:87] op_sel_hi:[0,1,1]
	v_pk_mul_f32 v[56:57], v[56:57], v[104:105]
	v_pk_fma_f32 v[16:17], v[16:17], v[102:103], v[56:57] neg_lo:[0,0,1] neg_hi:[0,0,1]
	v_pk_add_f32 v[24:25], v[24:25], v[16:17]
	v_mov_b32_e32 v16, 0
	v_dot4c_i32_i8_e32 v16, v218, v8
	v_dot4c_i32_i8_e32 v16, v220, v9
	;; [unrolled: 1-line block ×16, first 2 shown]
	v_mul_lo_u32 v54, v54, v231
	v_mul_lo_u32 v16, v16, v231
	v_cvt_f32_i32_e32 v17, v16
	v_cvt_f32_i32_e32 v16, v54
	v_mul_lo_u32 v54, v55, v250
	v_mul_lo_u32 v55, v61, v250
	v_cvt_f32_i32_e32 v55, v55
	v_cvt_f32_i32_e32 v54, v54
	v_pk_fma_f32 v[16:17], v[16:17], v[134:135], 0 op_sel_hi:[1,1,0]
	v_pk_fma_f32 v[56:57], v[124:125], v[132:133], 0 op_sel_hi:[0,1,0]
	s_add_i32 s4, s4, 8
	v_pk_fma_f32 v[16:17], v[54:55], v[130:131], v[16:17]
	v_pk_fma_f32 v[54:55], v[128:129], v[18:19], v[56:57] op_sel_hi:[0,1,1]
	v_pk_mul_f32 v[54:55], v[54:55], v[108:109]
	v_pk_fma_f32 v[16:17], v[16:17], v[106:107], v[54:55] neg_lo:[0,0,1] neg_hi:[0,0,1]
	v_pk_add_f32 v[22:23], v[22:23], v[16:17]
	v_mov_b32_e32 v16, 0
	v_dot4c_i32_i8_e32 v16, v245, v8
	v_mov_b32_e32 v8, 0
	v_dot4c_i32_i8_e32 v16, v204, v9
	v_dot4c_i32_i8_e32 v8, v188, v4
	;; [unrolled: 1-line block ×15, first 2 shown]
	v_mul_lo_u32 v0, v255, v183
	v_mul_lo_u32 v1, v16, v183
	v_cvt_f32_i32_e32 v1, v1
	v_cvt_f32_i32_e32 v0, v0
	v_mul_lo_u32 v4, v254, v182
	v_mul_lo_u32 v5, v8, v182
	v_cvt_f32_i32_e32 v5, v5
	v_cvt_f32_i32_e32 v4, v4
	v_pk_fma_f32 v[2:3], v[116:117], v[132:133], 0 op_sel_hi:[0,1,0]
	v_pk_fma_f32 v[0:1], v[0:1], v[134:135], 0 op_sel_hi:[1,1,0]
	;; [unrolled: 1-line block ×3, first 2 shown]
	v_pk_fma_f32 v[0:1], v[4:5], v[130:131], v[0:1]
	v_pk_mul_f32 v[2:3], v[2:3], v[112:113]
	v_pk_fma_f32 v[0:1], v[0:1], v[110:111], v[2:3] neg_lo:[0,0,1] neg_hi:[0,0,1]
	s_add_i32 s17, s16, 8
	s_add_i32 s16, s16, 16
	s_add_i32 s5, s5, 2
	v_pk_add_f32 v[20:21], v[20:21], v[0:1]
	v_add_u32_e32 v181, 32, v181
	v_add_u32_e32 v129, 8, v129
	;; [unrolled: 1-line block ×3, first 2 shown]
	s_cmp_lt_u32 s16, 24
	s_mov_b32 s16, s17
	s_cbranch_scc1 .LBB171_8
; %bb.9:                                ;   in Loop: Header=BB171_5 Depth=1
	s_add_i32 s0, s0, 1
	s_cmp_eq_u32 s0, s7
	s_barrier
	s_cbranch_scc0 .LBB171_5
; %bb.10:
	buffer_load_dword v1, off, s[20:23], 0 offset:32 ; 4-byte Folded Reload
	buffer_load_dword v2, off, s[20:23], 0 offset:36 ; 4-byte Folded Reload
.LBB171_11:
	s_waitcnt vmcnt(0)
	v_cmp_gt_u32_e32 vcc, s8, v2
	s_and_saveexec_b64 s[0:1], vcc
	s_cbranch_execz .LBB171_62
; %bb.12:
	v_add_u32_e32 v0, s6, v53
	v_mul_lo_u32 v5, v2, s10
	v_cmp_gt_u32_e32 vcc, s10, v0
	s_and_saveexec_b64 s[2:3], vcc
	s_cbranch_execz .LBB171_14
; %bb.13:
	v_bfe_u32 v2, v50, 16, 1
	s_movk_i32 s0, 0x7fff
	v_add3_u32 v2, v50, v2, s0
	v_lshrrev_b32_e32 v2, 16, v2
	v_mov_b32_e32 v3, 0x7fc0
	v_cmp_o_f32_e64 s[0:1], v50, v50
	v_cndmask_b32_e64 v4, v3, v2, s[0:1]
	v_add_u32_e32 v2, v0, v5
	v_mov_b32_e32 v3, 0
	v_lshlrev_b64 v[2:3], 1, v[2:3]
	s_waitcnt lgkmcnt(0)
	v_mov_b32_e32 v6, s13
	v_add_co_u32_e64 v2, s[0:1], s12, v2
	v_addc_co_u32_e64 v3, s[0:1], v6, v3, s[0:1]
	global_store_short v[2:3], v4, off
.LBB171_14:
	s_or_b64 exec, exec, s[2:3]
	v_add_u32_e32 v2, 32, v0
	v_cmp_gt_u32_e64 s[0:1], s10, v2
	s_and_saveexec_b64 s[4:5], s[0:1]
	s_cbranch_execz .LBB171_16
; %bb.15:
	v_bfe_u32 v3, v48, 16, 1
	s_movk_i32 s2, 0x7fff
	v_add3_u32 v3, v48, v3, s2
	v_add_u32_e32 v6, v2, v5
	v_mov_b32_e32 v7, 0
	v_lshrrev_b32_e32 v3, 16, v3
	v_mov_b32_e32 v4, 0x7fc0
	v_cmp_o_f32_e64 s[2:3], v48, v48
	v_lshlrev_b64 v[6:7], 1, v[6:7]
	v_cndmask_b32_e64 v3, v4, v3, s[2:3]
	s_waitcnt lgkmcnt(0)
	v_mov_b32_e32 v4, s13
	v_add_co_u32_e64 v6, s[2:3], s12, v6
	v_addc_co_u32_e64 v7, s[2:3], v4, v7, s[2:3]
	global_store_short v[6:7], v3, off
.LBB171_16:
	s_or_b64 exec, exec, s[4:5]
	v_add_u32_e32 v3, 64, v0
	v_cmp_gt_u32_e64 s[2:3], s10, v3
	s_and_saveexec_b64 s[6:7], s[2:3]
	s_cbranch_execz .LBB171_18
; %bb.17:
	v_bfe_u32 v4, v46, 16, 1
	s_movk_i32 s4, 0x7fff
	v_add3_u32 v4, v46, v4, s4
	v_lshrrev_b32_e32 v4, 16, v4
	v_mov_b32_e32 v6, 0x7fc0
	v_cmp_o_f32_e64 s[4:5], v46, v46
	v_cndmask_b32_e64 v4, v6, v4, s[4:5]
	v_add_u32_e32 v6, v3, v5
	v_mov_b32_e32 v7, 0
	v_lshlrev_b64 v[6:7], 1, v[6:7]
	s_waitcnt lgkmcnt(0)
	v_mov_b32_e32 v8, s13
	v_add_co_u32_e64 v6, s[4:5], s12, v6
	v_addc_co_u32_e64 v7, s[4:5], v8, v7, s[4:5]
	global_store_short v[6:7], v4, off
.LBB171_18:
	s_or_b64 exec, exec, s[6:7]
	v_add_u32_e32 v4, 0x60, v0
	v_cmp_gt_u32_e64 s[4:5], s10, v4
	s_and_saveexec_b64 s[14:15], s[4:5]
	s_cbranch_execz .LBB171_20
; %bb.19:
	v_bfe_u32 v6, v44, 16, 1
	s_movk_i32 s6, 0x7fff
	v_add3_u32 v6, v44, v6, s6
	v_lshrrev_b32_e32 v6, 16, v6
	v_mov_b32_e32 v7, 0x7fc0
	v_cmp_o_f32_e64 s[6:7], v44, v44
	v_cndmask_b32_e64 v8, v7, v6, s[6:7]
	v_add_u32_e32 v6, v4, v5
	v_mov_b32_e32 v7, 0
	v_lshlrev_b64 v[6:7], 1, v[6:7]
	s_waitcnt lgkmcnt(0)
	v_mov_b32_e32 v5, s13
	v_add_co_u32_e64 v6, s[6:7], s12, v6
	v_addc_co_u32_e64 v7, s[6:7], v5, v7, s[6:7]
	global_store_short v[6:7], v8, off
.LBB171_20:
	s_or_b64 exec, exec, s[14:15]
	v_add3_u32 v5, v1, s11, 8
	v_cmp_gt_u32_e64 s[6:7], s8, v5
	s_and_b64 exec, exec, s[6:7]
	s_cbranch_execz .LBB171_62
; %bb.21:
	v_mul_lo_u32 v5, v5, s10
	s_and_saveexec_b64 s[14:15], vcc
	s_cbranch_execnz .LBB171_63
; %bb.22:
	s_or_b64 exec, exec, s[14:15]
	s_and_saveexec_b64 s[14:15], s[0:1]
	s_cbranch_execnz .LBB171_64
.LBB171_23:
	s_or_b64 exec, exec, s[14:15]
	s_and_saveexec_b64 s[14:15], s[2:3]
	s_cbranch_execnz .LBB171_65
.LBB171_24:
	s_or_b64 exec, exec, s[14:15]
	s_and_saveexec_b64 s[14:15], s[4:5]
	s_cbranch_execz .LBB171_26
.LBB171_25:
	v_bfe_u32 v6, v45, 16, 1
	s_movk_i32 s6, 0x7fff
	v_add3_u32 v6, v45, v6, s6
	v_lshrrev_b32_e32 v6, 16, v6
	v_mov_b32_e32 v7, 0x7fc0
	v_cmp_o_f32_e64 s[6:7], v45, v45
	v_cndmask_b32_e64 v8, v7, v6, s[6:7]
	v_add_u32_e32 v6, v5, v4
	v_mov_b32_e32 v7, 0
	v_lshlrev_b64 v[6:7], 1, v[6:7]
	s_waitcnt lgkmcnt(0)
	v_mov_b32_e32 v5, s13
	v_add_co_u32_e64 v6, s[6:7], s12, v6
	v_addc_co_u32_e64 v7, s[6:7], v5, v7, s[6:7]
	global_store_short v[6:7], v8, off
.LBB171_26:
	s_or_b64 exec, exec, s[14:15]
	v_add3_u32 v5, v1, s11, 16
	v_cmp_gt_u32_e64 s[6:7], s8, v5
	s_and_b64 exec, exec, s[6:7]
	s_cbranch_execz .LBB171_62
; %bb.27:
	v_mul_lo_u32 v5, v5, s10
	s_and_saveexec_b64 s[14:15], vcc
	s_cbranch_execnz .LBB171_66
; %bb.28:
	s_or_b64 exec, exec, s[14:15]
	s_and_saveexec_b64 s[14:15], s[0:1]
	s_cbranch_execnz .LBB171_67
.LBB171_29:
	s_or_b64 exec, exec, s[14:15]
	s_and_saveexec_b64 s[14:15], s[2:3]
	s_cbranch_execnz .LBB171_68
.LBB171_30:
	s_or_b64 exec, exec, s[14:15]
	s_and_saveexec_b64 s[14:15], s[4:5]
	s_cbranch_execz .LBB171_32
.LBB171_31:
	v_bfe_u32 v6, v36, 16, 1
	s_movk_i32 s6, 0x7fff
	v_add3_u32 v6, v36, v6, s6
	v_lshrrev_b32_e32 v6, 16, v6
	v_mov_b32_e32 v7, 0x7fc0
	v_cmp_o_f32_e64 s[6:7], v36, v36
	v_cndmask_b32_e64 v8, v7, v6, s[6:7]
	v_add_u32_e32 v6, v5, v4
	v_mov_b32_e32 v7, 0
	v_lshlrev_b64 v[6:7], 1, v[6:7]
	s_waitcnt lgkmcnt(0)
	v_mov_b32_e32 v5, s13
	v_add_co_u32_e64 v6, s[6:7], s12, v6
	v_addc_co_u32_e64 v7, s[6:7], v5, v7, s[6:7]
	global_store_short v[6:7], v8, off
.LBB171_32:
	s_or_b64 exec, exec, s[14:15]
	v_add3_u32 v5, v1, s11, 24
	v_cmp_gt_u32_e64 s[6:7], s8, v5
	s_and_b64 exec, exec, s[6:7]
	s_cbranch_execz .LBB171_62
; %bb.33:
	v_mul_lo_u32 v5, v5, s10
	s_and_saveexec_b64 s[14:15], vcc
	s_cbranch_execnz .LBB171_69
; %bb.34:
	s_or_b64 exec, exec, s[14:15]
	s_and_saveexec_b64 s[14:15], s[0:1]
	s_cbranch_execnz .LBB171_70
.LBB171_35:
	s_or_b64 exec, exec, s[14:15]
	s_and_saveexec_b64 s[14:15], s[2:3]
	s_cbranch_execnz .LBB171_71
.LBB171_36:
	s_or_b64 exec, exec, s[14:15]
	s_and_saveexec_b64 s[14:15], s[4:5]
	s_cbranch_execz .LBB171_38
.LBB171_37:
	v_bfe_u32 v6, v37, 16, 1
	s_movk_i32 s6, 0x7fff
	v_add3_u32 v6, v37, v6, s6
	v_lshrrev_b32_e32 v6, 16, v6
	v_mov_b32_e32 v7, 0x7fc0
	v_cmp_o_f32_e64 s[6:7], v37, v37
	v_cndmask_b32_e64 v8, v7, v6, s[6:7]
	v_add_u32_e32 v6, v5, v4
	v_mov_b32_e32 v7, 0
	v_lshlrev_b64 v[6:7], 1, v[6:7]
	s_waitcnt lgkmcnt(0)
	v_mov_b32_e32 v5, s13
	v_add_co_u32_e64 v6, s[6:7], s12, v6
	v_addc_co_u32_e64 v7, s[6:7], v5, v7, s[6:7]
	global_store_short v[6:7], v8, off
.LBB171_38:
	s_or_b64 exec, exec, s[14:15]
	v_add3_u32 v5, v1, s11, 32
	v_cmp_gt_u32_e64 s[6:7], s8, v5
	s_and_b64 exec, exec, s[6:7]
	s_cbranch_execz .LBB171_62
; %bb.39:
	v_mul_lo_u32 v5, v5, s10
	s_and_saveexec_b64 s[14:15], vcc
	s_cbranch_execnz .LBB171_72
; %bb.40:
	s_or_b64 exec, exec, s[14:15]
	s_and_saveexec_b64 s[14:15], s[0:1]
	s_cbranch_execnz .LBB171_73
.LBB171_41:
	s_or_b64 exec, exec, s[14:15]
	s_and_saveexec_b64 s[14:15], s[2:3]
	s_cbranch_execnz .LBB171_74
.LBB171_42:
	s_or_b64 exec, exec, s[14:15]
	s_and_saveexec_b64 s[14:15], s[4:5]
	s_cbranch_execz .LBB171_44
.LBB171_43:
	v_bfe_u32 v6, v28, 16, 1
	s_movk_i32 s6, 0x7fff
	v_add3_u32 v6, v28, v6, s6
	v_lshrrev_b32_e32 v6, 16, v6
	v_mov_b32_e32 v7, 0x7fc0
	v_cmp_o_f32_e64 s[6:7], v28, v28
	v_cndmask_b32_e64 v8, v7, v6, s[6:7]
	v_add_u32_e32 v6, v5, v4
	v_mov_b32_e32 v7, 0
	v_lshlrev_b64 v[6:7], 1, v[6:7]
	s_waitcnt lgkmcnt(0)
	v_mov_b32_e32 v5, s13
	v_add_co_u32_e64 v6, s[6:7], s12, v6
	v_addc_co_u32_e64 v7, s[6:7], v5, v7, s[6:7]
	global_store_short v[6:7], v8, off
.LBB171_44:
	s_or_b64 exec, exec, s[14:15]
	v_add3_u32 v5, v1, s11, 40
	v_cmp_gt_u32_e64 s[6:7], s8, v5
	s_and_b64 exec, exec, s[6:7]
	s_cbranch_execz .LBB171_62
; %bb.45:
	v_mul_lo_u32 v5, v5, s10
	s_and_saveexec_b64 s[14:15], vcc
	s_cbranch_execnz .LBB171_75
; %bb.46:
	s_or_b64 exec, exec, s[14:15]
	s_and_saveexec_b64 s[14:15], s[0:1]
	s_cbranch_execnz .LBB171_76
.LBB171_47:
	s_or_b64 exec, exec, s[14:15]
	s_and_saveexec_b64 s[14:15], s[2:3]
	s_cbranch_execnz .LBB171_77
.LBB171_48:
	s_or_b64 exec, exec, s[14:15]
	s_and_saveexec_b64 s[14:15], s[4:5]
	s_cbranch_execz .LBB171_50
.LBB171_49:
	v_bfe_u32 v6, v29, 16, 1
	s_movk_i32 s6, 0x7fff
	v_add3_u32 v6, v29, v6, s6
	v_lshrrev_b32_e32 v6, 16, v6
	v_mov_b32_e32 v7, 0x7fc0
	v_cmp_o_f32_e64 s[6:7], v29, v29
	v_cndmask_b32_e64 v8, v7, v6, s[6:7]
	v_add_u32_e32 v6, v5, v4
	v_mov_b32_e32 v7, 0
	v_lshlrev_b64 v[6:7], 1, v[6:7]
	s_waitcnt lgkmcnt(0)
	v_mov_b32_e32 v5, s13
	v_add_co_u32_e64 v6, s[6:7], s12, v6
	v_addc_co_u32_e64 v7, s[6:7], v5, v7, s[6:7]
	global_store_short v[6:7], v8, off
.LBB171_50:
	s_or_b64 exec, exec, s[14:15]
	v_add3_u32 v5, v1, s11, 48
	v_cmp_gt_u32_e64 s[6:7], s8, v5
	s_and_b64 exec, exec, s[6:7]
	s_cbranch_execz .LBB171_62
; %bb.51:
	v_mul_lo_u32 v5, v5, s10
	s_and_saveexec_b64 s[14:15], vcc
	s_cbranch_execnz .LBB171_78
; %bb.52:
	s_or_b64 exec, exec, s[14:15]
	s_and_saveexec_b64 s[14:15], s[0:1]
	s_cbranch_execnz .LBB171_79
.LBB171_53:
	s_or_b64 exec, exec, s[14:15]
	s_and_saveexec_b64 s[14:15], s[2:3]
	s_cbranch_execnz .LBB171_80
.LBB171_54:
	s_or_b64 exec, exec, s[14:15]
	s_and_saveexec_b64 s[14:15], s[4:5]
	s_cbranch_execz .LBB171_56
.LBB171_55:
	v_bfe_u32 v6, v20, 16, 1
	s_movk_i32 s6, 0x7fff
	v_add3_u32 v6, v20, v6, s6
	v_lshrrev_b32_e32 v6, 16, v6
	v_mov_b32_e32 v7, 0x7fc0
	v_cmp_o_f32_e64 s[6:7], v20, v20
	v_cndmask_b32_e64 v8, v7, v6, s[6:7]
	v_add_u32_e32 v6, v5, v4
	v_mov_b32_e32 v7, 0
	v_lshlrev_b64 v[6:7], 1, v[6:7]
	s_waitcnt lgkmcnt(0)
	v_mov_b32_e32 v5, s13
	v_add_co_u32_e64 v6, s[6:7], s12, v6
	v_addc_co_u32_e64 v7, s[6:7], v5, v7, s[6:7]
	global_store_short v[6:7], v8, off
.LBB171_56:
	s_or_b64 exec, exec, s[14:15]
	v_add3_u32 v1, v1, s11, 56
	v_cmp_gt_u32_e64 s[6:7], s8, v1
	s_and_b64 exec, exec, s[6:7]
	s_cbranch_execz .LBB171_62
; %bb.57:
	v_mul_lo_u32 v1, v1, s10
	s_and_saveexec_b64 s[6:7], vcc
	s_cbranch_execnz .LBB171_81
; %bb.58:
	s_or_b64 exec, exec, s[6:7]
	s_and_saveexec_b64 s[6:7], s[0:1]
	s_cbranch_execnz .LBB171_82
.LBB171_59:
	s_or_b64 exec, exec, s[6:7]
	s_and_saveexec_b64 s[0:1], s[2:3]
	s_cbranch_execnz .LBB171_83
.LBB171_60:
	s_or_b64 exec, exec, s[0:1]
	s_and_b64 exec, exec, s[4:5]
	s_cbranch_execz .LBB171_62
.LBB171_61:
	v_bfe_u32 v0, v21, 16, 1
	s_movk_i32 s0, 0x7fff
	v_add3_u32 v0, v21, v0, s0
	v_lshrrev_b32_e32 v0, 16, v0
	v_mov_b32_e32 v2, 0x7fc0
	v_cmp_o_f32_e32 vcc, v21, v21
	v_cndmask_b32_e32 v2, v2, v0, vcc
	v_add_u32_e32 v0, v1, v4
	v_mov_b32_e32 v1, 0
	v_lshlrev_b64 v[0:1], 1, v[0:1]
	s_waitcnt lgkmcnt(0)
	v_mov_b32_e32 v3, s13
	v_add_co_u32_e32 v0, vcc, s12, v0
	v_addc_co_u32_e32 v1, vcc, v3, v1, vcc
	global_store_short v[0:1], v2, off
.LBB171_62:
	s_endpgm
.LBB171_63:
	v_bfe_u32 v6, v51, 16, 1
	s_movk_i32 s6, 0x7fff
	v_add3_u32 v6, v51, v6, s6
	v_lshrrev_b32_e32 v6, 16, v6
	v_mov_b32_e32 v7, 0x7fc0
	v_cmp_o_f32_e64 s[6:7], v51, v51
	v_cndmask_b32_e64 v8, v7, v6, s[6:7]
	v_add_u32_e32 v6, v5, v0
	v_mov_b32_e32 v7, 0
	v_lshlrev_b64 v[6:7], 1, v[6:7]
	s_waitcnt lgkmcnt(0)
	v_mov_b32_e32 v9, s13
	v_add_co_u32_e64 v6, s[6:7], s12, v6
	v_addc_co_u32_e64 v7, s[6:7], v9, v7, s[6:7]
	global_store_short v[6:7], v8, off
	s_or_b64 exec, exec, s[14:15]
	s_and_saveexec_b64 s[14:15], s[0:1]
	s_cbranch_execz .LBB171_23
.LBB171_64:
	v_bfe_u32 v6, v49, 16, 1
	s_movk_i32 s6, 0x7fff
	v_add3_u32 v6, v49, v6, s6
	v_lshrrev_b32_e32 v6, 16, v6
	v_mov_b32_e32 v7, 0x7fc0
	v_cmp_o_f32_e64 s[6:7], v49, v49
	v_cndmask_b32_e64 v8, v7, v6, s[6:7]
	v_add_u32_e32 v6, v5, v2
	v_mov_b32_e32 v7, 0
	v_lshlrev_b64 v[6:7], 1, v[6:7]
	s_waitcnt lgkmcnt(0)
	v_mov_b32_e32 v9, s13
	v_add_co_u32_e64 v6, s[6:7], s12, v6
	v_addc_co_u32_e64 v7, s[6:7], v9, v7, s[6:7]
	global_store_short v[6:7], v8, off
	s_or_b64 exec, exec, s[14:15]
	s_and_saveexec_b64 s[14:15], s[2:3]
	s_cbranch_execz .LBB171_24
.LBB171_65:
	v_bfe_u32 v6, v47, 16, 1
	s_movk_i32 s6, 0x7fff
	v_add3_u32 v6, v47, v6, s6
	v_lshrrev_b32_e32 v6, 16, v6
	v_mov_b32_e32 v7, 0x7fc0
	v_cmp_o_f32_e64 s[6:7], v47, v47
	v_cndmask_b32_e64 v8, v7, v6, s[6:7]
	v_add_u32_e32 v6, v5, v3
	v_mov_b32_e32 v7, 0
	v_lshlrev_b64 v[6:7], 1, v[6:7]
	s_waitcnt lgkmcnt(0)
	v_mov_b32_e32 v9, s13
	v_add_co_u32_e64 v6, s[6:7], s12, v6
	v_addc_co_u32_e64 v7, s[6:7], v9, v7, s[6:7]
	global_store_short v[6:7], v8, off
	s_or_b64 exec, exec, s[14:15]
	s_and_saveexec_b64 s[14:15], s[4:5]
	s_cbranch_execnz .LBB171_25
	s_branch .LBB171_26
.LBB171_66:
	v_bfe_u32 v6, v42, 16, 1
	s_movk_i32 s6, 0x7fff
	v_add3_u32 v6, v42, v6, s6
	v_lshrrev_b32_e32 v6, 16, v6
	v_mov_b32_e32 v7, 0x7fc0
	v_cmp_o_f32_e64 s[6:7], v42, v42
	v_cndmask_b32_e64 v8, v7, v6, s[6:7]
	v_add_u32_e32 v6, v5, v0
	v_mov_b32_e32 v7, 0
	v_lshlrev_b64 v[6:7], 1, v[6:7]
	s_waitcnt lgkmcnt(0)
	v_mov_b32_e32 v9, s13
	v_add_co_u32_e64 v6, s[6:7], s12, v6
	v_addc_co_u32_e64 v7, s[6:7], v9, v7, s[6:7]
	global_store_short v[6:7], v8, off
	s_or_b64 exec, exec, s[14:15]
	s_and_saveexec_b64 s[14:15], s[0:1]
	s_cbranch_execz .LBB171_29
.LBB171_67:
	v_bfe_u32 v6, v40, 16, 1
	s_movk_i32 s6, 0x7fff
	v_add3_u32 v6, v40, v6, s6
	v_lshrrev_b32_e32 v6, 16, v6
	v_mov_b32_e32 v7, 0x7fc0
	v_cmp_o_f32_e64 s[6:7], v40, v40
	v_cndmask_b32_e64 v8, v7, v6, s[6:7]
	v_add_u32_e32 v6, v5, v2
	v_mov_b32_e32 v7, 0
	v_lshlrev_b64 v[6:7], 1, v[6:7]
	s_waitcnt lgkmcnt(0)
	v_mov_b32_e32 v9, s13
	v_add_co_u32_e64 v6, s[6:7], s12, v6
	v_addc_co_u32_e64 v7, s[6:7], v9, v7, s[6:7]
	global_store_short v[6:7], v8, off
	s_or_b64 exec, exec, s[14:15]
	s_and_saveexec_b64 s[14:15], s[2:3]
	s_cbranch_execz .LBB171_30
.LBB171_68:
	v_bfe_u32 v6, v38, 16, 1
	s_movk_i32 s6, 0x7fff
	v_add3_u32 v6, v38, v6, s6
	v_lshrrev_b32_e32 v6, 16, v6
	v_mov_b32_e32 v7, 0x7fc0
	v_cmp_o_f32_e64 s[6:7], v38, v38
	v_cndmask_b32_e64 v8, v7, v6, s[6:7]
	v_add_u32_e32 v6, v5, v3
	v_mov_b32_e32 v7, 0
	v_lshlrev_b64 v[6:7], 1, v[6:7]
	s_waitcnt lgkmcnt(0)
	v_mov_b32_e32 v9, s13
	v_add_co_u32_e64 v6, s[6:7], s12, v6
	v_addc_co_u32_e64 v7, s[6:7], v9, v7, s[6:7]
	global_store_short v[6:7], v8, off
	s_or_b64 exec, exec, s[14:15]
	s_and_saveexec_b64 s[14:15], s[4:5]
	s_cbranch_execnz .LBB171_31
	s_branch .LBB171_32
.LBB171_69:
	v_bfe_u32 v6, v43, 16, 1
	s_movk_i32 s6, 0x7fff
	v_add3_u32 v6, v43, v6, s6
	v_lshrrev_b32_e32 v6, 16, v6
	v_mov_b32_e32 v7, 0x7fc0
	v_cmp_o_f32_e64 s[6:7], v43, v43
	v_cndmask_b32_e64 v8, v7, v6, s[6:7]
	v_add_u32_e32 v6, v5, v0
	v_mov_b32_e32 v7, 0
	v_lshlrev_b64 v[6:7], 1, v[6:7]
	s_waitcnt lgkmcnt(0)
	v_mov_b32_e32 v9, s13
	v_add_co_u32_e64 v6, s[6:7], s12, v6
	v_addc_co_u32_e64 v7, s[6:7], v9, v7, s[6:7]
	global_store_short v[6:7], v8, off
	s_or_b64 exec, exec, s[14:15]
	s_and_saveexec_b64 s[14:15], s[0:1]
	s_cbranch_execz .LBB171_35
.LBB171_70:
	v_bfe_u32 v6, v41, 16, 1
	s_movk_i32 s6, 0x7fff
	v_add3_u32 v6, v41, v6, s6
	v_lshrrev_b32_e32 v6, 16, v6
	v_mov_b32_e32 v7, 0x7fc0
	v_cmp_o_f32_e64 s[6:7], v41, v41
	v_cndmask_b32_e64 v8, v7, v6, s[6:7]
	v_add_u32_e32 v6, v5, v2
	v_mov_b32_e32 v7, 0
	v_lshlrev_b64 v[6:7], 1, v[6:7]
	s_waitcnt lgkmcnt(0)
	v_mov_b32_e32 v9, s13
	v_add_co_u32_e64 v6, s[6:7], s12, v6
	v_addc_co_u32_e64 v7, s[6:7], v9, v7, s[6:7]
	global_store_short v[6:7], v8, off
	s_or_b64 exec, exec, s[14:15]
	s_and_saveexec_b64 s[14:15], s[2:3]
	s_cbranch_execz .LBB171_36
.LBB171_71:
	v_bfe_u32 v6, v39, 16, 1
	s_movk_i32 s6, 0x7fff
	v_add3_u32 v6, v39, v6, s6
	v_lshrrev_b32_e32 v6, 16, v6
	v_mov_b32_e32 v7, 0x7fc0
	v_cmp_o_f32_e64 s[6:7], v39, v39
	v_cndmask_b32_e64 v8, v7, v6, s[6:7]
	v_add_u32_e32 v6, v5, v3
	v_mov_b32_e32 v7, 0
	v_lshlrev_b64 v[6:7], 1, v[6:7]
	s_waitcnt lgkmcnt(0)
	v_mov_b32_e32 v9, s13
	v_add_co_u32_e64 v6, s[6:7], s12, v6
	v_addc_co_u32_e64 v7, s[6:7], v9, v7, s[6:7]
	global_store_short v[6:7], v8, off
	s_or_b64 exec, exec, s[14:15]
	s_and_saveexec_b64 s[14:15], s[4:5]
	s_cbranch_execnz .LBB171_37
	s_branch .LBB171_38
.LBB171_72:
	v_bfe_u32 v6, v34, 16, 1
	s_movk_i32 s6, 0x7fff
	v_add3_u32 v6, v34, v6, s6
	v_lshrrev_b32_e32 v6, 16, v6
	v_mov_b32_e32 v7, 0x7fc0
	v_cmp_o_f32_e64 s[6:7], v34, v34
	v_cndmask_b32_e64 v8, v7, v6, s[6:7]
	v_add_u32_e32 v6, v5, v0
	v_mov_b32_e32 v7, 0
	v_lshlrev_b64 v[6:7], 1, v[6:7]
	s_waitcnt lgkmcnt(0)
	v_mov_b32_e32 v9, s13
	v_add_co_u32_e64 v6, s[6:7], s12, v6
	v_addc_co_u32_e64 v7, s[6:7], v9, v7, s[6:7]
	global_store_short v[6:7], v8, off
	s_or_b64 exec, exec, s[14:15]
	s_and_saveexec_b64 s[14:15], s[0:1]
	s_cbranch_execz .LBB171_41
.LBB171_73:
	v_bfe_u32 v6, v32, 16, 1
	s_movk_i32 s6, 0x7fff
	v_add3_u32 v6, v32, v6, s6
	v_lshrrev_b32_e32 v6, 16, v6
	v_mov_b32_e32 v7, 0x7fc0
	v_cmp_o_f32_e64 s[6:7], v32, v32
	v_cndmask_b32_e64 v8, v7, v6, s[6:7]
	v_add_u32_e32 v6, v5, v2
	v_mov_b32_e32 v7, 0
	v_lshlrev_b64 v[6:7], 1, v[6:7]
	s_waitcnt lgkmcnt(0)
	v_mov_b32_e32 v9, s13
	v_add_co_u32_e64 v6, s[6:7], s12, v6
	v_addc_co_u32_e64 v7, s[6:7], v9, v7, s[6:7]
	global_store_short v[6:7], v8, off
	s_or_b64 exec, exec, s[14:15]
	s_and_saveexec_b64 s[14:15], s[2:3]
	s_cbranch_execz .LBB171_42
.LBB171_74:
	v_bfe_u32 v6, v30, 16, 1
	s_movk_i32 s6, 0x7fff
	v_add3_u32 v6, v30, v6, s6
	v_lshrrev_b32_e32 v6, 16, v6
	v_mov_b32_e32 v7, 0x7fc0
	v_cmp_o_f32_e64 s[6:7], v30, v30
	v_cndmask_b32_e64 v8, v7, v6, s[6:7]
	v_add_u32_e32 v6, v5, v3
	v_mov_b32_e32 v7, 0
	v_lshlrev_b64 v[6:7], 1, v[6:7]
	s_waitcnt lgkmcnt(0)
	v_mov_b32_e32 v9, s13
	v_add_co_u32_e64 v6, s[6:7], s12, v6
	v_addc_co_u32_e64 v7, s[6:7], v9, v7, s[6:7]
	global_store_short v[6:7], v8, off
	s_or_b64 exec, exec, s[14:15]
	s_and_saveexec_b64 s[14:15], s[4:5]
	s_cbranch_execnz .LBB171_43
	s_branch .LBB171_44
.LBB171_75:
	v_bfe_u32 v6, v35, 16, 1
	s_movk_i32 s6, 0x7fff
	v_add3_u32 v6, v35, v6, s6
	v_lshrrev_b32_e32 v6, 16, v6
	v_mov_b32_e32 v7, 0x7fc0
	v_cmp_o_f32_e64 s[6:7], v35, v35
	v_cndmask_b32_e64 v8, v7, v6, s[6:7]
	v_add_u32_e32 v6, v5, v0
	v_mov_b32_e32 v7, 0
	v_lshlrev_b64 v[6:7], 1, v[6:7]
	s_waitcnt lgkmcnt(0)
	v_mov_b32_e32 v9, s13
	v_add_co_u32_e64 v6, s[6:7], s12, v6
	v_addc_co_u32_e64 v7, s[6:7], v9, v7, s[6:7]
	global_store_short v[6:7], v8, off
	s_or_b64 exec, exec, s[14:15]
	s_and_saveexec_b64 s[14:15], s[0:1]
	s_cbranch_execz .LBB171_47
.LBB171_76:
	v_bfe_u32 v6, v33, 16, 1
	s_movk_i32 s6, 0x7fff
	v_add3_u32 v6, v33, v6, s6
	v_lshrrev_b32_e32 v6, 16, v6
	v_mov_b32_e32 v7, 0x7fc0
	v_cmp_o_f32_e64 s[6:7], v33, v33
	v_cndmask_b32_e64 v8, v7, v6, s[6:7]
	v_add_u32_e32 v6, v5, v2
	v_mov_b32_e32 v7, 0
	v_lshlrev_b64 v[6:7], 1, v[6:7]
	s_waitcnt lgkmcnt(0)
	v_mov_b32_e32 v9, s13
	v_add_co_u32_e64 v6, s[6:7], s12, v6
	v_addc_co_u32_e64 v7, s[6:7], v9, v7, s[6:7]
	global_store_short v[6:7], v8, off
	s_or_b64 exec, exec, s[14:15]
	s_and_saveexec_b64 s[14:15], s[2:3]
	s_cbranch_execz .LBB171_48
.LBB171_77:
	v_bfe_u32 v6, v31, 16, 1
	s_movk_i32 s6, 0x7fff
	v_add3_u32 v6, v31, v6, s6
	v_lshrrev_b32_e32 v6, 16, v6
	v_mov_b32_e32 v7, 0x7fc0
	v_cmp_o_f32_e64 s[6:7], v31, v31
	v_cndmask_b32_e64 v8, v7, v6, s[6:7]
	v_add_u32_e32 v6, v5, v3
	v_mov_b32_e32 v7, 0
	v_lshlrev_b64 v[6:7], 1, v[6:7]
	s_waitcnt lgkmcnt(0)
	v_mov_b32_e32 v9, s13
	v_add_co_u32_e64 v6, s[6:7], s12, v6
	v_addc_co_u32_e64 v7, s[6:7], v9, v7, s[6:7]
	global_store_short v[6:7], v8, off
	s_or_b64 exec, exec, s[14:15]
	s_and_saveexec_b64 s[14:15], s[4:5]
	s_cbranch_execnz .LBB171_49
	s_branch .LBB171_50
.LBB171_78:
	v_bfe_u32 v6, v26, 16, 1
	s_movk_i32 s6, 0x7fff
	v_add3_u32 v6, v26, v6, s6
	v_lshrrev_b32_e32 v6, 16, v6
	v_mov_b32_e32 v7, 0x7fc0
	v_cmp_o_f32_e64 s[6:7], v26, v26
	v_cndmask_b32_e64 v8, v7, v6, s[6:7]
	v_add_u32_e32 v6, v5, v0
	v_mov_b32_e32 v7, 0
	v_lshlrev_b64 v[6:7], 1, v[6:7]
	s_waitcnt lgkmcnt(0)
	v_mov_b32_e32 v9, s13
	v_add_co_u32_e64 v6, s[6:7], s12, v6
	v_addc_co_u32_e64 v7, s[6:7], v9, v7, s[6:7]
	global_store_short v[6:7], v8, off
	s_or_b64 exec, exec, s[14:15]
	s_and_saveexec_b64 s[14:15], s[0:1]
	s_cbranch_execz .LBB171_53
.LBB171_79:
	v_bfe_u32 v6, v24, 16, 1
	s_movk_i32 s6, 0x7fff
	v_add3_u32 v6, v24, v6, s6
	v_lshrrev_b32_e32 v6, 16, v6
	v_mov_b32_e32 v7, 0x7fc0
	v_cmp_o_f32_e64 s[6:7], v24, v24
	v_cndmask_b32_e64 v8, v7, v6, s[6:7]
	v_add_u32_e32 v6, v5, v2
	v_mov_b32_e32 v7, 0
	v_lshlrev_b64 v[6:7], 1, v[6:7]
	s_waitcnt lgkmcnt(0)
	v_mov_b32_e32 v9, s13
	v_add_co_u32_e64 v6, s[6:7], s12, v6
	v_addc_co_u32_e64 v7, s[6:7], v9, v7, s[6:7]
	global_store_short v[6:7], v8, off
	s_or_b64 exec, exec, s[14:15]
	s_and_saveexec_b64 s[14:15], s[2:3]
	s_cbranch_execz .LBB171_54
.LBB171_80:
	v_bfe_u32 v6, v22, 16, 1
	s_movk_i32 s6, 0x7fff
	v_add3_u32 v6, v22, v6, s6
	v_lshrrev_b32_e32 v6, 16, v6
	v_mov_b32_e32 v7, 0x7fc0
	v_cmp_o_f32_e64 s[6:7], v22, v22
	v_cndmask_b32_e64 v8, v7, v6, s[6:7]
	v_add_u32_e32 v6, v5, v3
	v_mov_b32_e32 v7, 0
	v_lshlrev_b64 v[6:7], 1, v[6:7]
	s_waitcnt lgkmcnt(0)
	v_mov_b32_e32 v9, s13
	v_add_co_u32_e64 v6, s[6:7], s12, v6
	v_addc_co_u32_e64 v7, s[6:7], v9, v7, s[6:7]
	global_store_short v[6:7], v8, off
	s_or_b64 exec, exec, s[14:15]
	s_and_saveexec_b64 s[14:15], s[4:5]
	s_cbranch_execnz .LBB171_55
	s_branch .LBB171_56
.LBB171_81:
	v_bfe_u32 v5, v27, 16, 1
	s_movk_i32 s8, 0x7fff
	v_add3_u32 v5, v27, v5, s8
	v_lshrrev_b32_e32 v5, 16, v5
	v_mov_b32_e32 v6, 0x7fc0
	v_cmp_o_f32_e32 vcc, v27, v27
	v_cndmask_b32_e32 v5, v6, v5, vcc
	v_add_u32_e32 v6, v1, v0
	v_mov_b32_e32 v7, 0
	v_lshlrev_b64 v[6:7], 1, v[6:7]
	s_waitcnt lgkmcnt(0)
	v_mov_b32_e32 v0, s13
	v_add_co_u32_e32 v6, vcc, s12, v6
	v_addc_co_u32_e32 v7, vcc, v0, v7, vcc
	global_store_short v[6:7], v5, off
	s_or_b64 exec, exec, s[6:7]
	s_and_saveexec_b64 s[6:7], s[0:1]
	s_cbranch_execz .LBB171_59
.LBB171_82:
	v_bfe_u32 v0, v25, 16, 1
	s_movk_i32 s0, 0x7fff
	v_add3_u32 v0, v25, v0, s0
	v_add_u32_e32 v6, v1, v2
	v_mov_b32_e32 v7, 0
	v_lshrrev_b32_e32 v0, 16, v0
	v_mov_b32_e32 v5, 0x7fc0
	v_cmp_o_f32_e32 vcc, v25, v25
	v_lshlrev_b64 v[6:7], 1, v[6:7]
	v_cndmask_b32_e32 v0, v5, v0, vcc
	s_waitcnt lgkmcnt(0)
	v_mov_b32_e32 v2, s13
	v_add_co_u32_e32 v6, vcc, s12, v6
	v_addc_co_u32_e32 v7, vcc, v2, v7, vcc
	global_store_short v[6:7], v0, off
	s_or_b64 exec, exec, s[6:7]
	s_and_saveexec_b64 s[0:1], s[2:3]
	s_cbranch_execz .LBB171_60
.LBB171_83:
	v_bfe_u32 v0, v23, 16, 1
	s_movk_i32 s2, 0x7fff
	v_add3_u32 v0, v23, v0, s2
	v_lshrrev_b32_e32 v0, 16, v0
	v_mov_b32_e32 v2, 0x7fc0
	v_cmp_o_f32_e32 vcc, v23, v23
	v_cndmask_b32_e32 v0, v2, v0, vcc
	v_add_u32_e32 v2, v1, v3
	v_mov_b32_e32 v3, 0
	v_lshlrev_b64 v[2:3], 1, v[2:3]
	s_waitcnt lgkmcnt(0)
	v_mov_b32_e32 v5, s13
	v_add_co_u32_e32 v2, vcc, s12, v2
	v_addc_co_u32_e32 v3, vcc, v5, v3, vcc
	global_store_short v[2:3], v0, off
	s_or_b64 exec, exec, s[0:1]
	s_and_b64 exec, exec, s[4:5]
	s_cbranch_execnz .LBB171_61
	s_branch .LBB171_62
	.section	.rodata,"a",@progbits
	.p2align	6, 0x0
	.amdhsa_kernel _ZL12mul_mat_q4_KIN3c108BFloat16ELb0EEvPKvS3_PT_iiiii
		.amdhsa_group_segment_fixed_size 28752
		.amdhsa_private_segment_fixed_size 44
		.amdhsa_kernarg_size 44
		.amdhsa_user_sgpr_count 6
		.amdhsa_user_sgpr_private_segment_buffer 1
		.amdhsa_user_sgpr_dispatch_ptr 0
		.amdhsa_user_sgpr_queue_ptr 0
		.amdhsa_user_sgpr_kernarg_segment_ptr 1
		.amdhsa_user_sgpr_dispatch_id 0
		.amdhsa_user_sgpr_flat_scratch_init 0
		.amdhsa_user_sgpr_kernarg_preload_length 0
		.amdhsa_user_sgpr_kernarg_preload_offset 0
		.amdhsa_user_sgpr_private_segment_size 0
		.amdhsa_uses_dynamic_stack 0
		.amdhsa_system_sgpr_private_segment_wavefront_offset 1
		.amdhsa_system_sgpr_workgroup_id_x 1
		.amdhsa_system_sgpr_workgroup_id_y 1
		.amdhsa_system_sgpr_workgroup_id_z 0
		.amdhsa_system_sgpr_workgroup_info 0
		.amdhsa_system_vgpr_workitem_id 1
		.amdhsa_next_free_vgpr 256
		.amdhsa_next_free_sgpr 24
		.amdhsa_accum_offset 256
		.amdhsa_reserve_vcc 1
		.amdhsa_reserve_flat_scratch 0
		.amdhsa_float_round_mode_32 0
		.amdhsa_float_round_mode_16_64 0
		.amdhsa_float_denorm_mode_32 3
		.amdhsa_float_denorm_mode_16_64 3
		.amdhsa_dx10_clamp 1
		.amdhsa_ieee_mode 1
		.amdhsa_fp16_overflow 0
		.amdhsa_tg_split 0
		.amdhsa_exception_fp_ieee_invalid_op 0
		.amdhsa_exception_fp_denorm_src 0
		.amdhsa_exception_fp_ieee_div_zero 0
		.amdhsa_exception_fp_ieee_overflow 0
		.amdhsa_exception_fp_ieee_underflow 0
		.amdhsa_exception_fp_ieee_inexact 0
		.amdhsa_exception_int_div_zero 0
	.end_amdhsa_kernel
	.section	.text._ZL12mul_mat_q4_KIN3c108BFloat16ELb0EEvPKvS3_PT_iiiii,"axG",@progbits,_ZL12mul_mat_q4_KIN3c108BFloat16ELb0EEvPKvS3_PT_iiiii,comdat
.Lfunc_end171:
	.size	_ZL12mul_mat_q4_KIN3c108BFloat16ELb0EEvPKvS3_PT_iiiii, .Lfunc_end171-_ZL12mul_mat_q4_KIN3c108BFloat16ELb0EEvPKvS3_PT_iiiii
                                        ; -- End function
	.section	.AMDGPU.csdata,"",@progbits
; Kernel info:
; codeLenInByte = 18800
; NumSgprs: 28
; NumVgprs: 256
; NumAgprs: 0
; TotalNumVgprs: 256
; ScratchSize: 44
; MemoryBound: 0
; FloatMode: 240
; IeeeMode: 1
; LDSByteSize: 28752 bytes/workgroup (compile time only)
; SGPRBlocks: 3
; VGPRBlocks: 31
; NumSGPRsForWavesPerEU: 28
; NumVGPRsForWavesPerEU: 256
; AccumOffset: 256
; Occupancy: 2
; WaveLimiterHint : 0
; COMPUTE_PGM_RSRC2:SCRATCH_EN: 1
; COMPUTE_PGM_RSRC2:USER_SGPR: 6
; COMPUTE_PGM_RSRC2:TRAP_HANDLER: 0
; COMPUTE_PGM_RSRC2:TGID_X_EN: 1
; COMPUTE_PGM_RSRC2:TGID_Y_EN: 1
; COMPUTE_PGM_RSRC2:TGID_Z_EN: 0
; COMPUTE_PGM_RSRC2:TIDIG_COMP_CNT: 1
; COMPUTE_PGM_RSRC3_GFX90A:ACCUM_OFFSET: 63
; COMPUTE_PGM_RSRC3_GFX90A:TG_SPLIT: 0
	.section	.text._ZL12mul_mat_q4_KIN3c108BFloat16ELb1EEvPKvS3_PT_iiiii,"axG",@progbits,_ZL12mul_mat_q4_KIN3c108BFloat16ELb1EEvPKvS3_PT_iiiii,comdat
	.globl	_ZL12mul_mat_q4_KIN3c108BFloat16ELb1EEvPKvS3_PT_iiiii ; -- Begin function _ZL12mul_mat_q4_KIN3c108BFloat16ELb1EEvPKvS3_PT_iiiii
	.p2align	8
	.type	_ZL12mul_mat_q4_KIN3c108BFloat16ELb1EEvPKvS3_PT_iiiii,@function
_ZL12mul_mat_q4_KIN3c108BFloat16ELb1EEvPKvS3_PT_iiiii: ; @_ZL12mul_mat_q4_KIN3c108BFloat16ELb1EEvPKvS3_PT_iiiii
; %bb.0:
	s_mov_b64 s[22:23], s[2:3]
	s_mov_b64 s[20:21], s[0:1]
	s_add_u32 s20, s20, s8
	s_load_dwordx4 s[8:11], s[4:5], 0x18
	s_load_dword s14, s[4:5], 0x28
	s_addc_u32 s21, s21, 0
	s_lshl_b32 s15, s7, 6
	v_bfe_u32 v52, v0, 10, 10
	s_waitcnt lgkmcnt(0)
	s_cmpk_gt_i32 s8, 0xff
	s_cbranch_scc1 .LBB172_2
; %bb.1:
	v_bfe_u32 v1, v0, 10, 10
	v_and_b32_e32 v80, 0x3ff, v0
	v_add_u32_e32 v2, s15, v1
	s_mov_b64 s[0:1], 0
	s_mov_b32 s2, 0
	s_branch .LBB172_3
.LBB172_2:
	s_mov_b64 s[0:1], -1
                                        ; implicit-def: $sgpr2
                                        ; implicit-def: $vgpr1
                                        ; implicit-def: $vgpr80
                                        ; implicit-def: $vgpr2
.LBB172_3:
	s_load_dwordx2 s[12:13], s[4:5], 0x10
	s_lshl_b32 s6, s6, 7
	s_andn2_b64 vcc, exec, s[0:1]
	v_mov_b32_e32 v21, s2
	v_mov_b32_e32 v20, s2
	;; [unrolled: 1-line block ×32, first 2 shown]
	s_cbranch_vccnz .LBB172_11
; %bb.4:
	v_and_b32_e32 v80, 0x3ff, v0
	v_lshlrev_b32_e32 v0, 2, v80
	v_and_b32_e32 v2, 0x7c, v0
	buffer_store_dword v2, off, s[20:23], 0 ; 4-byte Folded Spill
	s_nop 0
	buffer_store_dword v3, off, s[20:23], 0 offset:4 ; 4-byte Folded Spill
	s_load_dwordx4 s[0:3], s[4:5], 0x0
	s_ashr_i32 s4, s8, 31
	s_lshr_b32 s4, s4, 24
	s_add_i32 s4, s8, s4
	s_ashr_i32 s7, s4, 8
	s_ashr_i32 s4, s11, 31
	s_lshr_b32 s4, s4, 27
	s_add_i32 s4, s11, s4
	s_mul_i32 s5, s7, s6
	s_ashr_i32 s4, s4, 5
	s_mul_hi_i32 s16, s5, 0x90
	s_mulk_i32 s5, 0x90
	s_waitcnt lgkmcnt(0)
	s_add_u32 s11, s0, s5
	s_addc_u32 s16, s1, s16
	s_not_b32 s0, s6
	s_add_i32 s5, s0, s9
	v_min_i32_e32 v1, s5, v52
	v_mul_lo_u32 v2, v1, s7
	s_movk_i32 s1, 0x84
	v_mad_u64_u32 v[58:59], s[18:19], v1, s1, v[0:1]
	v_add_u32_e32 v1, 8, v52
	v_add_u32_e32 v7, 24, v52
	;; [unrolled: 1-line block ×6, first 2 shown]
	v_lshlrev_b32_e32 v59, 5, v52
	s_movk_i32 s9, 0x6e40
	v_and_b32_e32 v6, 4, v0
	v_and_b32_e32 v20, 28, v0
	s_movk_i32 s17, 0x6200
	v_add_u32_e32 v22, s15, v52
	v_and_b32_e32 v19, 31, v80
	v_lshlrev_b32_e32 v77, 5, v1
	v_lshlrev_b32_e32 v89, 5, v7
	;; [unrolled: 1-line block ×4, first 2 shown]
	v_lshrrev_b32_e32 v24, 5, v80
	s_mov_b32 s0, 0
	v_mad_u32_u24 v153, v80, s1, 64
	v_mov_b32_e32 v21, s3
	v_lshrrev_b32_e32 v76, 3, v80
	s_movk_i32 s8, 0x90
	v_mov_b32_e32 v72, v24
	v_lshlrev_b32_e32 v168, 4, v80
	v_lshlrev_b32_e32 v172, 2, v76
	;; [unrolled: 1-line block ×3, first 2 shown]
	buffer_store_dword v2, off, s[20:23], 0 offset:8 ; 4-byte Folded Spill
	s_nop 0
	buffer_store_dword v3, off, s[20:23], 0 offset:12 ; 4-byte Folded Spill
	v_min_i32_e32 v2, s5, v1
	v_mul_lo_u32 v4, v2, s7
	buffer_store_dword v4, off, s[20:23], 0 offset:16 ; 4-byte Folded Spill
	s_nop 0
	buffer_store_dword v5, off, s[20:23], 0 offset:20 ; 4-byte Folded Spill
	v_add_u32_e32 v5, 16, v52
	v_mad_u64_u32 v[62:63], s[18:19], v2, s1, v[0:1]
	v_min_i32_e32 v2, s5, v5
	v_mul_lo_u32 v4, v2, s7
	buffer_store_dword v4, off, s[20:23], 0 offset:24 ; 4-byte Folded Spill
	s_nop 0
	buffer_store_dword v5, off, s[20:23], 0 offset:28 ; 4-byte Folded Spill
	v_mad_u64_u32 v[66:67], s[18:19], v2, s1, v[0:1]
	v_min_i32_e32 v2, s5, v7
	v_mul_lo_u32 v4, v2, s7
	v_mad_u64_u32 v[70:71], s[18:19], v2, s1, v[0:1]
	v_min_i32_e32 v2, s5, v10
	v_mad_u64_u32 v[74:75], s[18:19], v2, s1, v[0:1]
	buffer_store_dword v4, off, s[20:23], 0 offset:32 ; 4-byte Folded Spill
	s_nop 0
	buffer_store_dword v5, off, s[20:23], 0 offset:36 ; 4-byte Folded Spill
	v_mul_lo_u32 v4, v2, s7
	v_min_i32_e32 v2, s5, v11
	v_mad_u64_u32 v[78:79], s[18:19], v2, s1, v[0:1]
	buffer_store_dword v4, off, s[20:23], 0 offset:40 ; 4-byte Folded Spill
	s_nop 0
	buffer_store_dword v5, off, s[20:23], 0 offset:44 ; 4-byte Folded Spill
	v_mul_lo_u32 v4, v2, s7
	;; [unrolled: 6-line block ×4, first 2 shown]
	v_add_u32_e32 v2, 64, v52
	v_min_i32_e32 v2, s5, v2
	v_mul_lo_u32 v88, v2, s7
	v_mad_u64_u32 v[90:91], s[18:19], v2, s1, v[0:1]
	v_add_u32_e32 v2, 0x48, v52
	v_min_i32_e32 v2, s5, v2
	v_mul_lo_u32 v92, v2, s7
	v_mad_u64_u32 v[94:95], s[18:19], v2, s1, v[0:1]
	;; [unrolled: 4-line block ×8, first 2 shown]
	v_add_u32_e32 v2, v59, v80
	v_and_b32_e32 v2, 0x7f, v2
	v_min_i32_e32 v2, s5, v2
	v_ashrrev_i32_e32 v3, 31, v2
	v_lshrrev_b32_e32 v3, 27, v3
	v_add_u32_e32 v3, v2, v3
	v_ashrrev_i32_e32 v3, 5, v3
	v_mul_lo_u32 v120, v2, s7
	v_lshlrev_b32_e32 v3, 2, v3
	v_lshlrev_b32_e32 v2, 2, v2
	v_add3_u32 v73, v3, v2, s9
	v_lshrrev_b32_e32 v2, 2, v80
	v_lshl_add_u32 v3, v52, 3, v2
	v_and_b32_e32 v2, 3, v80
	v_cmp_gt_u32_e32 vcc, 2, v2
	v_lshlrev_b32_e32 v15, 2, v2
	v_or_b32_e32 v1, v77, v19
	v_lshlrev_b32_e32 v95, 5, v10
	v_lshlrev_b32_e32 v107, 5, v12
	buffer_store_dword v4, off, s[20:23], 0 offset:64 ; 4-byte Folded Spill
	s_nop 0
	buffer_store_dword v5, off, s[20:23], 0 offset:68 ; 4-byte Folded Spill
	v_add_u32_e32 v4, 0xfe, v2
	v_cndmask_b32_e32 v4, v4, v2, vcc
	v_and_b32_e32 v8, 0xff, v4
	v_cmp_ne_u32_e32 vcc, 0, v2
	v_addc_co_u32_e32 v4, vcc, 0, v8, vcc
	v_lshlrev_b32_e32 v65, 1, v8
	v_and_b32_e32 v8, 0x7f, v3
	v_min_i32_e32 v9, s5, v8
	v_ashrrev_i32_e32 v14, 31, v9
	v_xor_b32_e32 v8, 64, v8
	v_lshrrev_b32_e32 v14, 29, v14
	v_min_i32_e32 v8, s5, v8
	v_mul_lo_u32 v122, v9, s7
	v_add_u32_e32 v14, v9, v14
	v_lshlrev_b32_e32 v16, 4, v9
	v_ashrrev_i32_e32 v9, 31, v8
	v_cmp_lt_u32_e32 vcc, 1, v2
	v_lshrrev_b32_e32 v9, 29, v9
	v_and_b32_e32 v3, 63, v3
	v_cndmask_b32_e32 v63, 0, v6, vcc
	v_cndmask_b32_e64 v6, 0, 1, vcc
	v_add_u32_e32 v9, v8, v9
	s_add_i32 s5, s10, -1
	v_add_co_u32_e32 v126, vcc, s2, v20
	v_or_b32_e32 v20, s15, v3
	v_ashrrev_i32_e32 v9, 3, v9
	v_min_i32_e32 v20, s5, v20
	v_lshlrev_b32_e32 v9, 2, v9
	v_mad_u64_u32 v[128:129], s[18:19], v20, s4, v[2:3]
	v_lshl_or_b32 v2, v3, 4, v15
	v_mul_lo_u32 v124, v8, s7
	v_add3_u32 v17, v9, v15, s17
	v_lshlrev_b32_e32 v18, 4, v8
	v_cvt_f64_i32_e32 v[8:9], s5
	v_add_u32_e32 v67, 0x6a40, v2
	v_cvt_f64_u32_e32 v[2:3], v22
	v_ashrrev_i32_e32 v14, 3, v14
	v_min_f64 v[2:3], v[2:3], v[8:9]
	v_lshlrev_b32_e32 v14, 2, v14
	v_cvt_i32_f64_e32 v2, v[2:3]
	v_add3_u32 v14, v14, v15, s17
	v_mul_lo_u32 v71, s4, v2
	v_or_b32_e32 v2, v59, v19
	v_mov_b32_e32 v15, 0x4200
	v_lshl_add_u32 v84, v2, 2, v15
	v_add_u32_e32 v2, 8, v22
	v_cvt_f64_u32_e32 v[2:3], v2
	v_min_f64 v[2:3], v[2:3], v[8:9]
	v_cvt_i32_f64_e32 v2, v[2:3]
	v_lshl_add_u32 v79, v1, 2, v15
	v_add_u32_e32 v1, 16, v22
	v_mul_lo_u32 v75, s4, v2
	v_cvt_f64_u32_e32 v[2:3], v1
	v_min_f64 v[2:3], v[2:3], v[8:9]
	v_cvt_i32_f64_e32 v1, v[2:3]
	v_mul_lo_u32 v81, s4, v1
	v_addc_co_u32_e32 v127, vcc, 0, v21, vcc
	buffer_store_dword v22, off, s[20:23], 0 offset:76 ; 4-byte Folded Spill
	v_mul_u32_u24_e32 v129, 0x84, v80
	v_lshl_add_u32 v157, v52, 7, v15
	v_lshlrev_b32_e32 v173, 2, v4
	v_lshlrev_b32_e32 v174, 2, v6
	v_add_u32_e32 v175, v14, v16
	v_add_u32_e32 v176, v17, v18
	buffer_store_dword v52, off, s[20:23], 0 offset:72 ; 4-byte Folded Spill
	v_lshlrev_b32_e32 v83, 5, v5
	v_or_b32_e32 v1, v83, v19
	v_lshl_add_u32 v85, v1, 2, v15
	v_add_u32_e32 v1, 24, v22
	v_cvt_f64_u32_e32 v[2:3], v1
	v_min_f64 v[2:3], v[2:3], v[8:9]
	v_cvt_i32_f64_e32 v1, v[2:3]
	v_mul_lo_u32 v87, s4, v1
	v_or_b32_e32 v1, v89, v19
	v_lshl_add_u32 v91, v1, 2, v15
	v_add_u32_e32 v1, 32, v22
	v_cvt_f64_u32_e32 v[2:3], v1
	v_min_f64 v[2:3], v[2:3], v[8:9]
	v_cvt_i32_f64_e32 v1, v[2:3]
	v_mul_lo_u32 v93, s4, v1
	;; [unrolled: 7-line block ×5, first 2 shown]
	v_or_b32_e32 v1, v113, v19
	v_lshl_add_u32 v115, v1, 2, v15
	v_lshlrev_b32_e32 v1, 2, v24
	v_add3_u32 v117, v1, v0, s9
	v_add_u32_e32 v1, 32, v80
	v_lshrrev_b32_e32 v119, 3, v1
	v_lshlrev_b32_e32 v2, 2, v1
	v_and_b32_e32 v1, 60, v119
	v_add3_u32 v121, v0, v1, s9
	v_add_u32_e32 v1, 64, v80
	v_lshlrev_b32_e32 v3, 2, v1
	v_lshrrev_b32_e32 v1, 3, v1
	v_and_b32_e32 v5, 60, v1
	v_add3_u32 v123, v0, v5, s9
	v_add_u32_e32 v5, 0x60, v80
	v_lshlrev_b32_e32 v7, 2, v5
	v_lshrrev_b32_e32 v5, 3, v5
	v_and_b32_e32 v8, 60, v5
	v_add3_u32 v125, v0, v8, s9
	v_mov_b32_e32 v8, 0x1080
	v_mad_u32_u24 v147, v80, s1, v8
	v_mov_b32_e32 v8, 0x2100
	v_mad_u32_u24 v149, v80, s1, v8
	;; [unrolled: 2-line block ×3, first 2 shown]
	s_mov_b32 s1, s0
	v_mov_b32_e32 v8, 0x6a40
	v_pk_mov_b32 v[50:51], s[0:1], s[0:1] op_sel:[0,1]
	v_lshl_add_u32 v155, v52, 4, v8
	v_lshlrev_b32_e32 v169, 2, v5
	v_lshlrev_b32_e32 v170, 2, v1
	;; [unrolled: 1-line block ×3, first 2 shown]
	s_mov_b32 s1, 0x30303030
	v_lshlrev_b32_e32 v177, 2, v2
	v_lshlrev_b32_e32 v178, 2, v3
	;; [unrolled: 1-line block ×3, first 2 shown]
	v_pk_mov_b32 v[42:43], v[50:51], v[50:51] op_sel:[0,1]
	v_pk_mov_b32 v[34:35], v[50:51], v[50:51] op_sel:[0,1]
	;; [unrolled: 1-line block ×15, first 2 shown]
.LBB172_5:                              ; =>This Loop Header: Depth=1
                                        ;     Child Loop BB172_6 Depth 2
                                        ;     Child Loop BB172_8 Depth 2
	buffer_load_dword v4, off, s[20:23], 0  ; 4-byte Folded Reload
	buffer_load_dword v5, off, s[20:23], 0 offset:4 ; 4-byte Folded Reload
	s_mul_i32 s4, s0, 0x90
	s_mul_hi_u32 s5, s0, 0x90
	s_add_u32 s4, s11, s4
	s_addc_u32 s5, s16, s5
	v_pk_mov_b32 v[0:1], s[4:5], s[4:5] op_sel:[0,1]
	v_mad_u64_u32 v[2:3], s[4:5], v72, s8, v[0:1]
	s_lshl_b32 s9, s0, 3
	v_add_u32_e32 v143, s9, v128
	s_mov_b32 s18, 0
	s_waitcnt vmcnt(1)
	v_add_co_u32_e32 v2, vcc, v2, v4
	buffer_load_dword v4, off, s[20:23], 0 offset:8 ; 4-byte Folded Reload
	buffer_load_dword v5, off, s[20:23], 0 offset:12 ; 4-byte Folded Reload
	;; [unrolled: 1-line block ×16, first 2 shown]
	v_addc_co_u32_e32 v3, vcc, 0, v3, vcc
	v_add_co_u32_e32 v2, vcc, 16, v2
	v_addc_co_u32_e32 v3, vcc, 0, v3, vcc
	s_waitcnt vmcnt(14)
	v_mad_i64_i32 v[4:5], s[4:5], v4, s8, v[2:3]
	s_waitcnt vmcnt(12)
	v_mad_i64_i32 v[6:7], s[4:5], v6, s8, v[2:3]
	;; [unrolled: 2-line block ×5, first 2 shown]
	v_mad_i64_i32 v[10:11], s[4:5], v10, s8, v[2:3]
	v_mad_i64_i32 v[12:13], s[4:5], v12, s8, v[2:3]
	;; [unrolled: 1-line block ×3, first 2 shown]
	global_load_dword v52, v[4:5], off
	global_load_dword v53, v[6:7], off
	;; [unrolled: 1-line block ×7, first 2 shown]
	s_nop 0
	global_load_dword v18, v[18:19], off
	v_mad_i64_i32 v[4:5], s[4:5], v88, s8, v[2:3]
	v_mad_i64_i32 v[16:17], s[4:5], v112, s8, v[2:3]
	;; [unrolled: 1-line block ×8, first 2 shown]
	global_load_dword v19, v[4:5], off
	global_load_dword v61, v[6:7], off
	;; [unrolled: 1-line block ×6, first 2 shown]
	s_nop 0
	global_load_dword v16, v[16:17], off
	s_nop 0
	global_load_dword v17, v[2:3], off
	v_mad_i64_i32 v[4:5], s[4:5], v122, s8, v[0:1]
	v_add_co_u32_e32 v6, vcc, 4, v4
	v_addc_co_u32_e32 v7, vcc, 0, v5, vcc
	v_add_co_u32_e32 v4, vcc, v6, v173
	v_addc_co_u32_e32 v5, vcc, 0, v7, vcc
	v_add_co_u32_e32 v6, vcc, v6, v174
	v_mad_i64_i32 v[2:3], s[4:5], v120, s8, v[0:1]
	v_addc_co_u32_e32 v7, vcc, 0, v7, vcc
	v_mad_i64_i32 v[0:1], s[4:5], v124, s8, v[0:1]
	v_add_co_u32_e32 v8, vcc, 4, v0
	v_addc_co_u32_e32 v9, vcc, 0, v1, vcc
	v_add_co_u32_e32 v0, vcc, v8, v173
	v_addc_co_u32_e32 v1, vcc, 0, v9, vcc
	;; [unrolled: 2-line block ×3, first 2 shown]
	global_load_dword v131, v[2:3], off
	global_load_dword v132, v[4:5], off
	;; [unrolled: 1-line block ×5, first 2 shown]
	v_add_u32_e32 v14, s9, v76
	v_add_u32_e32 v0, v14, v71
	;; [unrolled: 1-line block ×6, first 2 shown]
	v_mad_i64_i32 v[0:1], s[4:5], v0, 36, v[126:127]
	v_mad_i64_i32 v[2:3], s[4:5], v2, 36, v[126:127]
	;; [unrolled: 1-line block ×5, first 2 shown]
	v_add_u32_e32 v10, v14, v99
	v_add_u32_e32 v12, v14, v105
	;; [unrolled: 1-line block ×3, first 2 shown]
	v_mad_i64_i32 v[10:11], s[4:5], v10, 36, v[126:127]
	v_mad_i64_i32 v[12:13], s[4:5], v12, 36, v[126:127]
	;; [unrolled: 1-line block ×3, first 2 shown]
	global_load_dword v136, v[0:1], off offset:4
	s_nop 0
	global_load_dword v2, v[2:3], off offset:4
	s_nop 0
	;; [unrolled: 2-line block ×3, first 2 shown]
	global_load_dword v4, v[6:7], off offset:4
	global_load_dword v5, v[8:9], off offset:4
	s_nop 0
	global_load_dword v6, v[10:11], off offset:4
	global_load_dword v7, v[12:13], off offset:4
	;; [unrolled: 1-line block ×3, first 2 shown]
	v_mad_u64_u32 v[0:1], s[4:5], v143, 36, s[2:3]
	global_load_dword v0, v[0:1], off
	s_waitcnt vmcnt(29)
	ds_write_b32 v58, v52
	s_waitcnt vmcnt(28)
	ds_write_b32 v62, v53
	;; [unrolled: 2-line block ×17, first 2 shown]
	s_waitcnt vmcnt(12)
	v_ashrrev_i32_e32 v1, v63, v132
	v_and_b32_e32 v1, 0xf0f0f0f, v1
	s_waitcnt vmcnt(11)
	v_ashrrev_i32_e32 v9, v65, v133
	v_and_or_b32 v1, v9, s1, v1
	ds_write_b32 v175, v1
	s_waitcnt vmcnt(10)
	v_ashrrev_i32_e32 v1, v63, v134
	v_and_b32_e32 v1, 0xf0f0f0f, v1
	s_waitcnt vmcnt(9)
	v_ashrrev_i32_e32 v9, v65, v135
	v_and_or_b32 v1, v9, s1, v1
	ds_write_b32 v176, v1
	s_waitcnt vmcnt(8)
	ds_write_b32 v84, v136
	s_waitcnt vmcnt(7)
	;; [unrolled: 2-line block ×9, first 2 shown]
	ds_write_b32 v67, v0
	s_waitcnt lgkmcnt(0)
	s_barrier
	ds_read_b32 v0, v117
	ds_read_b32 v1, v121 offset:128
	ds_read_b32 v2, v123 offset:256
	;; [unrolled: 1-line block ×3, first 2 shown]
	s_mov_b64 s[4:5], -1
	s_waitcnt lgkmcnt(3)
	v_cvt_f32_f16_e32 v16, v0
	v_cvt_f32_f16_sdwa v18, v0 dst_sel:DWORD dst_unused:UNUSED_PAD src0_sel:WORD_1
	s_waitcnt lgkmcnt(2)
	v_cvt_f32_f16_e32 v130, v1
	v_cvt_f32_f16_sdwa v132, v1 dst_sel:DWORD dst_unused:UNUSED_PAD src0_sel:WORD_1
	;; [unrolled: 3-line block ×4, first 2 shown]
	v_mov_b32_e32 v17, v16
	v_mov_b32_e32 v19, v18
	;; [unrolled: 1-line block ×8, first 2 shown]
.LBB172_6:                              ;   Parent Loop BB172_5 Depth=1
                                        ; =>  This Inner Loop Header: Depth=2
	s_lshl_b32 s17, s18, 1
	s_lshr_b32 s19, s18, 2
	v_or_b32_e32 v0, s17, v59
	s_lshl_b32 s18, s18, 2
	v_lshlrev_b32_e32 v1, 2, v0
	v_add_u32_e32 v53, s18, v129
	v_lshrrev_b32_e32 v52, 1, v0
	ds_read_b128 v[12:15], v1 offset:16896
	ds_read_b128 v[8:11], v1 offset:16912
	;; [unrolled: 1-line block ×4, first 2 shown]
	ds_read_b64 v[158:159], v52 offset:27200
	ds_read2_b32 v[54:55], v53 offset1:1
	ds_read2_b32 v[56:57], v53 offset0:2 offset1:3
	ds_read2_b32 v[144:145], v53 offset0:4 offset1:5
	;; [unrolled: 1-line block ×3, first 2 shown]
	s_addk_i32 s19, 0x6200
	s_waitcnt lgkmcnt(3)
	v_and_b32_e32 v193, 0xf0f0f0f, v54
	v_lshrrev_b32_e32 v54, 4, v54
	v_add3_u32 v52, s19, v172, v180
	v_and_b32_e32 v192, 0xf0f0f0f, v54
	v_lshrrev_b32_e32 v54, 4, v55
	ds_read_u16 v53, v52
	ds_read_u8 v60, v52 offset:8
	ds_read_u8 v52, v52 offset:9
	v_and_b32_e32 v212, 0xf0f0f0f, v54
	s_waitcnt lgkmcnt(5)
	v_lshrrev_b32_e32 v54, 4, v56
	v_and_b32_e32 v213, 0xf0f0f0f, v54
	v_lshrrev_b32_e32 v54, 4, v57
	v_and_b32_e32 v214, 0xf0f0f0f, v54
	s_waitcnt lgkmcnt(4)
	v_lshrrev_b32_e32 v54, 4, v144
	v_and_b32_e32 v215, 0xf0f0f0f, v54
	v_lshrrev_b32_e32 v54, 4, v145
	s_waitcnt lgkmcnt(2)
	v_and_b32_e32 v191, 0xff, v53
	v_and_b32_e32 v216, 0xf0f0f0f, v54
	v_lshrrev_b32_e32 v54, 4, v160
	v_lshrrev_b16_e32 v211, 8, v53
	v_add_u32_e32 v53, s18, v147
	v_and_b32_e32 v195, 0xf0f0f0f, v56
	v_and_b32_e32 v196, 0xf0f0f0f, v57
	;; [unrolled: 1-line block ×3, first 2 shown]
	v_lshrrev_b32_e32 v54, 4, v161
	s_waitcnt lgkmcnt(0)
	v_cvt_f32_ubyte0_e32 v150, v52
	v_add3_u32 v52, s19, v171, v177
	ds_read2_b32 v[56:57], v53 offset1:1
	v_and_b32_e32 v197, 0xf0f0f0f, v144
	v_and_b32_e32 v198, 0xf0f0f0f, v145
	ds_read2_b32 v[144:145], v53 offset0:2 offset1:3
	v_and_b32_e32 v199, 0xf0f0f0f, v160
	v_and_b32_e32 v200, 0xf0f0f0f, v161
	ds_read2_b32 v[160:161], v53 offset0:4 offset1:5
	ds_read2_b32 v[162:163], v53 offset0:6 offset1:7
	v_and_b32_e32 v218, 0xf0f0f0f, v54
	ds_read_u16 v53, v52
	ds_read_u8 v54, v52 offset:8
	ds_read_u8 v52, v52 offset:9
	s_waitcnt lgkmcnt(5)
	v_and_b32_e32 v205, 0xf0f0f0f, v144
	v_and_b32_e32 v206, 0xf0f0f0f, v145
	s_waitcnt lgkmcnt(2)
	v_and_b32_e32 v201, 0xff, v53
	s_waitcnt lgkmcnt(1)
	v_cvt_f32_ubyte0_e32 v148, v54
	v_lshrrev_b32_e32 v54, 4, v56
	v_and_b32_e32 v202, 0xf0f0f0f, v54
	v_lshrrev_b32_e32 v54, 4, v57
	v_and_b32_e32 v221, 0xf0f0f0f, v54
	;; [unrolled: 2-line block ×6, first 2 shown]
	v_lshrrev_b32_e32 v54, 4, v162
	v_lshrrev_b16_e32 v225, 8, v53
	v_add_u32_e32 v53, s18, v149
	v_and_b32_e32 v228, 0xf0f0f0f, v54
	v_lshrrev_b32_e32 v54, 4, v163
	s_waitcnt lgkmcnt(0)
	v_cvt_f32_ubyte0_e32 v154, v52
	v_add3_u32 v52, s19, v170, v178
	ds_read2_b32 v[144:145], v53 offset1:1
	v_and_b32_e32 v207, 0xf0f0f0f, v160
	v_and_b32_e32 v208, 0xf0f0f0f, v161
	ds_read2_b32 v[160:161], v53 offset0:2 offset1:3
	v_and_b32_e32 v209, 0xf0f0f0f, v162
	v_and_b32_e32 v210, 0xf0f0f0f, v163
	ds_read2_b32 v[162:163], v53 offset0:4 offset1:5
	ds_read2_b32 v[164:165], v53 offset0:6 offset1:7
	v_and_b32_e32 v229, 0xf0f0f0f, v54
	ds_read_u16 v53, v52
	ds_read_u8 v54, v52 offset:8
	ds_read_u8 v52, v52 offset:9
	s_waitcnt lgkmcnt(5)
	v_and_b32_e32 v231, 0xf0f0f0f, v160
	v_and_b32_e32 v232, 0xf0f0f0f, v161
	s_waitcnt lgkmcnt(2)
	v_and_b32_e32 v219, 0xff, v53
	s_waitcnt lgkmcnt(1)
	v_cvt_f32_ubyte0_e32 v152, v54
	v_lshrrev_b32_e32 v54, 4, v144
	v_and_b32_e32 v220, 0xf0f0f0f, v54
	v_lshrrev_b32_e32 v54, 4, v145
	v_and_b32_e32 v237, 0xf0f0f0f, v54
	v_lshrrev_b32_e32 v54, 4, v160
	v_lshrrev_b16_e32 v241, 8, v53
	v_add_u32_e32 v53, s18, v151
	v_and_b32_e32 v238, 0xf0f0f0f, v54
	v_lshrrev_b32_e32 v54, 4, v161
	ds_read2_b32 v[160:161], v53 offset1:1
	v_and_b32_e32 v239, 0xf0f0f0f, v54
	v_lshrrev_b32_e32 v54, 4, v162
	v_and_b32_e32 v240, 0xf0f0f0f, v54
	v_lshrrev_b32_e32 v54, 4, v163
	;; [unrolled: 2-line block ×4, first 2 shown]
	v_mov_b32_e32 v252, 0
	v_and_b32_e32 v190, 0xf0f0f0f, v56
	v_mov_b32_e32 v253, 0
	v_and_b32_e32 v203, 0xf0f0f0f, v144
	;; [unrolled: 2-line block ×3, first 2 shown]
	s_waitcnt lgkmcnt(0)
	v_and_b32_e32 v226, 0xf0f0f0f, v160
	v_mov_b32_e32 v54, 0
	v_dot4c_i32_i8_e32 v252, v193, v12
	v_and_b32_e32 v194, 0xf0f0f0f, v55
	v_dot4c_i32_i8_e32 v253, v190, v12
	v_and_b32_e32 v204, 0xf0f0f0f, v57
	;; [unrolled: 2-line block ×4, first 2 shown]
	v_dot4c_i32_i8_e32 v252, v194, v13
	v_dot4c_i32_i8_e32 v253, v204, v13
	;; [unrolled: 1-line block ×4, first 2 shown]
	ds_read2_b32 v[12:13], v53 offset0:2 offset1:3
	v_dot4c_i32_i8_e32 v252, v195, v14
	v_dot4c_i32_i8_e32 v253, v205, v14
	;; [unrolled: 1-line block ×4, first 2 shown]
	s_waitcnt lgkmcnt(0)
	v_and_b32_e32 v246, 0xf0f0f0f, v12
	v_dot4c_i32_i8_e32 v54, v246, v14
	v_and_b32_e32 v247, 0xf0f0f0f, v13
	v_dot4c_i32_i8_e32 v253, v206, v15
	v_dot4c_i32_i8_e32 v255, v232, v15
	;; [unrolled: 1-line block ×3, first 2 shown]
	ds_read2_b32 v[14:15], v53 offset0:4 offset1:5
	v_and_b32_e32 v233, 0xf0f0f0f, v162
	v_dot4c_i32_i8_e32 v252, v197, v8
	v_dot4c_i32_i8_e32 v253, v207, v8
	;; [unrolled: 1-line block ×3, first 2 shown]
	s_waitcnt lgkmcnt(0)
	v_and_b32_e32 v248, 0xf0f0f0f, v14
	v_and_b32_e32 v234, 0xf0f0f0f, v163
	v_dot4c_i32_i8_e32 v54, v248, v8
	v_and_b32_e32 v249, 0xf0f0f0f, v15
	v_dot4c_i32_i8_e32 v252, v198, v9
	v_dot4c_i32_i8_e32 v253, v208, v9
	;; [unrolled: 1-line block ×4, first 2 shown]
	ds_read2_b32 v[8:9], v53 offset0:6 offset1:7
	v_and_b32_e32 v235, 0xf0f0f0f, v164
	v_dot4c_i32_i8_e32 v252, v199, v10
	v_dot4c_i32_i8_e32 v253, v209, v10
	;; [unrolled: 1-line block ×3, first 2 shown]
	s_waitcnt lgkmcnt(0)
	v_and_b32_e32 v250, 0xf0f0f0f, v8
	v_and_b32_e32 v236, 0xf0f0f0f, v165
	v_cvt_f32_ubyte0_e32 v156, v52
	v_add3_u32 v52, s19, v169, v179
	v_dot4c_i32_i8_e32 v54, v250, v10
	v_and_b32_e32 v251, 0xf0f0f0f, v9
	v_dot4c_i32_i8_e32 v252, v200, v11
	v_dot4c_i32_i8_e32 v253, v210, v11
	;; [unrolled: 1-line block ×4, first 2 shown]
	ds_read_u16 v10, v52
	ds_read_u8 v11, v52 offset:8
	ds_read_u8 v52, v52 offset:9
	v_mov_b32_e32 v254, 0
	v_mov_b32_e32 v55, 0
	v_mov_b32_e32 v57, 0
	s_waitcnt lgkmcnt(1)
	v_cvt_f32_ubyte0_e32 v144, v11
	v_lshrrev_b32_e32 v11, 4, v160
	v_and_b32_e32 v188, 0xf0f0f0f, v11
	v_mov_b32_e32 v56, 0
	v_dot4c_i32_i8_e32 v254, v192, v4
	v_dot4c_i32_i8_e32 v55, v202, v4
	;; [unrolled: 1-line block ×4, first 2 shown]
	v_lshrrev_b32_e32 v4, 4, v161
	v_and_b32_e32 v189, 0xf0f0f0f, v4
	v_lshrrev_b32_e32 v4, 4, v12
	v_dot4c_i32_i8_e32 v254, v212, v5
	v_dot4c_i32_i8_e32 v55, v221, v5
	v_dot4c_i32_i8_e32 v57, v237, v5
	v_dot4c_i32_i8_e32 v56, v189, v5
	v_and_b32_e32 v187, 0xf0f0f0f, v4
	v_lshrrev_b32_e32 v4, 4, v13
	v_dot4c_i32_i8_e32 v254, v213, v6
	v_dot4c_i32_i8_e32 v55, v222, v6
	v_dot4c_i32_i8_e32 v57, v238, v6
	v_dot4c_i32_i8_e32 v56, v187, v6
	;; [unrolled: 6-line block ×3, first 2 shown]
	v_and_b32_e32 v183, 0xf0f0f0f, v4
	v_dot4c_i32_i8_e32 v254, v215, v0
	v_dot4c_i32_i8_e32 v55, v224, v0
	;; [unrolled: 1-line block ×4, first 2 shown]
	v_lshrrev_b32_e32 v0, 4, v15
	v_and_b32_e32 v184, 0xf0f0f0f, v0
	v_lshrrev_b32_e32 v0, 4, v8
	v_and_b32_e32 v185, 0xf0f0f0f, v0
	v_lshrrev_b32_e32 v0, 4, v9
	v_dot4c_i32_i8_e32 v254, v216, v1
	v_dot4c_i32_i8_e32 v55, v227, v1
	;; [unrolled: 1-line block ×4, first 2 shown]
	v_and_b32_e32 v186, 0xf0f0f0f, v0
	v_or_b32_e32 v0, s17, v77
	v_dot4c_i32_i8_e32 v254, v217, v2
	v_dot4c_i32_i8_e32 v55, v228, v2
	;; [unrolled: 1-line block ×4, first 2 shown]
	s_waitcnt lgkmcnt(0)
	v_cvt_f32_ubyte0_e32 v142, v52
	v_lshlrev_b32_e32 v1, 2, v0
	v_lshrrev_b32_e32 v52, 1, v0
	v_dot4c_i32_i8_e32 v254, v218, v3
	v_dot4c_i32_i8_e32 v55, v229, v3
	;; [unrolled: 1-line block ×3, first 2 shown]
	v_and_b32_e32 v145, 0xff, v10
	v_dot4c_i32_i8_e32 v56, v186, v3
	v_lshrrev_b16_e32 v181, 8, v10
	ds_read_b128 v[12:15], v1 offset:16896
	ds_read_b128 v[8:11], v1 offset:16912
	;; [unrolled: 1-line block ×4, first 2 shown]
	ds_read_b64 v[162:163], v52 offset:27200
	v_mov_b32_e32 v52, 0
	s_waitcnt lgkmcnt(4)
	v_dot4c_i32_i8_e32 v52, v193, v12
	v_dot4c_i32_i8_e32 v52, v194, v13
	;; [unrolled: 1-line block ×4, first 2 shown]
	s_waitcnt lgkmcnt(3)
	v_dot4c_i32_i8_e32 v52, v197, v8
	v_mov_b32_e32 v53, 0
	v_dot4c_i32_i8_e32 v52, v198, v9
	s_waitcnt lgkmcnt(2)
	v_dot4c_i32_i8_e32 v53, v192, v4
	v_dot4c_i32_i8_e32 v52, v199, v10
	;; [unrolled: 1-line block ×6, first 2 shown]
	s_waitcnt lgkmcnt(1)
	v_dot4c_i32_i8_e32 v53, v215, v0
	v_mul_lo_u32 v52, v52, v191
	s_waitcnt lgkmcnt(0)
	v_cvt_f32_f16_e32 v165, v162
	v_cvt_f32_f16_sdwa v167, v162 dst_sel:DWORD dst_unused:UNUSED_PAD src0_sel:WORD_1
	v_cvt_f32_f16_e32 v160, v159
	v_cvt_f32_f16_sdwa v162, v159 dst_sel:DWORD dst_unused:UNUSED_PAD src0_sel:WORD_1
	v_cvt_f32_i32_e32 v159, v52
	v_mul_lo_u32 v52, v254, v211
	v_dot4c_i32_i8_e32 v53, v216, v1
	v_cvt_f32_i32_e32 v68, v52
	v_mov_b32_e32 v52, 0
	v_dot4c_i32_i8_e32 v53, v217, v2
	v_dot4c_i32_i8_e32 v52, v190, v12
	v_cvt_f32_ubyte0_e32 v146, v60
	v_dot4c_i32_i8_e32 v53, v218, v3
	v_cvt_f32_f16_sdwa v166, v158 dst_sel:DWORD dst_unused:UNUSED_PAD src0_sel:WORD_1
	v_mul_lo_u32 v60, v252, v191
	v_dot4c_i32_i8_e32 v52, v204, v13
	v_cvt_f32_f16_e32 v164, v158
	v_cvt_f32_f16_e32 v161, v163
	v_cvt_f32_f16_sdwa v163, v163 dst_sel:DWORD dst_unused:UNUSED_PAD src0_sel:WORD_1
	v_cvt_f32_i32_e32 v158, v60
	v_mul_lo_u32 v53, v53, v211
	v_dot4c_i32_i8_e32 v52, v205, v14
	v_cvt_f32_i32_e32 v69, v53
	v_dot4c_i32_i8_e32 v52, v206, v15
	v_dot4c_i32_i8_e32 v52, v207, v8
	v_mov_b32_e32 v53, 0
	v_pk_fma_f32 v[60:61], v[146:147], v[166:167], 0 op_sel_hi:[0,1,0]
	v_dot4c_i32_i8_e32 v52, v208, v9
	v_dot4c_i32_i8_e32 v53, v202, v4
	v_pk_fma_f32 v[158:159], v[164:165], v[158:159], 0 op_sel_hi:[1,1,0]
	v_pk_fma_f32 v[60:61], v[150:151], v[162:163], v[60:61] op_sel_hi:[0,1,1]
	v_dot4c_i32_i8_e32 v52, v209, v10
	v_dot4c_i32_i8_e32 v53, v221, v5
	v_pk_fma_f32 v[68:69], v[160:161], v[68:69], v[158:159]
	v_pk_mul_f32 v[60:61], v[60:61], v[18:19]
	v_dot4c_i32_i8_e32 v52, v210, v11
	v_dot4c_i32_i8_e32 v53, v222, v6
	v_pk_fma_f32 v[60:61], v[68:69], v[16:17], v[60:61] neg_lo:[0,0,1] neg_hi:[0,0,1]
	v_dot4c_i32_i8_e32 v53, v223, v7
	v_mul_lo_u32 v52, v52, v201
	v_pk_add_f32 v[50:51], v[50:51], v[60:61]
	v_dot4c_i32_i8_e32 v53, v224, v0
	v_cvt_f32_i32_e32 v61, v52
	v_mul_lo_u32 v52, v55, v225
	v_dot4c_i32_i8_e32 v53, v227, v1
	v_cvt_f32_i32_e32 v158, v52
	v_mov_b32_e32 v52, 0
	v_dot4c_i32_i8_e32 v53, v228, v2
	v_dot4c_i32_i8_e32 v52, v203, v12
	;; [unrolled: 1-line block ×3, first 2 shown]
	v_mul_lo_u32 v60, v253, v201
	v_dot4c_i32_i8_e32 v52, v230, v13
	v_cvt_f32_i32_e32 v60, v60
	v_mul_lo_u32 v53, v53, v225
	v_dot4c_i32_i8_e32 v52, v231, v14
	v_cvt_f32_i32_e32 v159, v53
	v_dot4c_i32_i8_e32 v52, v232, v15
	v_dot4c_i32_i8_e32 v52, v233, v8
	v_pk_fma_f32 v[68:69], v[148:149], v[166:167], 0 op_sel_hi:[0,1,0]
	v_dot4c_i32_i8_e32 v52, v234, v9
	v_pk_fma_f32 v[60:61], v[164:165], v[60:61], 0 op_sel_hi:[1,1,0]
	v_pk_fma_f32 v[68:69], v[154:155], v[162:163], v[68:69] op_sel_hi:[0,1,1]
	v_dot4c_i32_i8_e32 v52, v235, v10
	v_pk_fma_f32 v[60:61], v[160:161], v[158:159], v[60:61]
	v_pk_mul_f32 v[68:69], v[68:69], v[132:133]
	v_dot4c_i32_i8_e32 v52, v236, v11
	v_pk_fma_f32 v[60:61], v[60:61], v[130:131], v[68:69] neg_lo:[0,0,1] neg_hi:[0,0,1]
	v_pk_add_f32 v[48:49], v[48:49], v[60:61]
	v_mov_b32_e32 v53, 0
	v_mul_lo_u32 v52, v52, v219
	v_cvt_f32_i32_e32 v61, v52
	v_mul_lo_u32 v52, v57, v241
	v_cvt_f32_i32_e32 v158, v52
	v_mov_b32_e32 v52, 0
	v_dot4c_i32_i8_e32 v52, v226, v12
	v_dot4c_i32_i8_e32 v52, v245, v13
	;; [unrolled: 1-line block ×5, first 2 shown]
	v_mov_b32_e32 v8, 0
	v_dot4c_i32_i8_e32 v8, v188, v4
	v_dot4c_i32_i8_e32 v8, v189, v5
	;; [unrolled: 1-line block ×17, first 2 shown]
	v_mul_lo_u32 v0, v54, v145
	v_mul_lo_u32 v1, v52, v145
	v_cvt_f32_i32_e32 v1, v1
	v_cvt_f32_i32_e32 v0, v0
	v_mul_lo_u32 v4, v56, v181
	v_mul_lo_u32 v5, v8, v181
	v_cvt_f32_i32_e32 v5, v5
	v_cvt_f32_i32_e32 v4, v4
	v_dot4c_i32_i8_e32 v53, v243, v2
	v_dot4c_i32_i8_e32 v53, v244, v3
	v_mul_lo_u32 v55, v255, v219
	v_pk_fma_f32 v[2:3], v[144:145], v[166:167], 0 op_sel_hi:[0,1,0]
	v_cvt_f32_i32_e32 v60, v55
	v_mul_lo_u32 v53, v53, v241
	v_pk_fma_f32 v[0:1], v[164:165], v[0:1], 0 op_sel_hi:[1,1,0]
	v_pk_fma_f32 v[2:3], v[142:143], v[162:163], v[2:3] op_sel_hi:[0,1,1]
	v_cvt_f32_i32_e32 v159, v53
	v_pk_fma_f32 v[0:1], v[160:161], v[4:5], v[0:1]
	v_pk_mul_f32 v[2:3], v[2:3], v[140:141]
	v_pk_fma_f32 v[0:1], v[0:1], v[138:139], v[2:3] neg_lo:[0,0,1] neg_hi:[0,0,1]
	v_pk_add_f32 v[44:45], v[44:45], v[0:1]
	v_or_b32_e32 v0, s17, v83
	v_pk_fma_f32 v[60:61], v[164:165], v[60:61], 0 op_sel_hi:[1,1,0]
	v_lshlrev_b32_e32 v1, 2, v0
	v_pk_fma_f32 v[60:61], v[160:161], v[158:159], v[60:61]
	v_lshrrev_b32_e32 v52, 1, v0
	ds_read_b128 v[12:15], v1 offset:16896
	ds_read_b128 v[8:11], v1 offset:16912
	;; [unrolled: 1-line block ×4, first 2 shown]
	ds_read_b64 v[158:159], v52 offset:27200
	v_mov_b32_e32 v52, 0
	v_mov_b32_e32 v53, 0
	;; [unrolled: 1-line block ×8, first 2 shown]
	s_waitcnt lgkmcnt(4)
	v_dot4c_i32_i8_e32 v52, v193, v12
	s_waitcnt lgkmcnt(2)
	v_dot4c_i32_i8_e32 v53, v192, v4
	v_dot4c_i32_i8_e32 v64, v190, v12
	;; [unrolled: 1-line block ×15, first 2 shown]
	v_pk_fma_f32 v[68:69], v[152:153], v[166:167], 0 op_sel_hi:[0,1,0]
	v_dot4c_i32_i8_e32 v52, v195, v14
	v_dot4c_i32_i8_e32 v53, v213, v6
	;; [unrolled: 1-line block ×8, first 2 shown]
	v_pk_fma_f32 v[68:69], v[156:157], v[162:163], v[68:69] op_sel_hi:[0,1,1]
	v_dot4c_i32_i8_e32 v52, v196, v15
	v_dot4c_i32_i8_e32 v53, v214, v7
	;; [unrolled: 1-line block ×8, first 2 shown]
	v_pk_mul_f32 v[68:69], v[68:69], v[136:137]
	v_dot4c_i32_i8_e32 v52, v197, v8
	s_waitcnt lgkmcnt(1)
	v_dot4c_i32_i8_e32 v53, v215, v0
	v_dot4c_i32_i8_e32 v64, v207, v8
	;; [unrolled: 1-line block ×7, first 2 shown]
	v_pk_fma_f32 v[60:61], v[60:61], v[134:135], v[68:69] neg_lo:[0,0,1] neg_hi:[0,0,1]
	v_dot4c_i32_i8_e32 v52, v198, v9
	v_dot4c_i32_i8_e32 v53, v216, v1
	;; [unrolled: 1-line block ×8, first 2 shown]
	v_or_b32_e32 v0, s17, v89
	v_pk_add_f32 v[46:47], v[46:47], v[60:61]
	v_dot4c_i32_i8_e32 v52, v199, v10
	v_dot4c_i32_i8_e32 v53, v217, v2
	;; [unrolled: 1-line block ×8, first 2 shown]
	v_lshlrev_b32_e32 v1, 2, v0
	v_lshrrev_b32_e32 v60, 1, v0
	v_dot4c_i32_i8_e32 v52, v200, v11
	v_dot4c_i32_i8_e32 v53, v218, v3
	;; [unrolled: 1-line block ×8, first 2 shown]
	ds_read_b128 v[12:15], v1 offset:16896
	ds_read_b128 v[8:11], v1 offset:16912
	;; [unrolled: 1-line block ×4, first 2 shown]
	ds_read_b64 v[60:61], v60 offset:27200
	v_mov_b32_e32 v68, 0
	s_waitcnt lgkmcnt(4)
	v_dot4c_i32_i8_e32 v68, v193, v12
	v_dot4c_i32_i8_e32 v68, v194, v13
	;; [unrolled: 1-line block ×4, first 2 shown]
	s_waitcnt lgkmcnt(3)
	v_dot4c_i32_i8_e32 v68, v197, v8
	v_mov_b32_e32 v253, 0
	v_dot4c_i32_i8_e32 v68, v198, v9
	s_waitcnt lgkmcnt(2)
	v_dot4c_i32_i8_e32 v253, v192, v4
	v_dot4c_i32_i8_e32 v68, v199, v10
	;; [unrolled: 1-line block ×6, first 2 shown]
	s_waitcnt lgkmcnt(0)
	v_cvt_f32_f16_e32 v165, v60
	v_cvt_f32_f16_sdwa v167, v60 dst_sel:DWORD dst_unused:UNUSED_PAD src0_sel:WORD_1
	v_mul_lo_u32 v52, v52, v191
	v_mul_lo_u32 v60, v68, v191
	v_dot4c_i32_i8_e32 v253, v215, v0
	v_cvt_f32_f16_e32 v161, v61
	v_cvt_f32_f16_sdwa v163, v61 dst_sel:DWORD dst_unused:UNUSED_PAD src0_sel:WORD_1
	v_cvt_f32_i32_e32 v61, v60
	v_cvt_f32_i32_e32 v60, v52
	v_mul_lo_u32 v52, v53, v211
	v_dot4c_i32_i8_e32 v253, v216, v1
	v_cvt_f32_f16_e32 v164, v158
	v_cvt_f32_f16_sdwa v166, v158 dst_sel:DWORD dst_unused:UNUSED_PAD src0_sel:WORD_1
	v_cvt_f32_i32_e32 v158, v52
	v_mov_b32_e32 v52, 0
	v_dot4c_i32_i8_e32 v253, v217, v2
	v_dot4c_i32_i8_e32 v52, v190, v12
	;; [unrolled: 1-line block ×4, first 2 shown]
	v_cvt_f32_f16_sdwa v162, v159 dst_sel:DWORD dst_unused:UNUSED_PAD src0_sel:WORD_1
	v_dot4c_i32_i8_e32 v52, v205, v14
	v_mul_lo_u32 v53, v253, v211
	v_cvt_f32_f16_e32 v160, v159
	v_cvt_f32_i32_e32 v159, v53
	v_dot4c_i32_i8_e32 v52, v206, v15
	v_dot4c_i32_i8_e32 v52, v207, v8
	v_mov_b32_e32 v53, 0
	v_pk_fma_f32 v[68:69], v[146:147], v[166:167], 0 op_sel_hi:[0,1,0]
	v_dot4c_i32_i8_e32 v52, v208, v9
	v_dot4c_i32_i8_e32 v53, v202, v4
	v_pk_fma_f32 v[60:61], v[60:61], v[164:165], 0 op_sel_hi:[1,1,0]
	v_pk_fma_f32 v[68:69], v[150:151], v[162:163], v[68:69] op_sel_hi:[0,1,1]
	v_dot4c_i32_i8_e32 v52, v209, v10
	v_dot4c_i32_i8_e32 v53, v221, v5
	v_pk_fma_f32 v[60:61], v[158:159], v[160:161], v[60:61]
	v_pk_mul_f32 v[68:69], v[68:69], v[18:19]
	v_dot4c_i32_i8_e32 v52, v210, v11
	v_dot4c_i32_i8_e32 v53, v222, v6
	v_pk_fma_f32 v[60:61], v[60:61], v[16:17], v[68:69] neg_lo:[0,0,1] neg_hi:[0,0,1]
	v_dot4c_i32_i8_e32 v53, v223, v7
	v_mul_lo_u32 v52, v52, v201
	v_pk_add_f32 v[42:43], v[42:43], v[60:61]
	v_dot4c_i32_i8_e32 v53, v224, v0
	v_cvt_f32_i32_e32 v61, v52
	v_mul_lo_u32 v52, v252, v225
	v_dot4c_i32_i8_e32 v53, v227, v1
	v_cvt_f32_i32_e32 v158, v52
	v_mov_b32_e32 v52, 0
	v_dot4c_i32_i8_e32 v53, v228, v2
	v_dot4c_i32_i8_e32 v52, v203, v12
	;; [unrolled: 1-line block ×3, first 2 shown]
	v_mul_lo_u32 v60, v64, v201
	v_dot4c_i32_i8_e32 v52, v230, v13
	v_cvt_f32_i32_e32 v60, v60
	v_mul_lo_u32 v53, v53, v225
	v_dot4c_i32_i8_e32 v52, v231, v14
	v_cvt_f32_i32_e32 v159, v53
	v_dot4c_i32_i8_e32 v52, v232, v15
	v_dot4c_i32_i8_e32 v52, v233, v8
	v_pk_fma_f32 v[68:69], v[148:149], v[166:167], 0 op_sel_hi:[0,1,0]
	v_dot4c_i32_i8_e32 v52, v234, v9
	v_pk_fma_f32 v[60:61], v[60:61], v[164:165], 0 op_sel_hi:[1,1,0]
	v_pk_fma_f32 v[68:69], v[154:155], v[162:163], v[68:69] op_sel_hi:[0,1,1]
	v_dot4c_i32_i8_e32 v52, v235, v10
	v_pk_fma_f32 v[60:61], v[158:159], v[160:161], v[60:61]
	v_pk_mul_f32 v[68:69], v[68:69], v[132:133]
	v_dot4c_i32_i8_e32 v52, v236, v11
	v_pk_fma_f32 v[60:61], v[60:61], v[130:131], v[68:69] neg_lo:[0,0,1] neg_hi:[0,0,1]
	v_pk_add_f32 v[40:41], v[40:41], v[60:61]
	v_mul_lo_u32 v56, v56, v219
	v_mul_lo_u32 v52, v52, v219
	v_cvt_f32_i32_e32 v61, v52
	v_mul_lo_u32 v52, v57, v241
	v_cvt_f32_i32_e32 v60, v56
	v_cvt_f32_i32_e32 v56, v52
	v_mov_b32_e32 v52, 0
	v_dot4c_i32_i8_e32 v52, v226, v12
	v_dot4c_i32_i8_e32 v52, v245, v13
	;; [unrolled: 1-line block ×5, first 2 shown]
	v_mov_b32_e32 v8, 0
	v_dot4c_i32_i8_e32 v8, v188, v4
	v_mov_b32_e32 v53, 0
	v_dot4c_i32_i8_e32 v8, v189, v5
	v_dot4c_i32_i8_e32 v53, v220, v4
	;; [unrolled: 1-line block ×16, first 2 shown]
	v_mul_lo_u32 v0, v54, v145
	v_mul_lo_u32 v1, v52, v145
	v_cvt_f32_i32_e32 v1, v1
	v_cvt_f32_i32_e32 v0, v0
	v_mul_lo_u32 v4, v55, v181
	v_mul_lo_u32 v5, v8, v181
	v_dot4c_i32_i8_e32 v53, v243, v2
	v_cvt_f32_i32_e32 v5, v5
	v_cvt_f32_i32_e32 v4, v4
	v_dot4c_i32_i8_e32 v53, v244, v3
	v_pk_fma_f32 v[2:3], v[144:145], v[166:167], 0 op_sel_hi:[0,1,0]
	v_pk_fma_f32 v[0:1], v[0:1], v[164:165], 0 op_sel_hi:[1,1,0]
	;; [unrolled: 1-line block ×3, first 2 shown]
	v_mul_lo_u32 v53, v53, v241
	v_cvt_f32_i32_e32 v57, v53
	v_pk_fma_f32 v[0:1], v[4:5], v[160:161], v[0:1]
	v_pk_mul_f32 v[2:3], v[2:3], v[140:141]
	v_pk_fma_f32 v[0:1], v[0:1], v[138:139], v[2:3] neg_lo:[0,0,1] neg_hi:[0,0,1]
	v_pk_fma_f32 v[60:61], v[60:61], v[164:165], 0 op_sel_hi:[1,1,0]
	v_pk_fma_f32 v[68:69], v[152:153], v[166:167], 0 op_sel_hi:[0,1,0]
	v_pk_add_f32 v[36:37], v[36:37], v[0:1]
	v_or_b32_e32 v0, s17, v95
	v_pk_fma_f32 v[56:57], v[56:57], v[160:161], v[60:61]
	v_pk_fma_f32 v[60:61], v[156:157], v[162:163], v[68:69] op_sel_hi:[0,1,1]
	v_lshlrev_b32_e32 v1, 2, v0
	v_pk_mul_f32 v[60:61], v[60:61], v[136:137]
	v_lshrrev_b32_e32 v52, 1, v0
	ds_read_b128 v[12:15], v1 offset:16896
	ds_read_b128 v[8:11], v1 offset:16912
	;; [unrolled: 1-line block ×4, first 2 shown]
	ds_read_b64 v[158:159], v52 offset:27200
	v_pk_fma_f32 v[56:57], v[56:57], v[134:135], v[60:61] neg_lo:[0,0,1] neg_hi:[0,0,1]
	v_pk_add_f32 v[38:39], v[38:39], v[56:57]
	v_mov_b32_e32 v52, 0
	v_mov_b32_e32 v53, 0
	;; [unrolled: 1-line block ×8, first 2 shown]
	s_waitcnt lgkmcnt(4)
	v_dot4c_i32_i8_e32 v52, v193, v12
	s_waitcnt lgkmcnt(2)
	v_dot4c_i32_i8_e32 v53, v192, v4
	v_dot4c_i32_i8_e32 v64, v190, v12
	;; [unrolled: 1-line block ×32, first 2 shown]
	s_waitcnt lgkmcnt(1)
	v_dot4c_i32_i8_e32 v53, v215, v0
	v_dot4c_i32_i8_e32 v64, v207, v8
	;; [unrolled: 1-line block ×15, first 2 shown]
	v_or_b32_e32 v0, s17, v101
	v_dot4c_i32_i8_e32 v52, v199, v10
	v_dot4c_i32_i8_e32 v53, v217, v2
	;; [unrolled: 1-line block ×8, first 2 shown]
	v_lshlrev_b32_e32 v1, 2, v0
	v_lshrrev_b32_e32 v60, 1, v0
	v_dot4c_i32_i8_e32 v52, v200, v11
	v_dot4c_i32_i8_e32 v53, v218, v3
	v_dot4c_i32_i8_e32 v64, v210, v11
	v_dot4c_i32_i8_e32 v252, v229, v3
	v_dot4c_i32_i8_e32 v56, v236, v11
	v_dot4c_i32_i8_e32 v57, v244, v3
	v_dot4c_i32_i8_e32 v54, v251, v11
	v_dot4c_i32_i8_e32 v55, v186, v3
	ds_read_b128 v[12:15], v1 offset:16896
	ds_read_b128 v[8:11], v1 offset:16912
	;; [unrolled: 1-line block ×4, first 2 shown]
	ds_read_b64 v[60:61], v60 offset:27200
	v_mov_b32_e32 v68, 0
	s_waitcnt lgkmcnt(4)
	v_dot4c_i32_i8_e32 v68, v193, v12
	v_dot4c_i32_i8_e32 v68, v194, v13
	;; [unrolled: 1-line block ×4, first 2 shown]
	s_waitcnt lgkmcnt(3)
	v_dot4c_i32_i8_e32 v68, v197, v8
	v_mov_b32_e32 v253, 0
	v_dot4c_i32_i8_e32 v68, v198, v9
	s_waitcnt lgkmcnt(2)
	v_dot4c_i32_i8_e32 v253, v192, v4
	v_dot4c_i32_i8_e32 v68, v199, v10
	;; [unrolled: 1-line block ×6, first 2 shown]
	s_waitcnt lgkmcnt(0)
	v_cvt_f32_f16_e32 v165, v60
	v_cvt_f32_f16_sdwa v167, v60 dst_sel:DWORD dst_unused:UNUSED_PAD src0_sel:WORD_1
	v_mul_lo_u32 v52, v52, v191
	v_mul_lo_u32 v60, v68, v191
	v_dot4c_i32_i8_e32 v253, v215, v0
	v_cvt_f32_f16_e32 v161, v61
	v_cvt_f32_f16_sdwa v163, v61 dst_sel:DWORD dst_unused:UNUSED_PAD src0_sel:WORD_1
	v_cvt_f32_i32_e32 v61, v60
	v_cvt_f32_i32_e32 v60, v52
	v_mul_lo_u32 v52, v53, v211
	v_dot4c_i32_i8_e32 v253, v216, v1
	v_cvt_f32_f16_e32 v164, v158
	v_cvt_f32_f16_sdwa v166, v158 dst_sel:DWORD dst_unused:UNUSED_PAD src0_sel:WORD_1
	v_cvt_f32_i32_e32 v158, v52
	v_mov_b32_e32 v52, 0
	v_dot4c_i32_i8_e32 v253, v217, v2
	v_dot4c_i32_i8_e32 v52, v190, v12
	;; [unrolled: 1-line block ×4, first 2 shown]
	v_cvt_f32_f16_sdwa v162, v159 dst_sel:DWORD dst_unused:UNUSED_PAD src0_sel:WORD_1
	v_dot4c_i32_i8_e32 v52, v205, v14
	v_mul_lo_u32 v53, v253, v211
	v_cvt_f32_f16_e32 v160, v159
	v_cvt_f32_i32_e32 v159, v53
	v_dot4c_i32_i8_e32 v52, v206, v15
	v_dot4c_i32_i8_e32 v52, v207, v8
	v_mov_b32_e32 v53, 0
	v_pk_fma_f32 v[68:69], v[146:147], v[166:167], 0 op_sel_hi:[0,1,0]
	v_dot4c_i32_i8_e32 v52, v208, v9
	v_dot4c_i32_i8_e32 v53, v202, v4
	v_pk_fma_f32 v[60:61], v[60:61], v[164:165], 0 op_sel_hi:[1,1,0]
	v_pk_fma_f32 v[68:69], v[150:151], v[162:163], v[68:69] op_sel_hi:[0,1,1]
	v_dot4c_i32_i8_e32 v52, v209, v10
	v_dot4c_i32_i8_e32 v53, v221, v5
	v_pk_fma_f32 v[60:61], v[158:159], v[160:161], v[60:61]
	v_pk_mul_f32 v[68:69], v[68:69], v[18:19]
	v_dot4c_i32_i8_e32 v52, v210, v11
	v_dot4c_i32_i8_e32 v53, v222, v6
	v_pk_fma_f32 v[60:61], v[60:61], v[16:17], v[68:69] neg_lo:[0,0,1] neg_hi:[0,0,1]
	v_dot4c_i32_i8_e32 v53, v223, v7
	v_mul_lo_u32 v52, v52, v201
	v_pk_add_f32 v[34:35], v[34:35], v[60:61]
	v_dot4c_i32_i8_e32 v53, v224, v0
	v_cvt_f32_i32_e32 v61, v52
	v_mul_lo_u32 v52, v252, v225
	v_dot4c_i32_i8_e32 v53, v227, v1
	v_cvt_f32_i32_e32 v158, v52
	v_mov_b32_e32 v52, 0
	v_dot4c_i32_i8_e32 v53, v228, v2
	v_dot4c_i32_i8_e32 v52, v203, v12
	;; [unrolled: 1-line block ×3, first 2 shown]
	v_mul_lo_u32 v60, v64, v201
	v_dot4c_i32_i8_e32 v52, v230, v13
	v_cvt_f32_i32_e32 v60, v60
	v_mul_lo_u32 v53, v53, v225
	v_dot4c_i32_i8_e32 v52, v231, v14
	v_cvt_f32_i32_e32 v159, v53
	v_dot4c_i32_i8_e32 v52, v232, v15
	v_dot4c_i32_i8_e32 v52, v233, v8
	v_pk_fma_f32 v[68:69], v[148:149], v[166:167], 0 op_sel_hi:[0,1,0]
	v_dot4c_i32_i8_e32 v52, v234, v9
	v_pk_fma_f32 v[60:61], v[60:61], v[164:165], 0 op_sel_hi:[1,1,0]
	v_pk_fma_f32 v[68:69], v[154:155], v[162:163], v[68:69] op_sel_hi:[0,1,1]
	v_dot4c_i32_i8_e32 v52, v235, v10
	v_pk_fma_f32 v[60:61], v[158:159], v[160:161], v[60:61]
	v_pk_mul_f32 v[68:69], v[68:69], v[132:133]
	v_dot4c_i32_i8_e32 v52, v236, v11
	v_pk_fma_f32 v[60:61], v[60:61], v[130:131], v[68:69] neg_lo:[0,0,1] neg_hi:[0,0,1]
	v_pk_add_f32 v[32:33], v[32:33], v[60:61]
	v_mul_lo_u32 v56, v56, v219
	v_mul_lo_u32 v52, v52, v219
	v_cvt_f32_i32_e32 v61, v52
	v_mul_lo_u32 v52, v57, v241
	v_cvt_f32_i32_e32 v60, v56
	v_cvt_f32_i32_e32 v56, v52
	v_mov_b32_e32 v52, 0
	v_dot4c_i32_i8_e32 v52, v226, v12
	v_dot4c_i32_i8_e32 v52, v245, v13
	;; [unrolled: 1-line block ×5, first 2 shown]
	v_mov_b32_e32 v8, 0
	v_dot4c_i32_i8_e32 v8, v188, v4
	v_mov_b32_e32 v53, 0
	v_dot4c_i32_i8_e32 v8, v189, v5
	v_dot4c_i32_i8_e32 v53, v220, v4
	;; [unrolled: 1-line block ×16, first 2 shown]
	v_mul_lo_u32 v0, v54, v145
	v_mul_lo_u32 v1, v52, v145
	v_cvt_f32_i32_e32 v1, v1
	v_cvt_f32_i32_e32 v0, v0
	v_mul_lo_u32 v4, v55, v181
	v_mul_lo_u32 v5, v8, v181
	v_cvt_f32_i32_e32 v5, v5
	v_cvt_f32_i32_e32 v4, v4
	v_dot4c_i32_i8_e32 v53, v243, v2
	v_dot4c_i32_i8_e32 v53, v244, v3
	v_pk_fma_f32 v[2:3], v[144:145], v[166:167], 0 op_sel_hi:[0,1,0]
	v_pk_fma_f32 v[0:1], v[0:1], v[164:165], 0 op_sel_hi:[1,1,0]
	;; [unrolled: 1-line block ×3, first 2 shown]
	v_pk_fma_f32 v[0:1], v[4:5], v[160:161], v[0:1]
	v_pk_mul_f32 v[2:3], v[2:3], v[140:141]
	v_pk_fma_f32 v[0:1], v[0:1], v[138:139], v[2:3] neg_lo:[0,0,1] neg_hi:[0,0,1]
	v_pk_add_f32 v[28:29], v[28:29], v[0:1]
	v_or_b32_e32 v0, s17, v107
	v_lshlrev_b32_e32 v1, 2, v0
	v_pk_fma_f32 v[68:69], v[152:153], v[166:167], 0 op_sel_hi:[0,1,0]
	v_lshrrev_b32_e32 v52, 1, v0
	ds_read_b128 v[12:15], v1 offset:16896
	ds_read_b128 v[8:11], v1 offset:16912
	;; [unrolled: 1-line block ×4, first 2 shown]
	ds_read_b64 v[166:167], v52 offset:27200
	v_mul_lo_u32 v53, v53, v241
	v_cvt_f32_i32_e32 v57, v53
	v_mov_b32_e32 v52, 0
	v_mov_b32_e32 v53, 0
	;; [unrolled: 1-line block ×8, first 2 shown]
	s_waitcnt lgkmcnt(4)
	v_dot4c_i32_i8_e32 v52, v193, v12
	s_waitcnt lgkmcnt(2)
	v_dot4c_i32_i8_e32 v53, v192, v4
	v_dot4c_i32_i8_e32 v64, v190, v12
	;; [unrolled: 1-line block ×15, first 2 shown]
	v_pk_fma_f32 v[60:61], v[60:61], v[164:165], 0 op_sel_hi:[1,1,0]
	v_dot4c_i32_i8_e32 v52, v195, v14
	v_dot4c_i32_i8_e32 v53, v213, v6
	;; [unrolled: 1-line block ×8, first 2 shown]
	v_pk_fma_f32 v[56:57], v[56:57], v[160:161], v[60:61]
	v_pk_fma_f32 v[60:61], v[156:157], v[162:163], v[68:69] op_sel_hi:[0,1,1]
	v_dot4c_i32_i8_e32 v52, v196, v15
	v_dot4c_i32_i8_e32 v53, v214, v7
	;; [unrolled: 1-line block ×8, first 2 shown]
	v_pk_mul_f32 v[60:61], v[60:61], v[136:137]
	v_dot4c_i32_i8_e32 v52, v197, v8
	s_waitcnt lgkmcnt(1)
	v_dot4c_i32_i8_e32 v53, v215, v0
	v_dot4c_i32_i8_e32 v64, v207, v8
	;; [unrolled: 1-line block ×7, first 2 shown]
	v_pk_fma_f32 v[56:57], v[56:57], v[134:135], v[60:61] neg_lo:[0,0,1] neg_hi:[0,0,1]
	v_dot4c_i32_i8_e32 v52, v198, v9
	v_dot4c_i32_i8_e32 v53, v216, v1
	;; [unrolled: 1-line block ×8, first 2 shown]
	v_or_b32_e32 v0, s17, v113
	v_pk_add_f32 v[30:31], v[30:31], v[56:57]
	v_dot4c_i32_i8_e32 v52, v199, v10
	v_dot4c_i32_i8_e32 v53, v217, v2
	;; [unrolled: 1-line block ×8, first 2 shown]
	v_lshlrev_b32_e32 v1, 2, v0
	v_lshrrev_b32_e32 v56, 1, v0
	v_dot4c_i32_i8_e32 v52, v200, v11
	v_dot4c_i32_i8_e32 v53, v218, v3
	;; [unrolled: 1-line block ×8, first 2 shown]
	ds_read_b128 v[12:15], v1 offset:16896
	ds_read_b128 v[8:11], v1 offset:16912
	;; [unrolled: 1-line block ×4, first 2 shown]
	ds_read_b64 v[56:57], v56 offset:27200
	v_mov_b32_e32 v60, 0
	s_waitcnt lgkmcnt(4)
	v_dot4c_i32_i8_e32 v60, v193, v12
	v_dot4c_i32_i8_e32 v60, v194, v13
	v_mov_b32_e32 v68, 0
	v_dot4c_i32_i8_e32 v60, v195, v14
	s_waitcnt lgkmcnt(2)
	v_dot4c_i32_i8_e32 v68, v192, v4
	v_dot4c_i32_i8_e32 v60, v196, v15
	v_dot4c_i32_i8_e32 v68, v212, v5
	v_dot4c_i32_i8_e32 v60, v197, v8
	v_dot4c_i32_i8_e32 v68, v213, v6
	v_dot4c_i32_i8_e32 v60, v198, v9
	v_dot4c_i32_i8_e32 v68, v214, v7
	v_dot4c_i32_i8_e32 v60, v199, v10
	s_waitcnt lgkmcnt(1)
	v_dot4c_i32_i8_e32 v68, v215, v0
	v_dot4c_i32_i8_e32 v60, v200, v11
	;; [unrolled: 1-line block ×4, first 2 shown]
	s_waitcnt lgkmcnt(0)
	v_cvt_f32_f16_e32 v165, v56
	v_cvt_f32_f16_sdwa v163, v56 dst_sel:DWORD dst_unused:UNUSED_PAD src0_sel:WORD_1
	v_mul_lo_u32 v52, v52, v191
	v_mul_lo_u32 v56, v60, v191
	v_dot4c_i32_i8_e32 v68, v218, v3
	v_cvt_f32_f16_e32 v161, v57
	v_cvt_f32_f16_sdwa v159, v57 dst_sel:DWORD dst_unused:UNUSED_PAD src0_sel:WORD_1
	v_cvt_f32_i32_e32 v57, v56
	v_cvt_f32_i32_e32 v56, v52
	v_mul_lo_u32 v52, v53, v211
	v_mul_lo_u32 v53, v68, v211
	v_cvt_f32_i32_e32 v68, v52
	v_mov_b32_e32 v52, 0
	v_dot4c_i32_i8_e32 v52, v190, v12
	v_cvt_f32_f16_sdwa v162, v166 dst_sel:DWORD dst_unused:UNUSED_PAD src0_sel:WORD_1
	v_dot4c_i32_i8_e32 v52, v204, v13
	v_cvt_f32_f16_e32 v164, v166
	v_cvt_f32_f16_sdwa v158, v167 dst_sel:DWORD dst_unused:UNUSED_PAD src0_sel:WORD_1
	v_dot4c_i32_i8_e32 v52, v205, v14
	v_cvt_f32_f16_e32 v160, v167
	v_cvt_f32_i32_e32 v69, v53
	v_dot4c_i32_i8_e32 v52, v206, v15
	v_dot4c_i32_i8_e32 v52, v207, v8
	v_mov_b32_e32 v53, 0
	v_pk_fma_f32 v[60:61], v[146:147], v[162:163], 0 op_sel_hi:[0,1,0]
	v_dot4c_i32_i8_e32 v52, v208, v9
	v_dot4c_i32_i8_e32 v53, v202, v4
	v_pk_fma_f32 v[56:57], v[56:57], v[164:165], 0 op_sel_hi:[1,1,0]
	v_pk_fma_f32 v[60:61], v[150:151], v[158:159], v[60:61] op_sel_hi:[0,1,1]
	v_dot4c_i32_i8_e32 v52, v209, v10
	v_dot4c_i32_i8_e32 v53, v221, v5
	v_pk_fma_f32 v[56:57], v[68:69], v[160:161], v[56:57]
	v_pk_mul_f32 v[60:61], v[60:61], v[18:19]
	v_dot4c_i32_i8_e32 v52, v210, v11
	v_dot4c_i32_i8_e32 v53, v222, v6
	v_pk_fma_f32 v[56:57], v[56:57], v[16:17], v[60:61] neg_lo:[0,0,1] neg_hi:[0,0,1]
	v_dot4c_i32_i8_e32 v53, v223, v7
	v_mul_lo_u32 v52, v52, v201
	v_pk_add_f32 v[26:27], v[26:27], v[56:57]
	v_dot4c_i32_i8_e32 v53, v224, v0
	v_cvt_f32_i32_e32 v57, v52
	v_mul_lo_u32 v52, v254, v225
	v_dot4c_i32_i8_e32 v53, v227, v1
	v_cvt_f32_i32_e32 v68, v52
	v_mov_b32_e32 v52, 0
	v_mov_b32_e32 v146, 0
	v_dot4c_i32_i8_e32 v53, v228, v2
	v_dot4c_i32_i8_e32 v52, v203, v12
	;; [unrolled: 1-line block ×7, first 2 shown]
	v_mul_lo_u32 v53, v53, v225
	v_dot4c_i32_i8_e32 v146, v246, v14
	v_cvt_f32_i32_e32 v69, v53
	v_dot4c_i32_i8_e32 v52, v232, v15
	v_mov_b32_e32 v53, 0
	v_dot4c_i32_i8_e32 v146, v247, v15
	v_mul_lo_u32 v56, v64, v201
	v_dot4c_i32_i8_e32 v52, v233, v8
	v_dot4c_i32_i8_e32 v53, v220, v4
	;; [unrolled: 1-line block ×3, first 2 shown]
	v_mov_b32_e32 v8, 0
	v_cvt_f32_i32_e32 v56, v56
	v_dot4c_i32_i8_e32 v53, v237, v5
	v_dot4c_i32_i8_e32 v8, v188, v4
	;; [unrolled: 1-line block ×6, first 2 shown]
	v_pk_fma_f32 v[60:61], v[148:149], v[162:163], 0 op_sel_hi:[0,1,0]
	v_dot4c_i32_i8_e32 v52, v234, v9
	v_dot4c_i32_i8_e32 v53, v240, v0
	;; [unrolled: 1-line block ×3, first 2 shown]
	v_pk_fma_f32 v[56:57], v[56:57], v[164:165], 0 op_sel_hi:[1,1,0]
	v_pk_fma_f32 v[60:61], v[154:155], v[158:159], v[60:61] op_sel_hi:[0,1,1]
	v_dot4c_i32_i8_e32 v52, v235, v10
	v_dot4c_i32_i8_e32 v53, v242, v1
	;; [unrolled: 1-line block ×4, first 2 shown]
	v_pk_fma_f32 v[56:57], v[68:69], v[160:161], v[56:57]
	v_pk_mul_f32 v[60:61], v[60:61], v[132:133]
	v_dot4c_i32_i8_e32 v52, v236, v11
	v_dot4c_i32_i8_e32 v53, v243, v2
	;; [unrolled: 1-line block ×4, first 2 shown]
	v_pk_fma_f32 v[56:57], v[56:57], v[130:131], v[60:61] neg_lo:[0,0,1] neg_hi:[0,0,1]
	v_dot4c_i32_i8_e32 v53, v244, v3
	v_mul_lo_u32 v54, v54, v219
	v_mul_lo_u32 v52, v52, v219
	v_dot4c_i32_i8_e32 v146, v251, v11
	v_dot4c_i32_i8_e32 v8, v185, v2
	v_pk_add_f32 v[24:25], v[24:25], v[56:57]
	v_cvt_f32_i32_e32 v57, v52
	v_cvt_f32_i32_e32 v56, v54
	v_mul_lo_u32 v52, v55, v241
	v_mul_lo_u32 v53, v53, v241
	v_dot4c_i32_i8_e32 v8, v186, v3
	v_mul_lo_u32 v0, v253, v145
	v_mul_lo_u32 v1, v146, v145
	v_cvt_f32_i32_e32 v55, v53
	v_cvt_f32_i32_e32 v54, v52
	;; [unrolled: 1-line block ×4, first 2 shown]
	v_mul_lo_u32 v4, v252, v181
	v_mul_lo_u32 v5, v8, v181
	v_cvt_f32_i32_e32 v5, v5
	v_cvt_f32_i32_e32 v4, v4
	v_pk_fma_f32 v[56:57], v[56:57], v[164:165], 0 op_sel_hi:[1,1,0]
	v_pk_fma_f32 v[60:61], v[152:153], v[162:163], 0 op_sel_hi:[0,1,0]
	;; [unrolled: 1-line block ×3, first 2 shown]
	v_pk_fma_f32 v[54:55], v[54:55], v[160:161], v[56:57]
	v_pk_fma_f32 v[56:57], v[156:157], v[158:159], v[60:61] op_sel_hi:[0,1,1]
	v_pk_fma_f32 v[0:1], v[0:1], v[164:165], 0 op_sel_hi:[1,1,0]
	v_pk_fma_f32 v[2:3], v[142:143], v[158:159], v[2:3] op_sel_hi:[0,1,1]
	v_pk_mul_f32 v[56:57], v[56:57], v[136:137]
	v_pk_fma_f32 v[0:1], v[4:5], v[160:161], v[0:1]
	v_pk_mul_f32 v[2:3], v[2:3], v[140:141]
	v_pk_fma_f32 v[54:55], v[54:55], v[134:135], v[56:57] neg_lo:[0,0,1] neg_hi:[0,0,1]
	v_pk_fma_f32 v[0:1], v[0:1], v[138:139], v[2:3] neg_lo:[0,0,1] neg_hi:[0,0,1]
	v_pk_add_f32 v[22:23], v[22:23], v[54:55]
	v_pk_add_f32 v[20:21], v[20:21], v[0:1]
	s_mov_b32 s18, 8
	s_and_b64 vcc, exec, s[4:5]
	s_mov_b64 s[4:5], 0
	s_cbranch_vccnz .LBB172_6
; %bb.7:                                ;   in Loop: Header=BB172_5 Depth=1
	v_add_u32_e32 v14, s9, v119
	v_add_u32_e32 v0, v14, v71
	;; [unrolled: 1-line block ×6, first 2 shown]
	v_mad_i64_i32 v[0:1], s[4:5], v0, 36, v[126:127]
	v_mad_i64_i32 v[2:3], s[4:5], v2, 36, v[126:127]
	;; [unrolled: 1-line block ×5, first 2 shown]
	v_add_u32_e32 v10, v14, v99
	v_add_u32_e32 v12, v14, v105
	;; [unrolled: 1-line block ×3, first 2 shown]
	s_barrier
	v_mad_i64_i32 v[10:11], s[4:5], v10, 36, v[126:127]
	v_mad_i64_i32 v[12:13], s[4:5], v12, 36, v[126:127]
	;; [unrolled: 1-line block ×3, first 2 shown]
	global_load_dword v16, v[0:1], off offset:4
	s_nop 0
	global_load_dword v2, v[2:3], off offset:4
	s_nop 0
	;; [unrolled: 2-line block ×3, first 2 shown]
	global_load_dword v4, v[6:7], off offset:4
	global_load_dword v5, v[8:9], off offset:4
	s_nop 0
	global_load_dword v6, v[10:11], off offset:4
	global_load_dword v7, v[12:13], off offset:4
	;; [unrolled: 1-line block ×3, first 2 shown]
	v_add_u32_e32 v0, 4, v143
	v_mad_u64_u32 v[0:1], s[4:5], v0, 36, s[2:3]
	global_load_dword v0, v[0:1], off
	s_mov_b32 s4, 16
	s_mov_b32 s5, 0
	v_mov_b32_e32 v159, v157
	v_mov_b32_e32 v161, v155
	s_mov_b32 s9, 0
	v_mov_b32_e32 v181, v153
	s_waitcnt vmcnt(8)
	ds_write_b32 v84, v16
	s_waitcnt vmcnt(7)
	ds_write_b32 v79, v2
	;; [unrolled: 2-line block ×9, first 2 shown]
	s_waitcnt lgkmcnt(0)
	s_barrier
	ds_read_b32 v0, v117
	ds_read_b32 v1, v121 offset:128
	ds_read_b32 v2, v123 offset:256
	;; [unrolled: 1-line block ×3, first 2 shown]
	s_waitcnt lgkmcnt(2)
	v_cvt_f32_f16_e32 v134, v1
	v_cvt_f32_f16_e32 v130, v0
	v_cvt_f32_f16_sdwa v132, v0 dst_sel:DWORD dst_unused:UNUSED_PAD src0_sel:WORD_1
	v_cvt_f32_f16_sdwa v136, v1 dst_sel:DWORD dst_unused:UNUSED_PAD src0_sel:WORD_1
	s_waitcnt lgkmcnt(1)
	v_cvt_f32_f16_e32 v138, v2
	v_cvt_f32_f16_sdwa v140, v2 dst_sel:DWORD dst_unused:UNUSED_PAD src0_sel:WORD_1
	s_waitcnt lgkmcnt(0)
	v_cvt_f32_f16_e32 v142, v3
	v_cvt_f32_f16_sdwa v144, v3 dst_sel:DWORD dst_unused:UNUSED_PAD src0_sel:WORD_1
	v_mov_b32_e32 v131, v130
	v_mov_b32_e32 v133, v132
	;; [unrolled: 1-line block ×8, first 2 shown]
.LBB172_8:                              ;   Parent Loop BB172_5 Depth=1
                                        ; =>  This Inner Loop Header: Depth=2
	ds_read_b128 v[16:19], v159
	ds_read_b128 v[12:15], v159 offset:16
	ds_read_b128 v[8:11], v159 offset:32
	;; [unrolled: 1-line block ×3, first 2 shown]
	ds_read2_b64 v[0:3], v161 offset1:16
	ds_read2_b32 v[60:61], v181 offset1:1
	ds_read2_b32 v[68:69], v181 offset0:2 offset1:3
	ds_read2_b32 v[162:163], v181 offset0:4 offset1:5
	;; [unrolled: 1-line block ×3, first 2 shown]
	s_lshr_b32 s17, s4, 2
	s_and_b32 s17, s17, 0x3ffffffc
	v_add_u32_e32 v56, s5, v168
	v_add3_u32 v52, v172, s17, v56
	ds_read_u16 v53, v52 offset:25088
	ds_read_u16 v52, v52 offset:25096
	s_waitcnt lgkmcnt(5)
	v_lshrrev_b32_e32 v54, 4, v60
	v_and_b32_e32 v212, 0xf0f0f0f, v54
	v_lshrrev_b32_e32 v54, 4, v61
	v_and_b32_e32 v222, 0xf0f0f0f, v54
	s_waitcnt lgkmcnt(4)
	v_lshrrev_b32_e32 v54, 4, v68
	s_waitcnt lgkmcnt(1)
	v_and_b32_e32 v208, 0xff, v53
	v_and_b32_e32 v223, 0xf0f0f0f, v54
	v_lshrrev_b32_e32 v54, 4, v69
	v_lshrrev_b16_e32 v221, 8, v53
	v_add_u32_e32 v53, 0x1080, v181
	v_and_b32_e32 v199, 0xf0f0f0f, v60
	v_and_b32_e32 v198, 0xf0f0f0f, v61
	;; [unrolled: 1-line block ×3, first 2 shown]
	v_lshrrev_b32_e32 v54, 4, v162
	ds_read2_b32 v[60:61], v53 offset1:1
	v_add_u32_e32 v53, 0x1088, v181
	v_and_b32_e32 v201, 0xf0f0f0f, v68
	v_and_b32_e32 v202, 0xf0f0f0f, v69
	;; [unrolled: 1-line block ×3, first 2 shown]
	v_lshrrev_b32_e32 v54, 4, v163
	ds_read2_b32 v[68:69], v53 offset1:1
	v_add_u32_e32 v53, 0x1090, v181
	v_and_b32_e32 v205, 0xf0f0f0f, v162
	v_and_b32_e32 v206, 0xf0f0f0f, v163
	s_waitcnt lgkmcnt(2)
	v_cvt_f32_ubyte0_e32 v150, v52
	v_and_b32_e32 v226, 0xf0f0f0f, v54
	v_lshrrev_b32_e32 v54, 4, v164
	v_cvt_f32_ubyte1_e32 v154, v52
	v_add3_u32 v52, v171, s17, v56
	ds_read2_b32 v[162:163], v53 offset1:1
	v_add_u32_e32 v53, 0x1098, v181
	v_and_b32_e32 v210, 0xf0f0f0f, v164
	v_and_b32_e32 v211, 0xf0f0f0f, v165
	;; [unrolled: 1-line block ×3, first 2 shown]
	v_lshrrev_b32_e32 v54, 4, v165
	ds_read2_b32 v[164:165], v53 offset1:1
	ds_read_u16 v53, v52 offset:25600
	ds_read_u16 v52, v52 offset:25608
	s_waitcnt lgkmcnt(5)
	v_lshrrev_b32_e32 v57, 4, v61
	v_and_b32_e32 v232, 0xf0f0f0f, v57
	s_waitcnt lgkmcnt(4)
	v_lshrrev_b32_e32 v57, 4, v68
	s_waitcnt lgkmcnt(1)
	v_and_b32_e32 v215, 0xff, v53
	v_and_b32_e32 v234, 0xf0f0f0f, v57
	v_lshrrev_b32_e32 v57, 4, v69
	v_lshrrev_b16_e32 v239, 8, v53
	v_add_u32_e32 v53, 0x2100, v181
	v_and_b32_e32 v230, 0xf0f0f0f, v54
	v_and_b32_e32 v200, 0xf0f0f0f, v60
	;; [unrolled: 1-line block ×3, first 2 shown]
	v_lshrrev_b32_e32 v54, 4, v60
	v_and_b32_e32 v236, 0xf0f0f0f, v57
	v_lshrrev_b32_e32 v57, 4, v162
	ds_read2_b32 v[60:61], v53 offset1:1
	v_add_u32_e32 v53, 0x2108, v181
	v_and_b32_e32 v207, 0xf0f0f0f, v68
	v_and_b32_e32 v209, 0xf0f0f0f, v69
	;; [unrolled: 1-line block ×3, first 2 shown]
	v_lshrrev_b32_e32 v57, 4, v163
	ds_read2_b32 v[68:69], v53 offset1:1
	v_add_u32_e32 v53, 0x2110, v181
	v_and_b32_e32 v213, 0xf0f0f0f, v162
	v_and_b32_e32 v214, 0xf0f0f0f, v163
	s_waitcnt lgkmcnt(2)
	v_cvt_f32_ubyte0_e32 v152, v52
	v_and_b32_e32 v241, 0xf0f0f0f, v57
	v_lshrrev_b32_e32 v57, 4, v164
	v_cvt_f32_ubyte1_e32 v158, v52
	v_add3_u32 v52, v170, s17, v56
	ds_read2_b32 v[162:163], v53 offset1:1
	v_add_u32_e32 v53, 0x2118, v181
	v_and_b32_e32 v216, 0xf0f0f0f, v164
	v_and_b32_e32 v217, 0xf0f0f0f, v165
	;; [unrolled: 1-line block ×3, first 2 shown]
	v_lshrrev_b32_e32 v57, 4, v165
	ds_read2_b32 v[164:165], v53 offset1:1
	ds_read_u16 v53, v52 offset:26112
	ds_read_u16 v52, v52 offset:26120
	s_waitcnt lgkmcnt(5)
	v_and_b32_e32 v220, 0xf0f0f0f, v61
	v_lshrrev_b32_e32 v61, 4, v61
	v_and_b32_e32 v246, 0xf0f0f0f, v61
	s_waitcnt lgkmcnt(1)
	v_and_b32_e32 v231, 0xff, v53
	v_lshrrev_b32_e32 v61, 4, v68
	v_lshrrev_b16_e32 v250, 8, v53
	v_add_u32_e32 v53, 0x3180, v181
	v_and_b32_e32 v228, 0xf0f0f0f, v68
	v_and_b32_e32 v229, 0xf0f0f0f, v69
	;; [unrolled: 1-line block ×3, first 2 shown]
	v_lshrrev_b32_e32 v61, 4, v69
	ds_read2_b32 v[68:69], v53 offset1:1
	v_mov_b32_e32 v254, 0
	v_mov_b32_e32 v255, 0
	v_and_b32_e32 v244, 0xf0f0f0f, v57
	v_and_b32_e32 v218, 0xf0f0f0f, v60
	v_mov_b32_e32 v57, 0
	s_waitcnt lgkmcnt(1)
	v_cvt_f32_ubyte0_e32 v156, v52
	v_cvt_f32_ubyte1_e32 v160, v52
	v_add3_u32 v52, v169, s17, v56
	s_waitcnt lgkmcnt(0)
	v_and_b32_e32 v245, 0xf0f0f0f, v68
	v_mov_b32_e32 v56, 0
	v_dot4c_i32_i8_e32 v254, v199, v16
	v_dot4c_i32_i8_e32 v255, v200, v16
	;; [unrolled: 1-line block ×4, first 2 shown]
	v_and_b32_e32 v204, 0xf0f0f0f, v69
	v_add_u32_e32 v16, 0x3188, v181
	v_dot4c_i32_i8_e32 v254, v198, v17
	v_dot4c_i32_i8_e32 v255, v203, v17
	;; [unrolled: 1-line block ×4, first 2 shown]
	ds_read2_b32 v[16:17], v16 offset1:1
	v_dot4c_i32_i8_e32 v254, v201, v18
	v_dot4c_i32_i8_e32 v255, v207, v18
	;; [unrolled: 1-line block ×4, first 2 shown]
	s_waitcnt lgkmcnt(0)
	v_and_b32_e32 v193, 0xf0f0f0f, v16
	v_dot4c_i32_i8_e32 v56, v193, v18
	v_and_b32_e32 v192, 0xf0f0f0f, v17
	v_add_u32_e32 v18, 0x3190, v181
	v_dot4c_i32_i8_e32 v255, v209, v19
	v_dot4c_i32_i8_e32 v57, v229, v19
	;; [unrolled: 1-line block ×3, first 2 shown]
	ds_read2_b32 v[18:19], v18 offset1:1
	v_and_b32_e32 v233, 0xf0f0f0f, v162
	v_dot4c_i32_i8_e32 v254, v205, v12
	v_dot4c_i32_i8_e32 v255, v213, v12
	;; [unrolled: 1-line block ×3, first 2 shown]
	s_waitcnt lgkmcnt(0)
	v_and_b32_e32 v194, 0xf0f0f0f, v18
	v_and_b32_e32 v235, 0xf0f0f0f, v163
	v_dot4c_i32_i8_e32 v56, v194, v12
	v_and_b32_e32 v195, 0xf0f0f0f, v19
	v_add_u32_e32 v12, 0x3198, v181
	v_dot4c_i32_i8_e32 v254, v206, v13
	v_dot4c_i32_i8_e32 v255, v214, v13
	;; [unrolled: 1-line block ×4, first 2 shown]
	ds_read2_b32 v[12:13], v12 offset1:1
	v_and_b32_e32 v237, 0xf0f0f0f, v164
	v_dot4c_i32_i8_e32 v254, v210, v14
	v_dot4c_i32_i8_e32 v255, v216, v14
	;; [unrolled: 1-line block ×3, first 2 shown]
	s_waitcnt lgkmcnt(0)
	v_and_b32_e32 v196, 0xf0f0f0f, v12
	v_and_b32_e32 v240, 0xf0f0f0f, v165
	v_dot4c_i32_i8_e32 v56, v196, v14
	v_and_b32_e32 v197, 0xf0f0f0f, v13
	v_dot4c_i32_i8_e32 v254, v211, v15
	v_dot4c_i32_i8_e32 v255, v217, v15
	;; [unrolled: 1-line block ×3, first 2 shown]
	v_lshrrev_b32_e32 v60, 4, v60
	v_dot4c_i32_i8_e32 v56, v197, v15
	ds_read_u16 v14, v52 offset:26624
	ds_read_u16 v15, v52 offset:26632
	v_lshrrev_b32_e32 v52, 4, v68
	v_mov_b32_e32 v55, 0
	v_and_b32_e32 v219, 0xf0f0f0f, v54
	v_mov_b32_e32 v54, 0
	v_and_b32_e32 v243, 0xf0f0f0f, v60
	;; [unrolled: 2-line block ×3, first 2 shown]
	v_mov_b32_e32 v64, 0
	v_dot4c_i32_i8_e32 v55, v212, v8
	v_dot4c_i32_i8_e32 v54, v219, v8
	;; [unrolled: 1-line block ×4, first 2 shown]
	v_lshrrev_b32_e32 v8, 4, v69
	v_and_b32_e32 v191, 0xf0f0f0f, v8
	v_lshrrev_b32_e32 v8, 4, v16
	v_dot4c_i32_i8_e32 v55, v222, v9
	v_dot4c_i32_i8_e32 v54, v232, v9
	;; [unrolled: 1-line block ×4, first 2 shown]
	v_and_b32_e32 v190, 0xf0f0f0f, v8
	v_lshrrev_b32_e32 v8, 4, v17
	v_dot4c_i32_i8_e32 v55, v223, v10
	v_dot4c_i32_i8_e32 v54, v234, v10
	;; [unrolled: 1-line block ×3, first 2 shown]
	v_and_b32_e32 v248, 0xf0f0f0f, v61
	v_lshrrev_b32_e32 v61, 4, v162
	v_dot4c_i32_i8_e32 v64, v190, v10
	v_and_b32_e32 v184, 0xf0f0f0f, v8
	v_lshrrev_b32_e32 v8, 4, v18
	v_dot4c_i32_i8_e32 v55, v224, v11
	v_dot4c_i32_i8_e32 v54, v236, v11
	;; [unrolled: 1-line block ×3, first 2 shown]
	v_and_b32_e32 v249, 0xf0f0f0f, v61
	v_dot4c_i32_i8_e32 v64, v184, v11
	v_and_b32_e32 v185, 0xf0f0f0f, v8
	v_dot4c_i32_i8_e32 v55, v225, v4
	v_dot4c_i32_i8_e32 v54, v238, v4
	;; [unrolled: 1-line block ×3, first 2 shown]
	v_lshrrev_b32_e32 v61, 4, v163
	v_dot4c_i32_i8_e32 v64, v185, v4
	v_lshrrev_b32_e32 v4, 4, v19
	v_and_b32_e32 v251, 0xf0f0f0f, v61
	v_lshrrev_b32_e32 v61, 4, v164
	v_and_b32_e32 v186, 0xf0f0f0f, v4
	v_lshrrev_b32_e32 v4, 4, v12
	v_dot4c_i32_i8_e32 v55, v226, v5
	v_dot4c_i32_i8_e32 v54, v241, v5
	;; [unrolled: 1-line block ×3, first 2 shown]
	v_and_b32_e32 v252, 0xf0f0f0f, v61
	v_lshrrev_b32_e32 v61, 4, v165
	v_dot4c_i32_i8_e32 v64, v186, v5
	v_and_b32_e32 v187, 0xf0f0f0f, v4
	v_lshrrev_b32_e32 v4, 4, v13
	v_dot4c_i32_i8_e32 v55, v227, v6
	v_dot4c_i32_i8_e32 v54, v242, v6
	;; [unrolled: 1-line block ×3, first 2 shown]
	v_and_b32_e32 v253, 0xf0f0f0f, v61
	v_dot4c_i32_i8_e32 v64, v187, v6
	v_and_b32_e32 v189, 0xf0f0f0f, v4
	v_dot4c_i32_i8_e32 v55, v230, v7
	v_dot4c_i32_i8_e32 v54, v244, v7
	;; [unrolled: 1-line block ×3, first 2 shown]
	s_waitcnt lgkmcnt(1)
	v_and_b32_e32 v183, 0xff, v14
	s_waitcnt lgkmcnt(0)
	v_cvt_f32_ubyte0_e32 v148, v15
	v_dot4c_i32_i8_e32 v64, v189, v7
	v_lshrrev_b16_e32 v182, 8, v14
	v_cvt_f32_ubyte1_e32 v146, v15
	ds_read_b128 v[16:19], v159 offset:1024
	ds_read_b128 v[12:15], v159 offset:1040
	;; [unrolled: 1-line block ×4, first 2 shown]
	v_mov_b32_e32 v52, 0
	s_waitcnt lgkmcnt(3)
	v_dot4c_i32_i8_e32 v52, v199, v16
	v_mov_b32_e32 v53, 0
	v_dot4c_i32_i8_e32 v52, v198, v17
	s_waitcnt lgkmcnt(1)
	v_dot4c_i32_i8_e32 v53, v212, v8
	v_dot4c_i32_i8_e32 v52, v201, v18
	;; [unrolled: 1-line block ×8, first 2 shown]
	s_waitcnt lgkmcnt(0)
	v_dot4c_i32_i8_e32 v53, v225, v4
	v_dot4c_i32_i8_e32 v52, v210, v14
	;; [unrolled: 1-line block ×6, first 2 shown]
	v_cvt_f32_f16_e32 v165, v2
	v_cvt_f32_f16_e32 v164, v0
	v_cvt_f32_f16_sdwa v167, v2 dst_sel:DWORD dst_unused:UNUSED_PAD src0_sel:WORD_1
	v_cvt_f32_f16_sdwa v166, v0 dst_sel:DWORD dst_unused:UNUSED_PAD src0_sel:WORD_1
	v_cvt_f32_f16_e32 v162, v1
	v_cvt_f32_f16_sdwa v2, v1 dst_sel:DWORD dst_unused:UNUSED_PAD src0_sel:WORD_1
	v_mul_lo_u32 v0, v254, v208
	v_mul_lo_u32 v1, v52, v208
	v_cvt_f32_i32_e32 v1, v1
	v_cvt_f32_i32_e32 v0, v0
	v_mul_lo_u32 v52, v55, v221
	v_mul_lo_u32 v53, v53, v221
	v_cvt_f32_f16_e32 v163, v3
	v_cvt_f32_f16_sdwa v3, v3 dst_sel:DWORD dst_unused:UNUSED_PAD src0_sel:WORD_1
	v_cvt_f32_i32_e32 v53, v53
	v_cvt_f32_i32_e32 v52, v52
	v_pk_fma_f32 v[0:1], v[164:165], v[0:1], 0 op_sel_hi:[1,1,0]
	v_pk_fma_f32 v[68:69], v[150:151], v[166:167], 0 op_sel_hi:[0,1,0]
	v_mov_b32_e32 v55, 0
	v_pk_fma_f32 v[0:1], v[162:163], v[52:53], v[0:1]
	v_pk_fma_f32 v[52:53], v[154:155], v[2:3], v[68:69] op_sel_hi:[0,1,1]
	v_pk_mul_f32 v[52:53], v[52:53], v[132:133]
	v_pk_fma_f32 v[0:1], v[0:1], v[130:131], v[52:53] neg_lo:[0,0,1] neg_hi:[0,0,1]
	v_pk_add_f32 v[50:51], v[50:51], v[0:1]
	v_mov_b32_e32 v0, 0
	v_dot4c_i32_i8_e32 v0, v200, v16
	v_dot4c_i32_i8_e32 v0, v203, v17
	;; [unrolled: 1-line block ×16, first 2 shown]
	v_mul_lo_u32 v52, v255, v215
	v_mul_lo_u32 v0, v0, v215
	v_cvt_f32_i32_e32 v1, v0
	v_cvt_f32_i32_e32 v0, v52
	v_mul_lo_u32 v54, v54, v239
	v_mul_lo_u32 v55, v55, v239
	v_cvt_f32_i32_e32 v55, v55
	v_cvt_f32_i32_e32 v54, v54
	v_pk_fma_f32 v[52:53], v[152:153], v[166:167], 0 op_sel_hi:[0,1,0]
	v_pk_fma_f32 v[0:1], v[164:165], v[0:1], 0 op_sel_hi:[1,1,0]
	;; [unrolled: 1-line block ×3, first 2 shown]
	v_pk_fma_f32 v[0:1], v[162:163], v[54:55], v[0:1]
	v_pk_mul_f32 v[52:53], v[52:53], v[136:137]
	v_pk_fma_f32 v[0:1], v[0:1], v[134:135], v[52:53] neg_lo:[0,0,1] neg_hi:[0,0,1]
	v_pk_add_f32 v[48:49], v[48:49], v[0:1]
	v_mov_b32_e32 v0, 0
	v_dot4c_i32_i8_e32 v0, v218, v16
	v_mov_b32_e32 v54, 0
	v_dot4c_i32_i8_e32 v0, v220, v17
	v_dot4c_i32_i8_e32 v54, v243, v8
	;; [unrolled: 1-line block ×15, first 2 shown]
	v_mul_lo_u32 v52, v57, v231
	v_mul_lo_u32 v0, v0, v231
	v_cvt_f32_i32_e32 v1, v0
	v_cvt_f32_i32_e32 v0, v52
	v_mul_lo_u32 v57, v60, v250
	v_mul_lo_u32 v54, v54, v250
	v_cvt_f32_i32_e32 v55, v54
	v_cvt_f32_i32_e32 v54, v57
	v_pk_fma_f32 v[52:53], v[156:157], v[166:167], 0 op_sel_hi:[0,1,0]
	v_pk_fma_f32 v[0:1], v[164:165], v[0:1], 0 op_sel_hi:[1,1,0]
	;; [unrolled: 1-line block ×3, first 2 shown]
	v_pk_fma_f32 v[0:1], v[162:163], v[54:55], v[0:1]
	v_pk_mul_f32 v[52:53], v[52:53], v[140:141]
	v_pk_fma_f32 v[0:1], v[0:1], v[138:139], v[52:53] neg_lo:[0,0,1] neg_hi:[0,0,1]
	v_pk_add_f32 v[46:47], v[46:47], v[0:1]
	v_mov_b32_e32 v0, 0
	v_dot4c_i32_i8_e32 v0, v245, v16
	v_dot4c_i32_i8_e32 v0, v204, v17
	;; [unrolled: 1-line block ×5, first 2 shown]
	v_mov_b32_e32 v12, 0
	v_dot4c_i32_i8_e32 v12, v188, v8
	v_dot4c_i32_i8_e32 v12, v191, v9
	;; [unrolled: 1-line block ×11, first 2 shown]
	v_mul_lo_u32 v4, v56, v183
	v_mul_lo_u32 v0, v0, v183
	v_cvt_f32_i32_e32 v1, v0
	v_cvt_f32_i32_e32 v0, v4
	v_mul_lo_u32 v6, v64, v182
	v_mul_lo_u32 v7, v12, v182
	v_cvt_f32_i32_e32 v7, v7
	v_cvt_f32_i32_e32 v6, v6
	v_pk_fma_f32 v[4:5], v[148:149], v[166:167], 0 op_sel_hi:[0,1,0]
	v_pk_fma_f32 v[0:1], v[164:165], v[0:1], 0 op_sel_hi:[1,1,0]
	v_pk_fma_f32 v[2:3], v[146:147], v[2:3], v[4:5] op_sel_hi:[0,1,1]
	v_pk_fma_f32 v[0:1], v[162:163], v[6:7], v[0:1]
	v_pk_mul_f32 v[2:3], v[2:3], v[144:145]
	v_pk_fma_f32 v[0:1], v[0:1], v[142:143], v[2:3] neg_lo:[0,0,1] neg_hi:[0,0,1]
	v_pk_add_f32 v[44:45], v[44:45], v[0:1]
	ds_read_b128 v[8:11], v159 offset:2048
	ds_read_b128 v[12:15], v159 offset:2064
	ds_read2_b64 v[16:19], v161 offset0:32 offset1:48
	ds_read_b128 v[4:7], v159 offset:2080
	ds_read_b128 v[0:3], v159 offset:2096
	v_mov_b32_e32 v52, 0
	v_mov_b32_e32 v57, 0
	;; [unrolled: 1-line block ×8, first 2 shown]
	s_waitcnt lgkmcnt(4)
	v_dot4c_i32_i8_e32 v52, v199, v8
	s_waitcnt lgkmcnt(1)
	v_dot4c_i32_i8_e32 v57, v212, v4
	v_dot4c_i32_i8_e32 v64, v200, v8
	;; [unrolled: 1-line block ×32, first 2 shown]
	s_waitcnt lgkmcnt(0)
	v_dot4c_i32_i8_e32 v57, v225, v0
	v_dot4c_i32_i8_e32 v64, v213, v12
	;; [unrolled: 1-line block ×31, first 2 shown]
	ds_read_b128 v[12:15], v159 offset:3072
	ds_read_b128 v[8:11], v159 offset:3088
	;; [unrolled: 1-line block ×4, first 2 shown]
	v_mov_b32_e32 v53, 0
	s_waitcnt lgkmcnt(3)
	v_dot4c_i32_i8_e32 v53, v199, v12
	v_mov_b32_e32 v60, 0
	v_dot4c_i32_i8_e32 v53, v198, v13
	s_waitcnt lgkmcnt(1)
	v_dot4c_i32_i8_e32 v60, v212, v4
	v_dot4c_i32_i8_e32 v53, v201, v14
	;; [unrolled: 1-line block ×8, first 2 shown]
	s_waitcnt lgkmcnt(0)
	v_dot4c_i32_i8_e32 v60, v225, v0
	v_dot4c_i32_i8_e32 v53, v210, v10
	;; [unrolled: 1-line block ×6, first 2 shown]
	v_cvt_f32_f16_e32 v165, v18
	v_cvt_f32_f16_e32 v164, v16
	v_cvt_f32_f16_sdwa v167, v18 dst_sel:DWORD dst_unused:UNUSED_PAD src0_sel:WORD_1
	v_cvt_f32_f16_sdwa v166, v16 dst_sel:DWORD dst_unused:UNUSED_PAD src0_sel:WORD_1
	v_cvt_f32_f16_e32 v162, v17
	v_cvt_f32_f16_sdwa v18, v17 dst_sel:DWORD dst_unused:UNUSED_PAD src0_sel:WORD_1
	v_mul_lo_u32 v16, v52, v208
	v_mul_lo_u32 v17, v53, v208
	v_cvt_f32_f16_e32 v163, v19
	v_cvt_f32_f16_sdwa v19, v19 dst_sel:DWORD dst_unused:UNUSED_PAD src0_sel:WORD_1
	v_cvt_f32_i32_e32 v17, v17
	v_cvt_f32_i32_e32 v16, v16
	v_mul_lo_u32 v57, v57, v221
	v_mul_lo_u32 v60, v60, v221
	v_cvt_f32_i32_e32 v61, v60
	v_cvt_f32_i32_e32 v60, v57
	v_pk_fma_f32 v[52:53], v[150:151], v[166:167], 0 op_sel_hi:[0,1,0]
	v_pk_fma_f32 v[16:17], v[16:17], v[164:165], 0 op_sel_hi:[1,1,0]
	;; [unrolled: 1-line block ×3, first 2 shown]
	v_pk_fma_f32 v[16:17], v[60:61], v[162:163], v[16:17]
	v_pk_mul_f32 v[52:53], v[52:53], v[132:133]
	v_pk_fma_f32 v[16:17], v[16:17], v[130:131], v[52:53] neg_lo:[0,0,1] neg_hi:[0,0,1]
	v_pk_add_f32 v[42:43], v[42:43], v[16:17]
	v_mov_b32_e32 v16, 0
	v_dot4c_i32_i8_e32 v16, v200, v12
	v_mov_b32_e32 v57, 0
	v_dot4c_i32_i8_e32 v16, v203, v13
	v_dot4c_i32_i8_e32 v57, v219, v4
	;; [unrolled: 1-line block ×15, first 2 shown]
	v_mul_lo_u32 v52, v64, v215
	v_mul_lo_u32 v16, v16, v215
	v_cvt_f32_i32_e32 v17, v16
	v_cvt_f32_i32_e32 v16, v52
	v_mul_lo_u32 v60, v68, v239
	v_mul_lo_u32 v57, v57, v239
	v_cvt_f32_i32_e32 v61, v57
	v_cvt_f32_i32_e32 v60, v60
	v_pk_fma_f32 v[52:53], v[152:153], v[166:167], 0 op_sel_hi:[0,1,0]
	v_pk_fma_f32 v[16:17], v[16:17], v[164:165], 0 op_sel_hi:[1,1,0]
	;; [unrolled: 1-line block ×3, first 2 shown]
	v_pk_fma_f32 v[16:17], v[60:61], v[162:163], v[16:17]
	v_pk_mul_f32 v[52:53], v[52:53], v[136:137]
	v_pk_fma_f32 v[16:17], v[16:17], v[134:135], v[52:53] neg_lo:[0,0,1] neg_hi:[0,0,1]
	v_pk_add_f32 v[40:41], v[40:41], v[16:17]
	v_mov_b32_e32 v16, 0
	v_dot4c_i32_i8_e32 v16, v218, v12
	v_mov_b32_e32 v57, 0
	v_dot4c_i32_i8_e32 v16, v220, v13
	v_dot4c_i32_i8_e32 v57, v243, v4
	;; [unrolled: 1-line block ×15, first 2 shown]
	v_mul_lo_u32 v52, v56, v231
	v_mul_lo_u32 v16, v16, v231
	v_cvt_f32_i32_e32 v17, v16
	v_cvt_f32_i32_e32 v16, v52
	v_mul_lo_u32 v56, v69, v250
	v_mul_lo_u32 v57, v57, v250
	v_cvt_f32_i32_e32 v57, v57
	v_cvt_f32_i32_e32 v56, v56
	v_pk_fma_f32 v[52:53], v[156:157], v[166:167], 0 op_sel_hi:[0,1,0]
	v_pk_fma_f32 v[16:17], v[16:17], v[164:165], 0 op_sel_hi:[1,1,0]
	;; [unrolled: 1-line block ×3, first 2 shown]
	v_pk_fma_f32 v[16:17], v[56:57], v[162:163], v[16:17]
	v_pk_mul_f32 v[52:53], v[52:53], v[140:141]
	v_pk_fma_f32 v[16:17], v[16:17], v[138:139], v[52:53] neg_lo:[0,0,1] neg_hi:[0,0,1]
	v_pk_add_f32 v[38:39], v[38:39], v[16:17]
	v_mov_b32_e32 v16, 0
	v_dot4c_i32_i8_e32 v16, v245, v12
	v_dot4c_i32_i8_e32 v16, v204, v13
	;; [unrolled: 1-line block ×5, first 2 shown]
	v_mov_b32_e32 v8, 0
	v_dot4c_i32_i8_e32 v8, v188, v4
	v_dot4c_i32_i8_e32 v8, v191, v5
	;; [unrolled: 1-line block ×11, first 2 shown]
	v_mul_lo_u32 v0, v54, v183
	v_mul_lo_u32 v1, v16, v183
	v_cvt_f32_i32_e32 v1, v1
	v_cvt_f32_i32_e32 v0, v0
	v_mul_lo_u32 v4, v55, v182
	v_mul_lo_u32 v5, v8, v182
	v_cvt_f32_i32_e32 v5, v5
	v_cvt_f32_i32_e32 v4, v4
	v_pk_fma_f32 v[2:3], v[148:149], v[166:167], 0 op_sel_hi:[0,1,0]
	v_pk_fma_f32 v[0:1], v[0:1], v[164:165], 0 op_sel_hi:[1,1,0]
	;; [unrolled: 1-line block ×3, first 2 shown]
	v_pk_fma_f32 v[0:1], v[4:5], v[162:163], v[0:1]
	v_pk_mul_f32 v[2:3], v[2:3], v[144:145]
	v_pk_fma_f32 v[0:1], v[0:1], v[142:143], v[2:3] neg_lo:[0,0,1] neg_hi:[0,0,1]
	v_pk_add_f32 v[36:37], v[36:37], v[0:1]
	ds_read_b128 v[12:15], v159 offset:4096
	ds_read_b128 v[8:11], v159 offset:4112
	ds_read2_b64 v[16:19], v161 offset0:64 offset1:80
	ds_read_b128 v[4:7], v159 offset:4128
	ds_read_b128 v[0:3], v159 offset:4144
	v_mov_b32_e32 v52, 0
	v_mov_b32_e32 v60, 0
	;; [unrolled: 1-line block ×8, first 2 shown]
	s_waitcnt lgkmcnt(4)
	v_dot4c_i32_i8_e32 v52, v199, v12
	s_waitcnt lgkmcnt(1)
	v_dot4c_i32_i8_e32 v60, v212, v4
	v_dot4c_i32_i8_e32 v64, v200, v12
	;; [unrolled: 1-line block ×32, first 2 shown]
	s_waitcnt lgkmcnt(0)
	v_dot4c_i32_i8_e32 v60, v225, v0
	v_dot4c_i32_i8_e32 v64, v213, v8
	;; [unrolled: 1-line block ×31, first 2 shown]
	ds_read_b128 v[12:15], v159 offset:5120
	ds_read_b128 v[8:11], v159 offset:5136
	;; [unrolled: 1-line block ×4, first 2 shown]
	v_mov_b32_e32 v53, 0
	s_waitcnt lgkmcnt(3)
	v_dot4c_i32_i8_e32 v53, v199, v12
	v_mov_b32_e32 v61, 0
	v_dot4c_i32_i8_e32 v53, v198, v13
	s_waitcnt lgkmcnt(1)
	v_dot4c_i32_i8_e32 v61, v212, v4
	v_dot4c_i32_i8_e32 v53, v201, v14
	;; [unrolled: 1-line block ×8, first 2 shown]
	s_waitcnt lgkmcnt(0)
	v_dot4c_i32_i8_e32 v61, v225, v0
	v_dot4c_i32_i8_e32 v53, v210, v10
	;; [unrolled: 1-line block ×6, first 2 shown]
	v_cvt_f32_f16_e32 v165, v18
	v_cvt_f32_f16_e32 v164, v16
	v_cvt_f32_f16_sdwa v167, v18 dst_sel:DWORD dst_unused:UNUSED_PAD src0_sel:WORD_1
	v_cvt_f32_f16_sdwa v166, v16 dst_sel:DWORD dst_unused:UNUSED_PAD src0_sel:WORD_1
	v_cvt_f32_f16_e32 v162, v17
	v_cvt_f32_f16_sdwa v18, v17 dst_sel:DWORD dst_unused:UNUSED_PAD src0_sel:WORD_1
	v_mul_lo_u32 v16, v52, v208
	v_mul_lo_u32 v17, v53, v208
	v_cvt_f32_f16_e32 v163, v19
	v_cvt_f32_f16_sdwa v19, v19 dst_sel:DWORD dst_unused:UNUSED_PAD src0_sel:WORD_1
	v_cvt_f32_i32_e32 v17, v17
	v_cvt_f32_i32_e32 v16, v16
	v_mul_lo_u32 v60, v60, v221
	v_mul_lo_u32 v61, v61, v221
	v_cvt_f32_i32_e32 v61, v61
	v_cvt_f32_i32_e32 v60, v60
	v_pk_fma_f32 v[52:53], v[150:151], v[166:167], 0 op_sel_hi:[0,1,0]
	v_pk_fma_f32 v[16:17], v[16:17], v[164:165], 0 op_sel_hi:[1,1,0]
	;; [unrolled: 1-line block ×3, first 2 shown]
	v_pk_fma_f32 v[16:17], v[60:61], v[162:163], v[16:17]
	v_pk_mul_f32 v[52:53], v[52:53], v[132:133]
	v_pk_fma_f32 v[16:17], v[16:17], v[130:131], v[52:53] neg_lo:[0,0,1] neg_hi:[0,0,1]
	v_pk_add_f32 v[34:35], v[34:35], v[16:17]
	v_mov_b32_e32 v16, 0
	v_dot4c_i32_i8_e32 v16, v200, v12
	v_mov_b32_e32 v60, 0
	v_dot4c_i32_i8_e32 v16, v203, v13
	v_dot4c_i32_i8_e32 v60, v219, v4
	;; [unrolled: 1-line block ×15, first 2 shown]
	v_mul_lo_u32 v52, v64, v215
	v_mul_lo_u32 v16, v16, v215
	v_cvt_f32_i32_e32 v17, v16
	v_cvt_f32_i32_e32 v16, v52
	v_mul_lo_u32 v64, v68, v239
	v_mul_lo_u32 v60, v60, v239
	v_cvt_f32_i32_e32 v61, v60
	v_cvt_f32_i32_e32 v60, v64
	v_pk_fma_f32 v[52:53], v[152:153], v[166:167], 0 op_sel_hi:[0,1,0]
	v_pk_fma_f32 v[16:17], v[16:17], v[164:165], 0 op_sel_hi:[1,1,0]
	;; [unrolled: 1-line block ×3, first 2 shown]
	v_pk_fma_f32 v[16:17], v[60:61], v[162:163], v[16:17]
	v_pk_mul_f32 v[52:53], v[52:53], v[136:137]
	v_pk_fma_f32 v[16:17], v[16:17], v[134:135], v[52:53] neg_lo:[0,0,1] neg_hi:[0,0,1]
	v_pk_add_f32 v[32:33], v[32:33], v[16:17]
	v_mov_b32_e32 v16, 0
	v_dot4c_i32_i8_e32 v16, v218, v12
	v_mov_b32_e32 v60, 0
	v_dot4c_i32_i8_e32 v16, v220, v13
	v_dot4c_i32_i8_e32 v60, v243, v4
	v_dot4c_i32_i8_e32 v16, v228, v14
	v_dot4c_i32_i8_e32 v60, v246, v5
	v_dot4c_i32_i8_e32 v16, v229, v15
	v_dot4c_i32_i8_e32 v60, v247, v6
	v_dot4c_i32_i8_e32 v16, v233, v8
	v_dot4c_i32_i8_e32 v60, v248, v7
	v_dot4c_i32_i8_e32 v16, v235, v9
	v_dot4c_i32_i8_e32 v60, v249, v0
	v_dot4c_i32_i8_e32 v16, v237, v10
	v_dot4c_i32_i8_e32 v60, v251, v1
	v_dot4c_i32_i8_e32 v16, v240, v11
	v_dot4c_i32_i8_e32 v60, v252, v2
	v_dot4c_i32_i8_e32 v60, v253, v3
	v_mul_lo_u32 v52, v56, v231
	v_mul_lo_u32 v16, v16, v231
	v_cvt_f32_i32_e32 v17, v16
	v_cvt_f32_i32_e32 v16, v52
	v_mul_lo_u32 v56, v57, v250
	v_mul_lo_u32 v57, v60, v250
	v_cvt_f32_i32_e32 v57, v57
	v_cvt_f32_i32_e32 v56, v56
	v_pk_fma_f32 v[52:53], v[156:157], v[166:167], 0 op_sel_hi:[0,1,0]
	v_pk_fma_f32 v[16:17], v[16:17], v[164:165], 0 op_sel_hi:[1,1,0]
	;; [unrolled: 1-line block ×3, first 2 shown]
	v_pk_fma_f32 v[16:17], v[56:57], v[162:163], v[16:17]
	v_pk_mul_f32 v[52:53], v[52:53], v[140:141]
	v_pk_fma_f32 v[16:17], v[16:17], v[138:139], v[52:53] neg_lo:[0,0,1] neg_hi:[0,0,1]
	v_pk_add_f32 v[30:31], v[30:31], v[16:17]
	v_mov_b32_e32 v16, 0
	v_dot4c_i32_i8_e32 v16, v245, v12
	v_dot4c_i32_i8_e32 v16, v204, v13
	;; [unrolled: 1-line block ×5, first 2 shown]
	v_mov_b32_e32 v8, 0
	v_dot4c_i32_i8_e32 v8, v188, v4
	v_dot4c_i32_i8_e32 v8, v191, v5
	;; [unrolled: 1-line block ×11, first 2 shown]
	v_mul_lo_u32 v0, v54, v183
	v_mul_lo_u32 v1, v16, v183
	v_cvt_f32_i32_e32 v1, v1
	v_cvt_f32_i32_e32 v0, v0
	v_mul_lo_u32 v4, v55, v182
	v_mul_lo_u32 v5, v8, v182
	v_cvt_f32_i32_e32 v5, v5
	v_cvt_f32_i32_e32 v4, v4
	v_pk_fma_f32 v[2:3], v[148:149], v[166:167], 0 op_sel_hi:[0,1,0]
	v_pk_fma_f32 v[0:1], v[0:1], v[164:165], 0 op_sel_hi:[1,1,0]
	;; [unrolled: 1-line block ×3, first 2 shown]
	v_pk_fma_f32 v[0:1], v[4:5], v[162:163], v[0:1]
	v_pk_mul_f32 v[2:3], v[2:3], v[144:145]
	v_pk_fma_f32 v[0:1], v[0:1], v[142:143], v[2:3] neg_lo:[0,0,1] neg_hi:[0,0,1]
	v_pk_add_f32 v[28:29], v[28:29], v[0:1]
	ds_read_b128 v[0:3], v159 offset:6144
	ds_read_b128 v[4:7], v159 offset:6160
	ds_read2_b64 v[16:19], v161 offset0:96 offset1:112
	ds_read_b128 v[8:11], v159 offset:6176
	ds_read_b128 v[12:15], v159 offset:6192
	v_mov_b32_e32 v60, 0
	v_mov_b32_e32 v64, 0
	;; [unrolled: 1-line block ×8, first 2 shown]
	s_waitcnt lgkmcnt(4)
	v_dot4c_i32_i8_e32 v60, v199, v0
	s_waitcnt lgkmcnt(1)
	v_dot4c_i32_i8_e32 v64, v212, v8
	v_dot4c_i32_i8_e32 v56, v200, v0
	;; [unrolled: 1-line block ×32, first 2 shown]
	s_waitcnt lgkmcnt(0)
	v_dot4c_i32_i8_e32 v64, v225, v12
	v_dot4c_i32_i8_e32 v56, v213, v4
	;; [unrolled: 1-line block ×31, first 2 shown]
	ds_read_b128 v[8:11], v159 offset:7168
	ds_read_b128 v[12:15], v159 offset:7184
	;; [unrolled: 1-line block ×4, first 2 shown]
	v_mov_b32_e32 v52, 0
	s_waitcnt lgkmcnt(3)
	v_dot4c_i32_i8_e32 v52, v199, v8
	v_mov_b32_e32 v61, 0
	v_dot4c_i32_i8_e32 v52, v198, v9
	s_waitcnt lgkmcnt(1)
	v_dot4c_i32_i8_e32 v61, v212, v4
	v_dot4c_i32_i8_e32 v52, v201, v10
	;; [unrolled: 1-line block ×8, first 2 shown]
	s_waitcnt lgkmcnt(0)
	v_dot4c_i32_i8_e32 v61, v225, v0
	v_dot4c_i32_i8_e32 v52, v210, v14
	;; [unrolled: 1-line block ×6, first 2 shown]
	v_cvt_f32_f16_e32 v167, v18
	v_cvt_f32_f16_e32 v166, v16
	v_cvt_f32_f16_sdwa v165, v18 dst_sel:DWORD dst_unused:UNUSED_PAD src0_sel:WORD_1
	v_cvt_f32_f16_sdwa v164, v16 dst_sel:DWORD dst_unused:UNUSED_PAD src0_sel:WORD_1
	v_cvt_f32_f16_e32 v162, v17
	v_cvt_f32_f16_sdwa v18, v17 dst_sel:DWORD dst_unused:UNUSED_PAD src0_sel:WORD_1
	v_mul_lo_u32 v16, v60, v208
	v_mul_lo_u32 v17, v52, v208
	v_cvt_f32_f16_e32 v163, v19
	v_cvt_f32_f16_sdwa v19, v19 dst_sel:DWORD dst_unused:UNUSED_PAD src0_sel:WORD_1
	v_cvt_f32_i32_e32 v17, v17
	v_cvt_f32_i32_e32 v16, v16
	v_mul_lo_u32 v60, v64, v221
	v_mul_lo_u32 v61, v61, v221
	v_cvt_f32_i32_e32 v61, v61
	v_cvt_f32_i32_e32 v60, v60
	v_pk_fma_f32 v[52:53], v[150:151], v[164:165], 0 op_sel_hi:[0,1,0]
	v_pk_fma_f32 v[16:17], v[16:17], v[166:167], 0 op_sel_hi:[1,1,0]
	v_pk_fma_f32 v[52:53], v[154:155], v[18:19], v[52:53] op_sel_hi:[0,1,1]
	v_pk_fma_f32 v[16:17], v[60:61], v[162:163], v[16:17]
	v_pk_mul_f32 v[52:53], v[52:53], v[132:133]
	v_pk_fma_f32 v[16:17], v[16:17], v[130:131], v[52:53] neg_lo:[0,0,1] neg_hi:[0,0,1]
	v_pk_add_f32 v[26:27], v[26:27], v[16:17]
	v_mov_b32_e32 v16, 0
	v_dot4c_i32_i8_e32 v16, v200, v8
	v_mov_b32_e32 v60, 0
	v_dot4c_i32_i8_e32 v16, v203, v9
	v_dot4c_i32_i8_e32 v60, v219, v4
	v_dot4c_i32_i8_e32 v16, v207, v10
	v_dot4c_i32_i8_e32 v60, v232, v5
	v_dot4c_i32_i8_e32 v16, v209, v11
	v_dot4c_i32_i8_e32 v60, v234, v6
	v_dot4c_i32_i8_e32 v16, v213, v12
	v_dot4c_i32_i8_e32 v60, v236, v7
	v_dot4c_i32_i8_e32 v16, v214, v13
	v_dot4c_i32_i8_e32 v60, v238, v0
	v_dot4c_i32_i8_e32 v16, v216, v14
	v_dot4c_i32_i8_e32 v60, v241, v1
	v_dot4c_i32_i8_e32 v16, v217, v15
	v_dot4c_i32_i8_e32 v60, v242, v2
	v_dot4c_i32_i8_e32 v60, v244, v3
	v_mul_lo_u32 v52, v56, v215
	v_mul_lo_u32 v16, v16, v215
	v_cvt_f32_i32_e32 v17, v16
	v_cvt_f32_i32_e32 v16, v52
	v_mul_lo_u32 v56, v57, v239
	v_mul_lo_u32 v57, v60, v239
	v_cvt_f32_i32_e32 v57, v57
	v_cvt_f32_i32_e32 v56, v56
	v_pk_fma_f32 v[52:53], v[152:153], v[164:165], 0 op_sel_hi:[0,1,0]
	v_pk_fma_f32 v[16:17], v[16:17], v[166:167], 0 op_sel_hi:[1,1,0]
	v_pk_fma_f32 v[52:53], v[158:159], v[18:19], v[52:53] op_sel_hi:[0,1,1]
	v_pk_fma_f32 v[16:17], v[56:57], v[162:163], v[16:17]
	v_pk_mul_f32 v[52:53], v[52:53], v[136:137]
	v_pk_fma_f32 v[16:17], v[16:17], v[134:135], v[52:53] neg_lo:[0,0,1] neg_hi:[0,0,1]
	v_pk_add_f32 v[24:25], v[24:25], v[16:17]
	v_mov_b32_e32 v16, 0
	v_dot4c_i32_i8_e32 v16, v218, v8
	v_mov_b32_e32 v56, 0
	v_dot4c_i32_i8_e32 v16, v220, v9
	v_dot4c_i32_i8_e32 v56, v243, v4
	v_dot4c_i32_i8_e32 v16, v228, v10
	v_dot4c_i32_i8_e32 v56, v246, v5
	v_dot4c_i32_i8_e32 v16, v229, v11
	v_dot4c_i32_i8_e32 v56, v247, v6
	v_dot4c_i32_i8_e32 v16, v233, v12
	v_dot4c_i32_i8_e32 v56, v248, v7
	v_dot4c_i32_i8_e32 v16, v235, v13
	v_dot4c_i32_i8_e32 v56, v249, v0
	v_dot4c_i32_i8_e32 v16, v237, v14
	v_dot4c_i32_i8_e32 v56, v251, v1
	v_dot4c_i32_i8_e32 v16, v240, v15
	v_dot4c_i32_i8_e32 v56, v252, v2
	v_dot4c_i32_i8_e32 v56, v253, v3
	v_mul_lo_u32 v52, v54, v231
	v_mul_lo_u32 v16, v16, v231
	;; [unrolled: 33-line block ×3, first 2 shown]
	v_cvt_f32_i32_e32 v1, v1
	v_cvt_f32_i32_e32 v0, v0
	v_mul_lo_u32 v4, v254, v182
	v_mul_lo_u32 v5, v8, v182
	v_cvt_f32_i32_e32 v5, v5
	v_cvt_f32_i32_e32 v4, v4
	v_pk_fma_f32 v[2:3], v[148:149], v[164:165], 0 op_sel_hi:[0,1,0]
	v_pk_fma_f32 v[0:1], v[0:1], v[166:167], 0 op_sel_hi:[1,1,0]
	;; [unrolled: 1-line block ×3, first 2 shown]
	v_pk_fma_f32 v[0:1], v[4:5], v[162:163], v[0:1]
	v_pk_mul_f32 v[2:3], v[2:3], v[144:145]
	v_pk_fma_f32 v[0:1], v[0:1], v[142:143], v[2:3] neg_lo:[0,0,1] neg_hi:[0,0,1]
	s_add_i32 s4, s4, 8
	s_add_i32 s17, s9, 8
	;; [unrolled: 1-line block ×4, first 2 shown]
	v_pk_add_f32 v[20:21], v[20:21], v[0:1]
	v_add_u32_e32 v181, 32, v181
	v_add_u32_e32 v161, 8, v161
	;; [unrolled: 1-line block ×3, first 2 shown]
	s_cmp_lt_u32 s9, 24
	s_mov_b32 s9, s17
	s_cbranch_scc1 .LBB172_8
; %bb.9:                                ;   in Loop: Header=BB172_5 Depth=1
	s_add_i32 s0, s0, 1
	s_cmp_eq_u32 s0, s7
	s_barrier
	s_cbranch_scc0 .LBB172_5
; %bb.10:
	buffer_load_dword v1, off, s[20:23], 0 offset:72 ; 4-byte Folded Reload
	buffer_load_dword v2, off, s[20:23], 0 offset:76 ; 4-byte Folded Reload
.LBB172_11:
	s_waitcnt vmcnt(0)
	v_cmp_gt_u32_e32 vcc, s10, v2
	s_and_saveexec_b64 s[0:1], vcc
	s_cbranch_execz .LBB172_62
; %bb.12:
	v_add_u32_e32 v0, s6, v80
	v_mul_lo_u32 v5, v2, s14
	v_cmp_gt_u32_e32 vcc, s14, v0
	s_and_saveexec_b64 s[2:3], vcc
	s_cbranch_execz .LBB172_14
; %bb.13:
	v_bfe_u32 v2, v50, 16, 1
	s_movk_i32 s0, 0x7fff
	v_add3_u32 v2, v50, v2, s0
	v_lshrrev_b32_e32 v2, 16, v2
	v_mov_b32_e32 v3, 0x7fc0
	v_cmp_o_f32_e64 s[0:1], v50, v50
	v_cndmask_b32_e64 v4, v3, v2, s[0:1]
	v_add_u32_e32 v2, v0, v5
	v_mov_b32_e32 v3, 0
	v_lshlrev_b64 v[2:3], 1, v[2:3]
	s_waitcnt lgkmcnt(0)
	v_mov_b32_e32 v6, s13
	v_add_co_u32_e64 v2, s[0:1], s12, v2
	v_addc_co_u32_e64 v3, s[0:1], v6, v3, s[0:1]
	global_store_short v[2:3], v4, off
.LBB172_14:
	s_or_b64 exec, exec, s[2:3]
	v_add_u32_e32 v2, 32, v0
	v_cmp_gt_u32_e64 s[0:1], s14, v2
	s_and_saveexec_b64 s[4:5], s[0:1]
	s_cbranch_execz .LBB172_16
; %bb.15:
	v_bfe_u32 v3, v48, 16, 1
	s_movk_i32 s2, 0x7fff
	v_add3_u32 v3, v48, v3, s2
	v_add_u32_e32 v6, v2, v5
	v_mov_b32_e32 v7, 0
	v_lshrrev_b32_e32 v3, 16, v3
	v_mov_b32_e32 v4, 0x7fc0
	v_cmp_o_f32_e64 s[2:3], v48, v48
	v_lshlrev_b64 v[6:7], 1, v[6:7]
	v_cndmask_b32_e64 v3, v4, v3, s[2:3]
	s_waitcnt lgkmcnt(0)
	v_mov_b32_e32 v4, s13
	v_add_co_u32_e64 v6, s[2:3], s12, v6
	v_addc_co_u32_e64 v7, s[2:3], v4, v7, s[2:3]
	global_store_short v[6:7], v3, off
.LBB172_16:
	s_or_b64 exec, exec, s[4:5]
	v_add_u32_e32 v3, 64, v0
	v_cmp_gt_u32_e64 s[2:3], s14, v3
	s_and_saveexec_b64 s[6:7], s[2:3]
	s_cbranch_execz .LBB172_18
; %bb.17:
	v_bfe_u32 v4, v46, 16, 1
	s_movk_i32 s4, 0x7fff
	v_add3_u32 v4, v46, v4, s4
	v_lshrrev_b32_e32 v4, 16, v4
	v_mov_b32_e32 v6, 0x7fc0
	v_cmp_o_f32_e64 s[4:5], v46, v46
	v_cndmask_b32_e64 v4, v6, v4, s[4:5]
	v_add_u32_e32 v6, v3, v5
	v_mov_b32_e32 v7, 0
	v_lshlrev_b64 v[6:7], 1, v[6:7]
	s_waitcnt lgkmcnt(0)
	v_mov_b32_e32 v8, s13
	v_add_co_u32_e64 v6, s[4:5], s12, v6
	v_addc_co_u32_e64 v7, s[4:5], v8, v7, s[4:5]
	global_store_short v[6:7], v4, off
.LBB172_18:
	s_or_b64 exec, exec, s[6:7]
	v_add_u32_e32 v4, 0x60, v0
	v_cmp_gt_u32_e64 s[4:5], s14, v4
	s_and_saveexec_b64 s[8:9], s[4:5]
	s_cbranch_execz .LBB172_20
; %bb.19:
	v_bfe_u32 v6, v44, 16, 1
	s_movk_i32 s6, 0x7fff
	v_add3_u32 v6, v44, v6, s6
	v_lshrrev_b32_e32 v6, 16, v6
	v_mov_b32_e32 v7, 0x7fc0
	v_cmp_o_f32_e64 s[6:7], v44, v44
	v_cndmask_b32_e64 v8, v7, v6, s[6:7]
	v_add_u32_e32 v6, v4, v5
	v_mov_b32_e32 v7, 0
	v_lshlrev_b64 v[6:7], 1, v[6:7]
	s_waitcnt lgkmcnt(0)
	v_mov_b32_e32 v5, s13
	v_add_co_u32_e64 v6, s[6:7], s12, v6
	v_addc_co_u32_e64 v7, s[6:7], v5, v7, s[6:7]
	global_store_short v[6:7], v8, off
.LBB172_20:
	s_or_b64 exec, exec, s[8:9]
	v_add3_u32 v5, v1, s15, 8
	v_cmp_gt_u32_e64 s[6:7], s10, v5
	s_and_b64 exec, exec, s[6:7]
	s_cbranch_execz .LBB172_62
; %bb.21:
	v_mul_lo_u32 v5, v5, s14
	s_and_saveexec_b64 s[8:9], vcc
	s_cbranch_execnz .LBB172_63
; %bb.22:
	s_or_b64 exec, exec, s[8:9]
	s_and_saveexec_b64 s[8:9], s[0:1]
	s_cbranch_execnz .LBB172_64
.LBB172_23:
	s_or_b64 exec, exec, s[8:9]
	s_and_saveexec_b64 s[8:9], s[2:3]
	s_cbranch_execnz .LBB172_65
.LBB172_24:
	s_or_b64 exec, exec, s[8:9]
	s_and_saveexec_b64 s[8:9], s[4:5]
	s_cbranch_execz .LBB172_26
.LBB172_25:
	v_bfe_u32 v6, v45, 16, 1
	s_movk_i32 s6, 0x7fff
	v_add3_u32 v6, v45, v6, s6
	v_lshrrev_b32_e32 v6, 16, v6
	v_mov_b32_e32 v7, 0x7fc0
	v_cmp_o_f32_e64 s[6:7], v45, v45
	v_cndmask_b32_e64 v8, v7, v6, s[6:7]
	v_add_u32_e32 v6, v5, v4
	v_mov_b32_e32 v7, 0
	v_lshlrev_b64 v[6:7], 1, v[6:7]
	s_waitcnt lgkmcnt(0)
	v_mov_b32_e32 v5, s13
	v_add_co_u32_e64 v6, s[6:7], s12, v6
	v_addc_co_u32_e64 v7, s[6:7], v5, v7, s[6:7]
	global_store_short v[6:7], v8, off
.LBB172_26:
	s_or_b64 exec, exec, s[8:9]
	v_add3_u32 v5, v1, s15, 16
	v_cmp_gt_u32_e64 s[6:7], s10, v5
	s_and_b64 exec, exec, s[6:7]
	s_cbranch_execz .LBB172_62
; %bb.27:
	v_mul_lo_u32 v5, v5, s14
	s_and_saveexec_b64 s[8:9], vcc
	s_cbranch_execnz .LBB172_66
; %bb.28:
	s_or_b64 exec, exec, s[8:9]
	s_and_saveexec_b64 s[8:9], s[0:1]
	s_cbranch_execnz .LBB172_67
.LBB172_29:
	s_or_b64 exec, exec, s[8:9]
	s_and_saveexec_b64 s[8:9], s[2:3]
	s_cbranch_execnz .LBB172_68
.LBB172_30:
	s_or_b64 exec, exec, s[8:9]
	s_and_saveexec_b64 s[8:9], s[4:5]
	s_cbranch_execz .LBB172_32
.LBB172_31:
	v_bfe_u32 v6, v36, 16, 1
	s_movk_i32 s6, 0x7fff
	v_add3_u32 v6, v36, v6, s6
	v_lshrrev_b32_e32 v6, 16, v6
	v_mov_b32_e32 v7, 0x7fc0
	v_cmp_o_f32_e64 s[6:7], v36, v36
	v_cndmask_b32_e64 v8, v7, v6, s[6:7]
	v_add_u32_e32 v6, v5, v4
	v_mov_b32_e32 v7, 0
	v_lshlrev_b64 v[6:7], 1, v[6:7]
	s_waitcnt lgkmcnt(0)
	v_mov_b32_e32 v5, s13
	v_add_co_u32_e64 v6, s[6:7], s12, v6
	v_addc_co_u32_e64 v7, s[6:7], v5, v7, s[6:7]
	global_store_short v[6:7], v8, off
.LBB172_32:
	s_or_b64 exec, exec, s[8:9]
	v_add3_u32 v5, v1, s15, 24
	v_cmp_gt_u32_e64 s[6:7], s10, v5
	s_and_b64 exec, exec, s[6:7]
	s_cbranch_execz .LBB172_62
; %bb.33:
	v_mul_lo_u32 v5, v5, s14
	s_and_saveexec_b64 s[8:9], vcc
	s_cbranch_execnz .LBB172_69
; %bb.34:
	s_or_b64 exec, exec, s[8:9]
	s_and_saveexec_b64 s[8:9], s[0:1]
	s_cbranch_execnz .LBB172_70
.LBB172_35:
	s_or_b64 exec, exec, s[8:9]
	s_and_saveexec_b64 s[8:9], s[2:3]
	s_cbranch_execnz .LBB172_71
.LBB172_36:
	s_or_b64 exec, exec, s[8:9]
	s_and_saveexec_b64 s[8:9], s[4:5]
	s_cbranch_execz .LBB172_38
.LBB172_37:
	v_bfe_u32 v6, v37, 16, 1
	s_movk_i32 s6, 0x7fff
	v_add3_u32 v6, v37, v6, s6
	v_lshrrev_b32_e32 v6, 16, v6
	v_mov_b32_e32 v7, 0x7fc0
	v_cmp_o_f32_e64 s[6:7], v37, v37
	v_cndmask_b32_e64 v8, v7, v6, s[6:7]
	v_add_u32_e32 v6, v5, v4
	v_mov_b32_e32 v7, 0
	v_lshlrev_b64 v[6:7], 1, v[6:7]
	s_waitcnt lgkmcnt(0)
	v_mov_b32_e32 v5, s13
	v_add_co_u32_e64 v6, s[6:7], s12, v6
	v_addc_co_u32_e64 v7, s[6:7], v5, v7, s[6:7]
	global_store_short v[6:7], v8, off
.LBB172_38:
	s_or_b64 exec, exec, s[8:9]
	v_add3_u32 v5, v1, s15, 32
	v_cmp_gt_u32_e64 s[6:7], s10, v5
	s_and_b64 exec, exec, s[6:7]
	s_cbranch_execz .LBB172_62
; %bb.39:
	v_mul_lo_u32 v5, v5, s14
	s_and_saveexec_b64 s[8:9], vcc
	s_cbranch_execnz .LBB172_72
; %bb.40:
	s_or_b64 exec, exec, s[8:9]
	s_and_saveexec_b64 s[8:9], s[0:1]
	s_cbranch_execnz .LBB172_73
.LBB172_41:
	s_or_b64 exec, exec, s[8:9]
	s_and_saveexec_b64 s[8:9], s[2:3]
	s_cbranch_execnz .LBB172_74
.LBB172_42:
	s_or_b64 exec, exec, s[8:9]
	s_and_saveexec_b64 s[8:9], s[4:5]
	s_cbranch_execz .LBB172_44
.LBB172_43:
	v_bfe_u32 v6, v28, 16, 1
	s_movk_i32 s6, 0x7fff
	v_add3_u32 v6, v28, v6, s6
	v_lshrrev_b32_e32 v6, 16, v6
	v_mov_b32_e32 v7, 0x7fc0
	v_cmp_o_f32_e64 s[6:7], v28, v28
	v_cndmask_b32_e64 v8, v7, v6, s[6:7]
	v_add_u32_e32 v6, v5, v4
	v_mov_b32_e32 v7, 0
	v_lshlrev_b64 v[6:7], 1, v[6:7]
	s_waitcnt lgkmcnt(0)
	v_mov_b32_e32 v5, s13
	v_add_co_u32_e64 v6, s[6:7], s12, v6
	v_addc_co_u32_e64 v7, s[6:7], v5, v7, s[6:7]
	global_store_short v[6:7], v8, off
.LBB172_44:
	s_or_b64 exec, exec, s[8:9]
	v_add3_u32 v5, v1, s15, 40
	v_cmp_gt_u32_e64 s[6:7], s10, v5
	s_and_b64 exec, exec, s[6:7]
	s_cbranch_execz .LBB172_62
; %bb.45:
	v_mul_lo_u32 v5, v5, s14
	s_and_saveexec_b64 s[8:9], vcc
	s_cbranch_execnz .LBB172_75
; %bb.46:
	s_or_b64 exec, exec, s[8:9]
	s_and_saveexec_b64 s[8:9], s[0:1]
	s_cbranch_execnz .LBB172_76
.LBB172_47:
	s_or_b64 exec, exec, s[8:9]
	s_and_saveexec_b64 s[8:9], s[2:3]
	s_cbranch_execnz .LBB172_77
.LBB172_48:
	s_or_b64 exec, exec, s[8:9]
	s_and_saveexec_b64 s[8:9], s[4:5]
	s_cbranch_execz .LBB172_50
.LBB172_49:
	v_bfe_u32 v6, v29, 16, 1
	s_movk_i32 s6, 0x7fff
	v_add3_u32 v6, v29, v6, s6
	v_lshrrev_b32_e32 v6, 16, v6
	v_mov_b32_e32 v7, 0x7fc0
	v_cmp_o_f32_e64 s[6:7], v29, v29
	v_cndmask_b32_e64 v8, v7, v6, s[6:7]
	v_add_u32_e32 v6, v5, v4
	v_mov_b32_e32 v7, 0
	v_lshlrev_b64 v[6:7], 1, v[6:7]
	s_waitcnt lgkmcnt(0)
	v_mov_b32_e32 v5, s13
	v_add_co_u32_e64 v6, s[6:7], s12, v6
	v_addc_co_u32_e64 v7, s[6:7], v5, v7, s[6:7]
	global_store_short v[6:7], v8, off
.LBB172_50:
	s_or_b64 exec, exec, s[8:9]
	v_add3_u32 v5, v1, s15, 48
	v_cmp_gt_u32_e64 s[6:7], s10, v5
	s_and_b64 exec, exec, s[6:7]
	s_cbranch_execz .LBB172_62
; %bb.51:
	v_mul_lo_u32 v5, v5, s14
	s_and_saveexec_b64 s[8:9], vcc
	s_cbranch_execnz .LBB172_78
; %bb.52:
	s_or_b64 exec, exec, s[8:9]
	s_and_saveexec_b64 s[8:9], s[0:1]
	s_cbranch_execnz .LBB172_79
.LBB172_53:
	s_or_b64 exec, exec, s[8:9]
	s_and_saveexec_b64 s[8:9], s[2:3]
	s_cbranch_execnz .LBB172_80
.LBB172_54:
	s_or_b64 exec, exec, s[8:9]
	s_and_saveexec_b64 s[8:9], s[4:5]
	s_cbranch_execz .LBB172_56
.LBB172_55:
	v_bfe_u32 v6, v20, 16, 1
	s_movk_i32 s6, 0x7fff
	v_add3_u32 v6, v20, v6, s6
	v_lshrrev_b32_e32 v6, 16, v6
	v_mov_b32_e32 v7, 0x7fc0
	v_cmp_o_f32_e64 s[6:7], v20, v20
	v_cndmask_b32_e64 v8, v7, v6, s[6:7]
	v_add_u32_e32 v6, v5, v4
	v_mov_b32_e32 v7, 0
	v_lshlrev_b64 v[6:7], 1, v[6:7]
	s_waitcnt lgkmcnt(0)
	v_mov_b32_e32 v5, s13
	v_add_co_u32_e64 v6, s[6:7], s12, v6
	v_addc_co_u32_e64 v7, s[6:7], v5, v7, s[6:7]
	global_store_short v[6:7], v8, off
.LBB172_56:
	s_or_b64 exec, exec, s[8:9]
	v_add3_u32 v1, v1, s15, 56
	v_cmp_gt_u32_e64 s[6:7], s10, v1
	s_and_b64 exec, exec, s[6:7]
	s_cbranch_execz .LBB172_62
; %bb.57:
	v_mul_lo_u32 v1, v1, s14
	s_and_saveexec_b64 s[6:7], vcc
	s_cbranch_execnz .LBB172_81
; %bb.58:
	s_or_b64 exec, exec, s[6:7]
	s_and_saveexec_b64 s[6:7], s[0:1]
	s_cbranch_execnz .LBB172_82
.LBB172_59:
	s_or_b64 exec, exec, s[6:7]
	s_and_saveexec_b64 s[0:1], s[2:3]
	s_cbranch_execnz .LBB172_83
.LBB172_60:
	s_or_b64 exec, exec, s[0:1]
	s_and_b64 exec, exec, s[4:5]
	s_cbranch_execz .LBB172_62
.LBB172_61:
	v_bfe_u32 v0, v21, 16, 1
	s_movk_i32 s0, 0x7fff
	v_add3_u32 v0, v21, v0, s0
	v_lshrrev_b32_e32 v0, 16, v0
	v_mov_b32_e32 v2, 0x7fc0
	v_cmp_o_f32_e32 vcc, v21, v21
	v_cndmask_b32_e32 v2, v2, v0, vcc
	v_add_u32_e32 v0, v1, v4
	v_mov_b32_e32 v1, 0
	v_lshlrev_b64 v[0:1], 1, v[0:1]
	s_waitcnt lgkmcnt(0)
	v_mov_b32_e32 v3, s13
	v_add_co_u32_e32 v0, vcc, s12, v0
	v_addc_co_u32_e32 v1, vcc, v3, v1, vcc
	global_store_short v[0:1], v2, off
.LBB172_62:
	s_endpgm
.LBB172_63:
	v_bfe_u32 v6, v51, 16, 1
	s_movk_i32 s6, 0x7fff
	v_add3_u32 v6, v51, v6, s6
	v_lshrrev_b32_e32 v6, 16, v6
	v_mov_b32_e32 v7, 0x7fc0
	v_cmp_o_f32_e64 s[6:7], v51, v51
	v_cndmask_b32_e64 v8, v7, v6, s[6:7]
	v_add_u32_e32 v6, v5, v0
	v_mov_b32_e32 v7, 0
	v_lshlrev_b64 v[6:7], 1, v[6:7]
	s_waitcnt lgkmcnt(0)
	v_mov_b32_e32 v9, s13
	v_add_co_u32_e64 v6, s[6:7], s12, v6
	v_addc_co_u32_e64 v7, s[6:7], v9, v7, s[6:7]
	global_store_short v[6:7], v8, off
	s_or_b64 exec, exec, s[8:9]
	s_and_saveexec_b64 s[8:9], s[0:1]
	s_cbranch_execz .LBB172_23
.LBB172_64:
	v_bfe_u32 v6, v49, 16, 1
	s_movk_i32 s6, 0x7fff
	v_add3_u32 v6, v49, v6, s6
	v_lshrrev_b32_e32 v6, 16, v6
	v_mov_b32_e32 v7, 0x7fc0
	v_cmp_o_f32_e64 s[6:7], v49, v49
	v_cndmask_b32_e64 v8, v7, v6, s[6:7]
	v_add_u32_e32 v6, v5, v2
	v_mov_b32_e32 v7, 0
	v_lshlrev_b64 v[6:7], 1, v[6:7]
	s_waitcnt lgkmcnt(0)
	v_mov_b32_e32 v9, s13
	v_add_co_u32_e64 v6, s[6:7], s12, v6
	v_addc_co_u32_e64 v7, s[6:7], v9, v7, s[6:7]
	global_store_short v[6:7], v8, off
	s_or_b64 exec, exec, s[8:9]
	s_and_saveexec_b64 s[8:9], s[2:3]
	s_cbranch_execz .LBB172_24
.LBB172_65:
	v_bfe_u32 v6, v47, 16, 1
	s_movk_i32 s6, 0x7fff
	v_add3_u32 v6, v47, v6, s6
	v_lshrrev_b32_e32 v6, 16, v6
	v_mov_b32_e32 v7, 0x7fc0
	v_cmp_o_f32_e64 s[6:7], v47, v47
	v_cndmask_b32_e64 v8, v7, v6, s[6:7]
	v_add_u32_e32 v6, v5, v3
	v_mov_b32_e32 v7, 0
	v_lshlrev_b64 v[6:7], 1, v[6:7]
	s_waitcnt lgkmcnt(0)
	v_mov_b32_e32 v9, s13
	v_add_co_u32_e64 v6, s[6:7], s12, v6
	v_addc_co_u32_e64 v7, s[6:7], v9, v7, s[6:7]
	global_store_short v[6:7], v8, off
	s_or_b64 exec, exec, s[8:9]
	s_and_saveexec_b64 s[8:9], s[4:5]
	s_cbranch_execnz .LBB172_25
	s_branch .LBB172_26
.LBB172_66:
	v_bfe_u32 v6, v42, 16, 1
	s_movk_i32 s6, 0x7fff
	v_add3_u32 v6, v42, v6, s6
	v_lshrrev_b32_e32 v6, 16, v6
	v_mov_b32_e32 v7, 0x7fc0
	v_cmp_o_f32_e64 s[6:7], v42, v42
	v_cndmask_b32_e64 v8, v7, v6, s[6:7]
	v_add_u32_e32 v6, v5, v0
	v_mov_b32_e32 v7, 0
	v_lshlrev_b64 v[6:7], 1, v[6:7]
	s_waitcnt lgkmcnt(0)
	v_mov_b32_e32 v9, s13
	v_add_co_u32_e64 v6, s[6:7], s12, v6
	v_addc_co_u32_e64 v7, s[6:7], v9, v7, s[6:7]
	global_store_short v[6:7], v8, off
	s_or_b64 exec, exec, s[8:9]
	s_and_saveexec_b64 s[8:9], s[0:1]
	s_cbranch_execz .LBB172_29
.LBB172_67:
	v_bfe_u32 v6, v40, 16, 1
	s_movk_i32 s6, 0x7fff
	v_add3_u32 v6, v40, v6, s6
	v_lshrrev_b32_e32 v6, 16, v6
	v_mov_b32_e32 v7, 0x7fc0
	v_cmp_o_f32_e64 s[6:7], v40, v40
	v_cndmask_b32_e64 v8, v7, v6, s[6:7]
	v_add_u32_e32 v6, v5, v2
	v_mov_b32_e32 v7, 0
	v_lshlrev_b64 v[6:7], 1, v[6:7]
	s_waitcnt lgkmcnt(0)
	v_mov_b32_e32 v9, s13
	v_add_co_u32_e64 v6, s[6:7], s12, v6
	v_addc_co_u32_e64 v7, s[6:7], v9, v7, s[6:7]
	global_store_short v[6:7], v8, off
	s_or_b64 exec, exec, s[8:9]
	s_and_saveexec_b64 s[8:9], s[2:3]
	s_cbranch_execz .LBB172_30
.LBB172_68:
	v_bfe_u32 v6, v38, 16, 1
	s_movk_i32 s6, 0x7fff
	v_add3_u32 v6, v38, v6, s6
	v_lshrrev_b32_e32 v6, 16, v6
	v_mov_b32_e32 v7, 0x7fc0
	v_cmp_o_f32_e64 s[6:7], v38, v38
	v_cndmask_b32_e64 v8, v7, v6, s[6:7]
	v_add_u32_e32 v6, v5, v3
	v_mov_b32_e32 v7, 0
	v_lshlrev_b64 v[6:7], 1, v[6:7]
	s_waitcnt lgkmcnt(0)
	v_mov_b32_e32 v9, s13
	v_add_co_u32_e64 v6, s[6:7], s12, v6
	v_addc_co_u32_e64 v7, s[6:7], v9, v7, s[6:7]
	global_store_short v[6:7], v8, off
	s_or_b64 exec, exec, s[8:9]
	s_and_saveexec_b64 s[8:9], s[4:5]
	s_cbranch_execnz .LBB172_31
	s_branch .LBB172_32
.LBB172_69:
	v_bfe_u32 v6, v43, 16, 1
	s_movk_i32 s6, 0x7fff
	v_add3_u32 v6, v43, v6, s6
	v_lshrrev_b32_e32 v6, 16, v6
	v_mov_b32_e32 v7, 0x7fc0
	v_cmp_o_f32_e64 s[6:7], v43, v43
	v_cndmask_b32_e64 v8, v7, v6, s[6:7]
	v_add_u32_e32 v6, v5, v0
	v_mov_b32_e32 v7, 0
	v_lshlrev_b64 v[6:7], 1, v[6:7]
	s_waitcnt lgkmcnt(0)
	v_mov_b32_e32 v9, s13
	v_add_co_u32_e64 v6, s[6:7], s12, v6
	v_addc_co_u32_e64 v7, s[6:7], v9, v7, s[6:7]
	global_store_short v[6:7], v8, off
	s_or_b64 exec, exec, s[8:9]
	s_and_saveexec_b64 s[8:9], s[0:1]
	s_cbranch_execz .LBB172_35
.LBB172_70:
	v_bfe_u32 v6, v41, 16, 1
	s_movk_i32 s6, 0x7fff
	v_add3_u32 v6, v41, v6, s6
	v_lshrrev_b32_e32 v6, 16, v6
	v_mov_b32_e32 v7, 0x7fc0
	v_cmp_o_f32_e64 s[6:7], v41, v41
	v_cndmask_b32_e64 v8, v7, v6, s[6:7]
	v_add_u32_e32 v6, v5, v2
	v_mov_b32_e32 v7, 0
	v_lshlrev_b64 v[6:7], 1, v[6:7]
	s_waitcnt lgkmcnt(0)
	v_mov_b32_e32 v9, s13
	v_add_co_u32_e64 v6, s[6:7], s12, v6
	v_addc_co_u32_e64 v7, s[6:7], v9, v7, s[6:7]
	global_store_short v[6:7], v8, off
	s_or_b64 exec, exec, s[8:9]
	s_and_saveexec_b64 s[8:9], s[2:3]
	s_cbranch_execz .LBB172_36
.LBB172_71:
	v_bfe_u32 v6, v39, 16, 1
	s_movk_i32 s6, 0x7fff
	v_add3_u32 v6, v39, v6, s6
	v_lshrrev_b32_e32 v6, 16, v6
	v_mov_b32_e32 v7, 0x7fc0
	v_cmp_o_f32_e64 s[6:7], v39, v39
	v_cndmask_b32_e64 v8, v7, v6, s[6:7]
	v_add_u32_e32 v6, v5, v3
	v_mov_b32_e32 v7, 0
	v_lshlrev_b64 v[6:7], 1, v[6:7]
	s_waitcnt lgkmcnt(0)
	v_mov_b32_e32 v9, s13
	v_add_co_u32_e64 v6, s[6:7], s12, v6
	v_addc_co_u32_e64 v7, s[6:7], v9, v7, s[6:7]
	global_store_short v[6:7], v8, off
	s_or_b64 exec, exec, s[8:9]
	s_and_saveexec_b64 s[8:9], s[4:5]
	s_cbranch_execnz .LBB172_37
	s_branch .LBB172_38
.LBB172_72:
	v_bfe_u32 v6, v34, 16, 1
	s_movk_i32 s6, 0x7fff
	v_add3_u32 v6, v34, v6, s6
	v_lshrrev_b32_e32 v6, 16, v6
	v_mov_b32_e32 v7, 0x7fc0
	v_cmp_o_f32_e64 s[6:7], v34, v34
	v_cndmask_b32_e64 v8, v7, v6, s[6:7]
	v_add_u32_e32 v6, v5, v0
	v_mov_b32_e32 v7, 0
	v_lshlrev_b64 v[6:7], 1, v[6:7]
	s_waitcnt lgkmcnt(0)
	v_mov_b32_e32 v9, s13
	v_add_co_u32_e64 v6, s[6:7], s12, v6
	v_addc_co_u32_e64 v7, s[6:7], v9, v7, s[6:7]
	global_store_short v[6:7], v8, off
	s_or_b64 exec, exec, s[8:9]
	s_and_saveexec_b64 s[8:9], s[0:1]
	s_cbranch_execz .LBB172_41
.LBB172_73:
	v_bfe_u32 v6, v32, 16, 1
	s_movk_i32 s6, 0x7fff
	v_add3_u32 v6, v32, v6, s6
	v_lshrrev_b32_e32 v6, 16, v6
	v_mov_b32_e32 v7, 0x7fc0
	v_cmp_o_f32_e64 s[6:7], v32, v32
	v_cndmask_b32_e64 v8, v7, v6, s[6:7]
	v_add_u32_e32 v6, v5, v2
	v_mov_b32_e32 v7, 0
	v_lshlrev_b64 v[6:7], 1, v[6:7]
	s_waitcnt lgkmcnt(0)
	v_mov_b32_e32 v9, s13
	v_add_co_u32_e64 v6, s[6:7], s12, v6
	v_addc_co_u32_e64 v7, s[6:7], v9, v7, s[6:7]
	global_store_short v[6:7], v8, off
	s_or_b64 exec, exec, s[8:9]
	s_and_saveexec_b64 s[8:9], s[2:3]
	s_cbranch_execz .LBB172_42
.LBB172_74:
	v_bfe_u32 v6, v30, 16, 1
	s_movk_i32 s6, 0x7fff
	v_add3_u32 v6, v30, v6, s6
	v_lshrrev_b32_e32 v6, 16, v6
	v_mov_b32_e32 v7, 0x7fc0
	v_cmp_o_f32_e64 s[6:7], v30, v30
	v_cndmask_b32_e64 v8, v7, v6, s[6:7]
	v_add_u32_e32 v6, v5, v3
	v_mov_b32_e32 v7, 0
	v_lshlrev_b64 v[6:7], 1, v[6:7]
	s_waitcnt lgkmcnt(0)
	v_mov_b32_e32 v9, s13
	v_add_co_u32_e64 v6, s[6:7], s12, v6
	v_addc_co_u32_e64 v7, s[6:7], v9, v7, s[6:7]
	global_store_short v[6:7], v8, off
	s_or_b64 exec, exec, s[8:9]
	s_and_saveexec_b64 s[8:9], s[4:5]
	s_cbranch_execnz .LBB172_43
	s_branch .LBB172_44
.LBB172_75:
	v_bfe_u32 v6, v35, 16, 1
	s_movk_i32 s6, 0x7fff
	v_add3_u32 v6, v35, v6, s6
	v_lshrrev_b32_e32 v6, 16, v6
	v_mov_b32_e32 v7, 0x7fc0
	v_cmp_o_f32_e64 s[6:7], v35, v35
	v_cndmask_b32_e64 v8, v7, v6, s[6:7]
	v_add_u32_e32 v6, v5, v0
	v_mov_b32_e32 v7, 0
	v_lshlrev_b64 v[6:7], 1, v[6:7]
	s_waitcnt lgkmcnt(0)
	v_mov_b32_e32 v9, s13
	v_add_co_u32_e64 v6, s[6:7], s12, v6
	v_addc_co_u32_e64 v7, s[6:7], v9, v7, s[6:7]
	global_store_short v[6:7], v8, off
	s_or_b64 exec, exec, s[8:9]
	s_and_saveexec_b64 s[8:9], s[0:1]
	s_cbranch_execz .LBB172_47
.LBB172_76:
	v_bfe_u32 v6, v33, 16, 1
	s_movk_i32 s6, 0x7fff
	v_add3_u32 v6, v33, v6, s6
	v_lshrrev_b32_e32 v6, 16, v6
	v_mov_b32_e32 v7, 0x7fc0
	v_cmp_o_f32_e64 s[6:7], v33, v33
	v_cndmask_b32_e64 v8, v7, v6, s[6:7]
	v_add_u32_e32 v6, v5, v2
	v_mov_b32_e32 v7, 0
	v_lshlrev_b64 v[6:7], 1, v[6:7]
	s_waitcnt lgkmcnt(0)
	v_mov_b32_e32 v9, s13
	v_add_co_u32_e64 v6, s[6:7], s12, v6
	v_addc_co_u32_e64 v7, s[6:7], v9, v7, s[6:7]
	global_store_short v[6:7], v8, off
	s_or_b64 exec, exec, s[8:9]
	s_and_saveexec_b64 s[8:9], s[2:3]
	s_cbranch_execz .LBB172_48
.LBB172_77:
	v_bfe_u32 v6, v31, 16, 1
	s_movk_i32 s6, 0x7fff
	v_add3_u32 v6, v31, v6, s6
	v_lshrrev_b32_e32 v6, 16, v6
	v_mov_b32_e32 v7, 0x7fc0
	v_cmp_o_f32_e64 s[6:7], v31, v31
	v_cndmask_b32_e64 v8, v7, v6, s[6:7]
	v_add_u32_e32 v6, v5, v3
	v_mov_b32_e32 v7, 0
	v_lshlrev_b64 v[6:7], 1, v[6:7]
	s_waitcnt lgkmcnt(0)
	v_mov_b32_e32 v9, s13
	v_add_co_u32_e64 v6, s[6:7], s12, v6
	v_addc_co_u32_e64 v7, s[6:7], v9, v7, s[6:7]
	global_store_short v[6:7], v8, off
	s_or_b64 exec, exec, s[8:9]
	s_and_saveexec_b64 s[8:9], s[4:5]
	s_cbranch_execnz .LBB172_49
	s_branch .LBB172_50
.LBB172_78:
	v_bfe_u32 v6, v26, 16, 1
	s_movk_i32 s6, 0x7fff
	v_add3_u32 v6, v26, v6, s6
	v_lshrrev_b32_e32 v6, 16, v6
	v_mov_b32_e32 v7, 0x7fc0
	v_cmp_o_f32_e64 s[6:7], v26, v26
	v_cndmask_b32_e64 v8, v7, v6, s[6:7]
	v_add_u32_e32 v6, v5, v0
	v_mov_b32_e32 v7, 0
	v_lshlrev_b64 v[6:7], 1, v[6:7]
	s_waitcnt lgkmcnt(0)
	v_mov_b32_e32 v9, s13
	v_add_co_u32_e64 v6, s[6:7], s12, v6
	v_addc_co_u32_e64 v7, s[6:7], v9, v7, s[6:7]
	global_store_short v[6:7], v8, off
	s_or_b64 exec, exec, s[8:9]
	s_and_saveexec_b64 s[8:9], s[0:1]
	s_cbranch_execz .LBB172_53
.LBB172_79:
	v_bfe_u32 v6, v24, 16, 1
	s_movk_i32 s6, 0x7fff
	v_add3_u32 v6, v24, v6, s6
	v_lshrrev_b32_e32 v6, 16, v6
	v_mov_b32_e32 v7, 0x7fc0
	v_cmp_o_f32_e64 s[6:7], v24, v24
	v_cndmask_b32_e64 v8, v7, v6, s[6:7]
	v_add_u32_e32 v6, v5, v2
	v_mov_b32_e32 v7, 0
	v_lshlrev_b64 v[6:7], 1, v[6:7]
	s_waitcnt lgkmcnt(0)
	v_mov_b32_e32 v9, s13
	v_add_co_u32_e64 v6, s[6:7], s12, v6
	v_addc_co_u32_e64 v7, s[6:7], v9, v7, s[6:7]
	global_store_short v[6:7], v8, off
	s_or_b64 exec, exec, s[8:9]
	s_and_saveexec_b64 s[8:9], s[2:3]
	s_cbranch_execz .LBB172_54
.LBB172_80:
	v_bfe_u32 v6, v22, 16, 1
	s_movk_i32 s6, 0x7fff
	v_add3_u32 v6, v22, v6, s6
	v_lshrrev_b32_e32 v6, 16, v6
	v_mov_b32_e32 v7, 0x7fc0
	v_cmp_o_f32_e64 s[6:7], v22, v22
	v_cndmask_b32_e64 v8, v7, v6, s[6:7]
	v_add_u32_e32 v6, v5, v3
	v_mov_b32_e32 v7, 0
	v_lshlrev_b64 v[6:7], 1, v[6:7]
	s_waitcnt lgkmcnt(0)
	v_mov_b32_e32 v9, s13
	v_add_co_u32_e64 v6, s[6:7], s12, v6
	v_addc_co_u32_e64 v7, s[6:7], v9, v7, s[6:7]
	global_store_short v[6:7], v8, off
	s_or_b64 exec, exec, s[8:9]
	s_and_saveexec_b64 s[8:9], s[4:5]
	s_cbranch_execnz .LBB172_55
	s_branch .LBB172_56
.LBB172_81:
	v_bfe_u32 v5, v27, 16, 1
	s_movk_i32 s8, 0x7fff
	v_add3_u32 v5, v27, v5, s8
	v_lshrrev_b32_e32 v5, 16, v5
	v_mov_b32_e32 v6, 0x7fc0
	v_cmp_o_f32_e32 vcc, v27, v27
	v_cndmask_b32_e32 v5, v6, v5, vcc
	v_add_u32_e32 v6, v1, v0
	v_mov_b32_e32 v7, 0
	v_lshlrev_b64 v[6:7], 1, v[6:7]
	s_waitcnt lgkmcnt(0)
	v_mov_b32_e32 v0, s13
	v_add_co_u32_e32 v6, vcc, s12, v6
	v_addc_co_u32_e32 v7, vcc, v0, v7, vcc
	global_store_short v[6:7], v5, off
	s_or_b64 exec, exec, s[6:7]
	s_and_saveexec_b64 s[6:7], s[0:1]
	s_cbranch_execz .LBB172_59
.LBB172_82:
	v_bfe_u32 v0, v25, 16, 1
	s_movk_i32 s0, 0x7fff
	v_add3_u32 v0, v25, v0, s0
	v_add_u32_e32 v6, v1, v2
	v_mov_b32_e32 v7, 0
	v_lshrrev_b32_e32 v0, 16, v0
	v_mov_b32_e32 v5, 0x7fc0
	v_cmp_o_f32_e32 vcc, v25, v25
	v_lshlrev_b64 v[6:7], 1, v[6:7]
	v_cndmask_b32_e32 v0, v5, v0, vcc
	s_waitcnt lgkmcnt(0)
	v_mov_b32_e32 v2, s13
	v_add_co_u32_e32 v6, vcc, s12, v6
	v_addc_co_u32_e32 v7, vcc, v2, v7, vcc
	global_store_short v[6:7], v0, off
	s_or_b64 exec, exec, s[6:7]
	s_and_saveexec_b64 s[0:1], s[2:3]
	s_cbranch_execz .LBB172_60
.LBB172_83:
	v_bfe_u32 v0, v23, 16, 1
	s_movk_i32 s2, 0x7fff
	v_add3_u32 v0, v23, v0, s2
	v_lshrrev_b32_e32 v0, 16, v0
	v_mov_b32_e32 v2, 0x7fc0
	v_cmp_o_f32_e32 vcc, v23, v23
	v_cndmask_b32_e32 v0, v2, v0, vcc
	v_add_u32_e32 v2, v1, v3
	v_mov_b32_e32 v3, 0
	v_lshlrev_b64 v[2:3], 1, v[2:3]
	s_waitcnt lgkmcnt(0)
	v_mov_b32_e32 v5, s13
	v_add_co_u32_e32 v2, vcc, s12, v2
	v_addc_co_u32_e32 v3, vcc, v5, v3, vcc
	global_store_short v[2:3], v0, off
	s_or_b64 exec, exec, s[0:1]
	s_and_b64 exec, exec, s[4:5]
	s_cbranch_execnz .LBB172_61
	s_branch .LBB172_62
	.section	.rodata,"a",@progbits
	.p2align	6, 0x0
	.amdhsa_kernel _ZL12mul_mat_q4_KIN3c108BFloat16ELb1EEvPKvS3_PT_iiiii
		.amdhsa_group_segment_fixed_size 28752
		.amdhsa_private_segment_fixed_size 84
		.amdhsa_kernarg_size 44
		.amdhsa_user_sgpr_count 6
		.amdhsa_user_sgpr_private_segment_buffer 1
		.amdhsa_user_sgpr_dispatch_ptr 0
		.amdhsa_user_sgpr_queue_ptr 0
		.amdhsa_user_sgpr_kernarg_segment_ptr 1
		.amdhsa_user_sgpr_dispatch_id 0
		.amdhsa_user_sgpr_flat_scratch_init 0
		.amdhsa_user_sgpr_kernarg_preload_length 0
		.amdhsa_user_sgpr_kernarg_preload_offset 0
		.amdhsa_user_sgpr_private_segment_size 0
		.amdhsa_uses_dynamic_stack 0
		.amdhsa_system_sgpr_private_segment_wavefront_offset 1
		.amdhsa_system_sgpr_workgroup_id_x 1
		.amdhsa_system_sgpr_workgroup_id_y 1
		.amdhsa_system_sgpr_workgroup_id_z 0
		.amdhsa_system_sgpr_workgroup_info 0
		.amdhsa_system_vgpr_workitem_id 1
		.amdhsa_next_free_vgpr 256
		.amdhsa_next_free_sgpr 24
		.amdhsa_accum_offset 256
		.amdhsa_reserve_vcc 1
		.amdhsa_reserve_flat_scratch 0
		.amdhsa_float_round_mode_32 0
		.amdhsa_float_round_mode_16_64 0
		.amdhsa_float_denorm_mode_32 3
		.amdhsa_float_denorm_mode_16_64 3
		.amdhsa_dx10_clamp 1
		.amdhsa_ieee_mode 1
		.amdhsa_fp16_overflow 0
		.amdhsa_tg_split 0
		.amdhsa_exception_fp_ieee_invalid_op 0
		.amdhsa_exception_fp_denorm_src 0
		.amdhsa_exception_fp_ieee_div_zero 0
		.amdhsa_exception_fp_ieee_overflow 0
		.amdhsa_exception_fp_ieee_underflow 0
		.amdhsa_exception_fp_ieee_inexact 0
		.amdhsa_exception_int_div_zero 0
	.end_amdhsa_kernel
	.section	.text._ZL12mul_mat_q4_KIN3c108BFloat16ELb1EEvPKvS3_PT_iiiii,"axG",@progbits,_ZL12mul_mat_q4_KIN3c108BFloat16ELb1EEvPKvS3_PT_iiiii,comdat
.Lfunc_end172:
	.size	_ZL12mul_mat_q4_KIN3c108BFloat16ELb1EEvPKvS3_PT_iiiii, .Lfunc_end172-_ZL12mul_mat_q4_KIN3c108BFloat16ELb1EEvPKvS3_PT_iiiii
                                        ; -- End function
	.section	.AMDGPU.csdata,"",@progbits
; Kernel info:
; codeLenInByte = 19280
; NumSgprs: 28
; NumVgprs: 256
; NumAgprs: 0
; TotalNumVgprs: 256
; ScratchSize: 84
; MemoryBound: 0
; FloatMode: 240
; IeeeMode: 1
; LDSByteSize: 28752 bytes/workgroup (compile time only)
; SGPRBlocks: 3
; VGPRBlocks: 31
; NumSGPRsForWavesPerEU: 28
; NumVGPRsForWavesPerEU: 256
; AccumOffset: 256
; Occupancy: 2
; WaveLimiterHint : 0
; COMPUTE_PGM_RSRC2:SCRATCH_EN: 1
; COMPUTE_PGM_RSRC2:USER_SGPR: 6
; COMPUTE_PGM_RSRC2:TRAP_HANDLER: 0
; COMPUTE_PGM_RSRC2:TGID_X_EN: 1
; COMPUTE_PGM_RSRC2:TGID_Y_EN: 1
; COMPUTE_PGM_RSRC2:TGID_Z_EN: 0
; COMPUTE_PGM_RSRC2:TIDIG_COMP_CNT: 1
; COMPUTE_PGM_RSRC3_GFX90A:ACCUM_OFFSET: 63
; COMPUTE_PGM_RSRC3_GFX90A:TG_SPLIT: 0
	.section	.text._ZL12mul_mat_q5_KIN3c108BFloat16ELb0EEvPKvS3_PT_iiiii,"axG",@progbits,_ZL12mul_mat_q5_KIN3c108BFloat16ELb0EEvPKvS3_PT_iiiii,comdat
	.globl	_ZL12mul_mat_q5_KIN3c108BFloat16ELb0EEvPKvS3_PT_iiiii ; -- Begin function _ZL12mul_mat_q5_KIN3c108BFloat16ELb0EEvPKvS3_PT_iiiii
	.p2align	8
	.type	_ZL12mul_mat_q5_KIN3c108BFloat16ELb0EEvPKvS3_PT_iiiii,@function
_ZL12mul_mat_q5_KIN3c108BFloat16ELb0EEvPKvS3_PT_iiiii: ; @_ZL12mul_mat_q5_KIN3c108BFloat16ELb0EEvPKvS3_PT_iiiii
; %bb.0:
	s_mov_b64 s[26:27], s[2:3]
	s_mov_b64 s[24:25], s[0:1]
	s_add_u32 s24, s24, s8
	s_load_dword s14, s[4:5], 0x18
	s_load_dwordx4 s[8:11], s[4:5], 0x20
	s_addc_u32 s25, s25, 0
	s_waitcnt lgkmcnt(0)
	s_lshl_b32 s11, s7, 6
	v_bfe_u32 v9, v0, 10, 10
	s_cmpk_gt_i32 s14, 0xff
	s_cbranch_scc1 .LBB173_2
; %bb.1:
	v_bfe_u32 v1, v0, 10, 10
	v_and_b32_e32 v49, 0x3ff, v0
	v_add_u32_e32 v2, s11, v1
	s_mov_b64 s[0:1], 0
	s_mov_b32 s2, 0
	s_branch .LBB173_3
.LBB173_2:
	s_mov_b64 s[0:1], -1
                                        ; implicit-def: $sgpr2
                                        ; implicit-def: $vgpr1
                                        ; implicit-def: $vgpr49
                                        ; implicit-def: $vgpr2
.LBB173_3:
	s_load_dwordx2 s[12:13], s[4:5], 0x10
	s_lshl_b32 s6, s6, 7
	s_andn2_b64 vcc, exec, s[0:1]
	v_mov_b32_e32 v17, s2
	v_mov_b32_e32 v16, s2
	;; [unrolled: 1-line block ×32, first 2 shown]
	s_cbranch_vccnz .LBB173_11
; %bb.4:
	s_load_dwordx4 s[0:3], s[4:5], 0x0
	s_ashr_i32 s4, s14, 31
	s_lshr_b32 s4, s4, 24
	s_add_i32 s14, s14, s4
	s_ashr_i32 s4, s9, 31
	s_ashr_i32 s7, s14, 8
	s_lshr_b32 s4, s4, 27
	v_and_b32_e32 v49, 0x3ff, v0
	s_add_i32 s4, s9, s4
	s_mul_i32 s5, s7, s6
	v_lshlrev_b32_e32 v0, 1, v49
	v_and_b32_e32 v2, 7, v49
	s_ashr_i32 s4, s4, 5
	s_mul_hi_i32 s15, s5, 0xb0
	s_mulk_i32 s5, 0xb0
	v_and_or_b32 v0, v0, 48, v2
	v_mul_i32_i24_e32 v2, s7, v9
	s_waitcnt lgkmcnt(0)
	s_add_u32 s14, s0, s5
	buffer_store_dword v2, off, s[24:27], 0 ; 4-byte Folded Spill
	s_nop 0
	buffer_store_dword v3, off, s[24:27], 0 offset:4 ; 4-byte Folded Spill
	s_addc_u32 s15, s1, s15
	v_mul_u32_u24_e32 v2, 0x41, v9
	s_lshl_b32 s1, s7, 3
	v_add_lshl_u32 v61, v0, v2, 2
	v_mov_b32_e32 v0, s1
	v_mad_i32_i24 v56, s7, v9, v0
	v_add_u32_e32 v58, s1, v56
	v_add_u32_e32 v60, s1, v58
	;; [unrolled: 1-line block ×13, first 2 shown]
	v_lshrrev_b32_e32 v1, 2, v49
	v_add_u32_e32 v0, s1, v82
	v_and_b32_e32 v57, 6, v1
	buffer_store_dword v0, off, s[24:27], 0 offset:8 ; 4-byte Folded Spill
	s_nop 0
	buffer_store_dword v1, off, s[24:27], 0 offset:12 ; 4-byte Folded Spill
	v_lshlrev_b32_e32 v113, 5, v9
	v_add_u32_e32 v0, v113, v49
	v_and_b32_e32 v2, 0x7f, v0
	v_lshrrev_b32_e32 v0, 3, v0
	v_mul_i32_i24_e32 v4, s7, v2
	v_and_b32_e32 v0, 12, v0
	v_lshlrev_b32_e32 v2, 2, v2
	s_mov_b32 s1, 0xae40
	v_add3_u32 v115, v2, v0, s1
	v_and_b32_e32 v0, 3, v49
	v_add_u32_e32 v2, 0xfe, v0
	v_cmp_gt_u32_e32 vcc, 2, v0
	buffer_store_dword v4, off, s[24:27], 0 offset:16 ; 4-byte Folded Spill
	s_nop 0
	buffer_store_dword v5, off, s[24:27], 0 offset:20 ; 4-byte Folded Spill
	v_lshlrev_b32_e32 v3, 3, v9
	v_cndmask_b32_e32 v2, v2, v0, vcc
	v_and_b32_e32 v6, 0xff, v2
	v_cmp_ne_u32_e32 vcc, 0, v0
	v_addc_co_u32_e32 v2, vcc, 0, v6, vcc
	v_lshlrev_b32_e32 v185, 1, v6
	v_lshlrev_b32_e32 v8, 2, v0
	s_mov_b32 s5, 0xa200
	v_lshlrev_b32_e32 v55, 2, v49
	v_and_b32_e32 v52, 28, v55
	v_and_b32_e32 v4, 4, v55
	v_cmp_lt_u32_e32 vcc, 1, v0
	v_cndmask_b32_e32 v161, 0, v4, vcc
	v_cndmask_b32_e64 v4, 0, 1, vcc
	v_add_co_u32_e32 v92, vcc, s2, v52
	v_add_u32_e32 v10, s11, v9
	v_add_u32_e32 v208, 0x100, v113
	;; [unrolled: 1-line block ×8, first 2 shown]
	v_lshrrev_b32_e32 v48, 5, v49
	s_mov_b32 s0, 0
	s_movk_i32 s9, 0xb0
	v_and_b32_e32 v50, 0x7c, v55
	v_or_b32_e32 v59, 1, v57
	v_add_u32_e32 v75, 0x38e0, v61
	v_add_u32_e32 v77, 0x4100, v61
	;; [unrolled: 1-line block ×9, first 2 shown]
	v_lshrrev_b32_e32 v204, 3, v49
	v_mul_u32_u24_e32 v235, 0x104, v49
	v_lshlrev_b32_e32 v239, 2, v2
	v_lshlrev_b32_e32 v240, 2, v4
	buffer_store_dword v9, off, s[24:27], 0 offset:24 ; 4-byte Folded Spill
	buffer_store_dword v10, off, s[24:27], 0 offset:28 ; 4-byte Folded Spill
	v_add_u32_e32 v5, v1, v3
	v_add_u16_e32 v1, v1, v3
	v_and_b32_e32 v6, 0x7f, v5
	v_lshrrev_b16_e32 v1, 1, v1
	v_lshl_or_b32 v7, v6, 4, v8
	v_and_b32_e32 v1, 60, v1
	v_add3_u32 v202, v7, v1, s5
	v_xor_b32_e32 v1, 64, v6
	v_mul_i32_i24_e32 v90, s7, v1
	v_lshl_or_b32 v3, v1, 4, v8
	v_lshrrev_b32_e32 v1, 1, v1
	v_and_b32_e32 v1, 60, v1
	v_add3_u32 v203, v3, v1, s5
	v_mov_b32_e32 v1, s3
	v_addc_co_u32_e32 v93, vcc, 0, v1, vcc
	v_and_b32_e32 v1, 63, v5
	s_add_i32 s5, s8, -1
	v_or_b32_e32 v5, s11, v1
	v_min_i32_e32 v5, s5, v5
	v_mad_u64_u32 v[94:95], s[16:17], v5, s4, v[0:1]
	v_lshl_or_b32 v0, v1, 4, v8
	v_mul_i32_i24_e32 v88, s7, v6
	v_cvt_f64_i32_e32 v[6:7], s5
	v_add_u32_e32 v95, 0xaa40, v0
	v_cvt_f64_u32_e32 v[0:1], v10
	v_min_f64 v[0:1], v[0:1], v[6:7]
	v_and_b32_e32 v3, 31, v49
	v_cvt_i32_f64_e32 v0, v[0:1]
	v_mul_lo_u32 v205, s4, v0
	v_or_b32_e32 v0, v113, v3
	v_mov_b32_e32 v5, 0x8200
	v_lshl_add_u32 v206, v0, 2, v5
	v_add_u32_e32 v0, 8, v10
	v_cvt_f64_u32_e32 v[0:1], v0
	v_min_f64 v[0:1], v[0:1], v[6:7]
	v_cvt_i32_f64_e32 v0, v[0:1]
	v_mul_lo_u32 v207, s4, v0
	v_or_b32_e32 v0, v208, v3
	v_lshl_add_u32 v209, v0, 2, v5
	v_add_u32_e32 v0, 16, v10
	v_cvt_f64_u32_e32 v[0:1], v0
	v_min_f64 v[0:1], v[0:1], v[6:7]
	v_cvt_i32_f64_e32 v0, v[0:1]
	v_mul_lo_u32 v210, s4, v0
	v_or_b32_e32 v0, v211, v3
	;; [unrolled: 7-line block ×7, first 2 shown]
	v_lshl_add_u32 v227, v0, 2, v5
	v_lshlrev_b32_e32 v0, 2, v48
	v_add3_u32 v228, v0, v55, s1
	v_add_u32_e32 v0, 32, v49
	v_lshrrev_b32_e32 v229, 3, v0
	v_lshlrev_b32_e32 v1, 2, v0
	v_and_b32_e32 v0, 60, v229
	v_add3_u32 v230, v55, v0, s1
	v_add_u32_e32 v0, 64, v49
	v_lshrrev_b32_e32 v231, 3, v0
	v_lshlrev_b32_e32 v3, 2, v0
	v_and_b32_e32 v0, 60, v231
	;; [unrolled: 5-line block ×3, first 2 shown]
	v_add3_u32 v234, v55, v0, s1
	s_movk_i32 s1, 0x104
	v_mov_b32_e32 v0, 0x2080
	v_mad_u32_u24 v236, v49, s1, v0
	v_mov_b32_e32 v0, 0x4100
	v_mad_u32_u24 v237, v49, s1, v0
	v_mov_b32_e32 v0, 0x6180
	v_mad_u32_u24 v238, v49, s1, v0
	s_mov_b32 s1, s0
	v_pk_mov_b32 v[46:47], s[0:1], s[0:1] op_sel:[0,1]
	s_mov_b32 s1, 0x10101010
	s_mov_b32 s16, 0x30303030
	v_lshlrev_b32_e32 v241, 2, v1
	v_lshlrev_b32_e32 v242, 2, v3
	;; [unrolled: 1-line block ×3, first 2 shown]
	v_pk_mov_b32 v[38:39], v[46:47], v[46:47] op_sel:[0,1]
	v_pk_mov_b32 v[30:31], v[46:47], v[46:47] op_sel:[0,1]
	;; [unrolled: 1-line block ×15, first 2 shown]
.LBB173_5:                              ; =>This Loop Header: Depth=1
                                        ;     Child Loop BB173_6 Depth 2
                                        ;     Child Loop BB173_8 Depth 2
	buffer_load_dword v4, off, s[24:27], 0  ; 4-byte Folded Reload
	buffer_load_dword v5, off, s[24:27], 0 offset:4 ; 4-byte Folded Reload
	s_mul_i32 s4, s0, 0xb0
	s_mul_hi_u32 s5, s0, 0xb0
	s_add_u32 s4, s14, s4
	s_addc_u32 s5, s15, s5
	v_pk_mov_b32 v[0:1], s[4:5], s[4:5] op_sel:[0,1]
	v_mad_u64_u32 v[2:3], s[4:5], v48, s9, v[0:1]
	v_mad_u64_u32 v[8:9], s[4:5], v56, s9, v[2:3]
	s_lshl_b32 s17, s0, 3
	v_add_u32_e32 v125, s17, v94
	s_mov_b32 s19, 0
	s_waitcnt vmcnt(0)
	v_mad_u64_u32 v[4:5], s[4:5], v4, s9, v[2:3]
	v_add_co_u32_e32 v6, vcc, v4, v50
	v_addc_co_u32_e32 v7, vcc, 0, v5, vcc
	v_add_co_u32_e32 v4, vcc, v4, v52
	v_addc_co_u32_e32 v5, vcc, 0, v5, vcc
	;; [unrolled: 2-line block ×3, first 2 shown]
	global_load_dword v12, v[6:7], off offset:48
	global_load_dword v13, v[4:5], off offset:16
	;; [unrolled: 1-line block ×3, first 2 shown]
	v_add_co_u32_e32 v4, vcc, v8, v52
	v_addc_co_u32_e32 v5, vcc, 0, v9, vcc
	global_load_dword v15, v[4:5], off offset:16
	v_mad_u64_u32 v[4:5], s[4:5], v58, s9, v[2:3]
	v_add_co_u32_e32 v10, vcc, v4, v50
	v_addc_co_u32_e32 v11, vcc, 0, v5, vcc
	v_add_co_u32_e32 v4, vcc, v4, v52
	v_mad_u64_u32 v[6:7], s[4:5], v60, s9, v[2:3]
	v_addc_co_u32_e32 v5, vcc, 0, v5, vcc
	global_load_dword v51, v[10:11], off offset:48
	global_load_dword v53, v[4:5], off offset:16
	v_add_co_u32_e32 v4, vcc, v6, v50
	v_addc_co_u32_e32 v5, vcc, 0, v7, vcc
	global_load_dword v84, v[4:5], off offset:48
	v_add_co_u32_e32 v4, vcc, v6, v52
	v_addc_co_u32_e32 v5, vcc, 0, v7, vcc
	global_load_dword v85, v[4:5], off offset:16
	v_mad_u64_u32 v[8:9], s[4:5], v62, s9, v[2:3]
	v_add_co_u32_e32 v6, vcc, v8, v50
	v_addc_co_u32_e32 v7, vcc, 0, v9, vcc
	v_add_co_u32_e32 v8, vcc, v8, v52
	v_mad_u64_u32 v[4:5], s[4:5], v64, s9, v[2:3]
	v_addc_co_u32_e32 v9, vcc, 0, v9, vcc
	v_add_co_u32_e32 v10, vcc, v4, v50
	global_load_dword v86, v[6:7], off offset:48
	s_nop 0
	global_load_dword v8, v[8:9], off offset:16
	v_addc_co_u32_e32 v11, vcc, 0, v5, vcc
	v_add_co_u32_e32 v4, vcc, v4, v52
	v_addc_co_u32_e32 v5, vcc, 0, v5, vcc
	s_waitcnt vmcnt(9)
	v_and_b32_e32 v6, 0xf0f0f0f, v12
	v_lshrrev_b32_e32 v7, 4, v12
	s_waitcnt vmcnt(8)
	v_ashrrev_i32_e32 v9, v57, v13
	v_ashrrev_i32_e32 v12, v59, v13
	v_and_b32_e32 v7, 0xf0f0f0f, v7
	v_lshlrev_b32_e32 v9, 4, v9
	v_lshlrev_b32_e32 v12, 4, v12
	v_and_or_b32 v6, v9, s1, v6
	v_and_or_b32 v7, v12, s1, v7
	ds_write2_b32 v61, v6, v7 offset1:8
	global_load_dword v10, v[10:11], off offset:48
	s_nop 0
	global_load_dword v11, v[4:5], off offset:16
	v_mad_u64_u32 v[4:5], s[4:5], v66, s9, v[2:3]
	v_add_co_u32_e32 v6, vcc, v4, v50
	v_addc_co_u32_e32 v7, vcc, 0, v5, vcc
	s_waitcnt vmcnt(8)
	v_ashrrev_i32_e32 v87, v57, v15
	v_add_co_u32_e32 v4, vcc, v4, v52
	v_and_b32_e32 v13, 0xf0f0f0f, v14
	v_lshlrev_b32_e32 v87, 4, v87
	v_addc_co_u32_e32 v5, vcc, 0, v5, vcc
	v_and_or_b32 v9, v87, s1, v13
	global_load_dword v12, v[6:7], off offset:48
	global_load_dword v13, v[4:5], off offset:16
	v_mad_u64_u32 v[4:5], s[4:5], v68, s9, v[2:3]
	v_add_co_u32_e32 v6, vcc, v4, v50
	v_addc_co_u32_e32 v7, vcc, 0, v5, vcc
	v_lshrrev_b32_e32 v14, 4, v14
	v_ashrrev_i32_e32 v15, v59, v15
	v_add_co_u32_e32 v4, vcc, v4, v52
	v_and_b32_e32 v14, 0xf0f0f0f, v14
	v_lshlrev_b32_e32 v15, 4, v15
	v_addc_co_u32_e32 v5, vcc, 0, v5, vcc
	global_load_dword v87, v[6:7], off offset:48
	global_load_dword v96, v[4:5], off offset:16
	v_and_or_b32 v4, v15, s1, v14
	v_add_u32_e32 v5, 0x820, v61
	ds_write2_b32 v5, v9, v4 offset1:8
	s_waitcnt vmcnt(11)
	v_lshrrev_b32_e32 v5, 4, v51
	s_waitcnt vmcnt(10)
	v_ashrrev_i32_e32 v6, v57, v53
	v_ashrrev_i32_e32 v7, v59, v53
	v_and_b32_e32 v4, 0xf0f0f0f, v51
	v_and_b32_e32 v5, 0xf0f0f0f, v5
	v_lshlrev_b32_e32 v6, 4, v6
	v_lshlrev_b32_e32 v7, 4, v7
	v_and_or_b32 v4, v6, s1, v4
	v_and_or_b32 v5, v7, s1, v5
	v_add_u32_e32 v6, 0x1040, v61
	ds_write2_b32 v6, v4, v5 offset1:8
	s_waitcnt vmcnt(9)
	v_lshrrev_b32_e32 v5, 4, v84
	v_and_b32_e32 v9, 0xf0f0f0f, v5
	s_waitcnt vmcnt(8)
	v_ashrrev_i32_e32 v5, v57, v85
	v_and_b32_e32 v4, 0xf0f0f0f, v84
	v_lshlrev_b32_e32 v5, 4, v5
	v_ashrrev_i32_e32 v6, v59, v85
	v_and_or_b32 v15, v5, s1, v4
	v_mad_u64_u32 v[4:5], s[4:5], v70, s9, v[2:3]
	v_lshlrev_b32_e32 v14, 4, v6
	v_add_co_u32_e32 v6, vcc, v4, v50
	v_addc_co_u32_e32 v7, vcc, 0, v5, vcc
	v_add_co_u32_e32 v4, vcc, v4, v52
	v_addc_co_u32_e32 v5, vcc, 0, v5, vcc
	global_load_dword v51, v[6:7], off offset:48
	global_load_dword v53, v[4:5], off offset:16
	v_mad_u64_u32 v[4:5], s[4:5], v72, s9, v[2:3]
	v_add_co_u32_e32 v6, vcc, v4, v50
	v_addc_co_u32_e32 v7, vcc, 0, v5, vcc
	v_add_co_u32_e32 v4, vcc, v4, v52
	v_addc_co_u32_e32 v5, vcc, 0, v5, vcc
	global_load_dword v84, v[6:7], off offset:48
	global_load_dword v85, v[4:5], off offset:16
	v_and_or_b32 v4, v14, s1, v9
	v_add_u32_e32 v5, 0x1860, v61
	ds_write2_b32 v5, v15, v4 offset1:8
	s_waitcnt vmcnt(11)
	v_lshrrev_b32_e32 v5, 4, v86
	s_waitcnt vmcnt(10)
	v_ashrrev_i32_e32 v6, v57, v8
	v_ashrrev_i32_e32 v7, v59, v8
	v_and_b32_e32 v4, 0xf0f0f0f, v86
	v_and_b32_e32 v5, 0xf0f0f0f, v5
	v_lshlrev_b32_e32 v6, 4, v6
	v_lshlrev_b32_e32 v7, 4, v7
	v_and_or_b32 v4, v6, s1, v4
	v_and_or_b32 v5, v7, s1, v5
	v_add_u32_e32 v6, 0x2080, v61
	ds_write2_b32 v6, v4, v5 offset1:8
	s_waitcnt vmcnt(9)
	v_lshrrev_b32_e32 v5, 4, v10
	s_waitcnt vmcnt(8)
	v_ashrrev_i32_e32 v6, v57, v11
	v_ashrrev_i32_e32 v7, v59, v11
	v_and_b32_e32 v4, 0xf0f0f0f, v10
	v_and_b32_e32 v5, 0xf0f0f0f, v5
	v_lshlrev_b32_e32 v6, 4, v6
	v_lshlrev_b32_e32 v7, 4, v7
	v_and_or_b32 v4, v6, s1, v4
	;; [unrolled: 13-line block ×4, first 2 shown]
	v_and_or_b32 v5, v7, s1, v5
	ds_write2_b32 v75, v4, v5 offset1:8
	v_mad_u64_u32 v[4:5], s[4:5], v74, s9, v[2:3]
	v_add_co_u32_e32 v6, vcc, v4, v50
	v_addc_co_u32_e32 v7, vcc, 0, v5, vcc
	v_add_co_u32_e32 v4, vcc, v4, v52
	v_addc_co_u32_e32 v5, vcc, 0, v5, vcc
	v_mad_u64_u32 v[8:9], s[4:5], v76, s9, v[2:3]
	v_add_co_u32_e32 v10, vcc, v8, v50
	v_addc_co_u32_e32 v11, vcc, 0, v9, vcc
	v_add_co_u32_e32 v8, vcc, v8, v52
	v_addc_co_u32_e32 v9, vcc, 0, v9, vcc
	global_load_dword v86, v[6:7], off offset:48
	global_load_dword v87, v[4:5], off offset:16
	;; [unrolled: 1-line block ×4, first 2 shown]
	s_waitcnt vmcnt(7)
	v_lshrrev_b32_e32 v5, 4, v51
	s_waitcnt vmcnt(6)
	v_ashrrev_i32_e32 v6, v57, v53
	v_ashrrev_i32_e32 v7, v59, v53
	v_and_b32_e32 v4, 0xf0f0f0f, v51
	v_and_b32_e32 v5, 0xf0f0f0f, v5
	v_lshlrev_b32_e32 v6, 4, v6
	v_lshlrev_b32_e32 v7, 4, v7
	v_and_or_b32 v4, v6, s1, v4
	v_and_or_b32 v5, v7, s1, v5
	ds_write2_b32 v77, v4, v5 offset1:8
	v_mad_u64_u32 v[8:9], s[4:5], v80, s9, v[2:3]
	s_waitcnt vmcnt(5)
	v_lshrrev_b32_e32 v5, 4, v84
	s_waitcnt vmcnt(4)
	v_ashrrev_i32_e32 v6, v57, v85
	v_ashrrev_i32_e32 v7, v59, v85
	v_and_b32_e32 v4, 0xf0f0f0f, v84
	v_and_b32_e32 v5, 0xf0f0f0f, v5
	v_lshlrev_b32_e32 v6, 4, v6
	v_lshlrev_b32_e32 v7, 4, v7
	v_and_or_b32 v4, v6, s1, v4
	v_and_or_b32 v5, v7, s1, v5
	ds_write2_b32 v79, v4, v5 offset1:8
	buffer_load_dword v84, off, s[24:27], 0 offset:8 ; 4-byte Folded Reload
	buffer_load_dword v85, off, s[24:27], 0 offset:12 ; 4-byte Folded Reload
	v_mad_u64_u32 v[4:5], s[4:5], v78, s9, v[2:3]
	v_add_co_u32_e32 v6, vcc, v4, v50
	v_addc_co_u32_e32 v7, vcc, 0, v5, vcc
	v_add_co_u32_e32 v4, vcc, v4, v52
	v_addc_co_u32_e32 v5, vcc, 0, v5, vcc
	;; [unrolled: 2-line block ×4, first 2 shown]
	v_mad_u64_u32 v[12:13], s[4:5], v82, s9, v[2:3]
	v_add_co_u32_e32 v14, vcc, v12, v50
	v_addc_co_u32_e32 v15, vcc, 0, v13, vcc
	v_add_co_u32_e32 v12, vcc, v12, v52
	v_addc_co_u32_e32 v13, vcc, 0, v13, vcc
	s_waitcnt vmcnt(1)
	v_mad_u64_u32 v[2:3], s[4:5], v84, s9, v[2:3]
	v_add_co_u32_e32 v96, vcc, v2, v50
	v_addc_co_u32_e32 v97, vcc, 0, v3, vcc
	v_add_co_u32_e32 v2, vcc, v2, v52
	v_addc_co_u32_e32 v3, vcc, 0, v3, vcc
	global_load_dword v51, v[6:7], off offset:48
	global_load_dword v53, v[4:5], off offset:16
	;; [unrolled: 1-line block ×6, first 2 shown]
	s_nop 0
	global_load_dword v96, v[96:97], off offset:48
	s_nop 0
	global_load_dword v97, v[2:3], off offset:16
	s_nop 0
	buffer_load_dword v2, off, s[24:27], 0 offset:16 ; 4-byte Folded Reload
	buffer_load_dword v3, off, s[24:27], 0 offset:20 ; 4-byte Folded Reload
	v_mad_u64_u32 v[4:5], s[4:5], v88, s9, v[0:1]
	v_add_co_u32_e32 v6, vcc, 4, v4
	v_addc_co_u32_e32 v7, vcc, 0, v5, vcc
	v_add_co_u32_e32 v4, vcc, v6, v239
	v_addc_co_u32_e32 v5, vcc, 0, v7, vcc
	;; [unrolled: 2-line block ×3, first 2 shown]
	v_add_u32_e32 v14, s17, v204
	v_add_u32_e32 v10, v14, v219
	;; [unrolled: 1-line block ×3, first 2 shown]
	v_mad_i64_i32 v[10:11], s[4:5], v10, 36, v[92:93]
	v_mad_i64_i32 v[12:13], s[4:5], v12, 36, v[92:93]
	s_waitcnt vmcnt(0)
	v_mad_u64_u32 v[2:3], s[4:5], v2, s9, v[0:1]
	v_mad_u64_u32 v[0:1], s[4:5], v90, s9, v[0:1]
	v_add_co_u32_e32 v8, vcc, 4, v0
	v_addc_co_u32_e32 v9, vcc, 0, v1, vcc
	v_add_co_u32_e32 v0, vcc, v8, v239
	v_addc_co_u32_e32 v1, vcc, 0, v9, vcc
	;; [unrolled: 2-line block ×3, first 2 shown]
	global_load_dword v102, v[2:3], off
	global_load_dword v103, v[4:5], off
	;; [unrolled: 1-line block ×5, first 2 shown]
	v_add_u32_e32 v0, v14, v205
	v_add_u32_e32 v2, v14, v207
	;; [unrolled: 1-line block ×5, first 2 shown]
	v_mad_i64_i32 v[0:1], s[4:5], v0, 36, v[92:93]
	v_mad_i64_i32 v[2:3], s[4:5], v2, 36, v[92:93]
	v_mad_i64_i32 v[4:5], s[4:5], v4, 36, v[92:93]
	v_mad_i64_i32 v[6:7], s[4:5], v6, 36, v[92:93]
	v_mad_i64_i32 v[8:9], s[4:5], v8, 36, v[92:93]
	v_add_u32_e32 v14, v14, v225
	v_mad_i64_i32 v[14:15], s[4:5], v14, 36, v[92:93]
	global_load_dword v107, v[0:1], off offset:4
	s_nop 0
	global_load_dword v2, v[2:3], off offset:4
	s_nop 0
	;; [unrolled: 2-line block ×3, first 2 shown]
	global_load_dword v4, v[6:7], off offset:4
	global_load_dword v5, v[8:9], off offset:4
	s_nop 0
	global_load_dword v6, v[10:11], off offset:4
	global_load_dword v7, v[12:13], off offset:4
	;; [unrolled: 1-line block ×3, first 2 shown]
	v_mad_u64_u32 v[0:1], s[4:5], v125, 36, s[2:3]
	global_load_dword v0, v[0:1], off
	v_lshrrev_b32_e32 v9, 4, v86
	v_ashrrev_i32_e32 v10, v57, v87
	v_ashrrev_i32_e32 v11, v59, v87
	v_and_b32_e32 v1, 0xf0f0f0f, v86
	v_and_b32_e32 v9, 0xf0f0f0f, v9
	v_lshlrev_b32_e32 v10, 4, v10
	v_lshlrev_b32_e32 v11, 4, v11
	v_and_or_b32 v1, v10, s1, v1
	v_and_or_b32 v9, v11, s1, v9
	ds_write2_b32 v81, v1, v9 offset1:8
	v_lshrrev_b32_e32 v9, 4, v98
	v_ashrrev_i32_e32 v10, v57, v99
	v_ashrrev_i32_e32 v11, v59, v99
	v_and_b32_e32 v1, 0xf0f0f0f, v98
	v_and_b32_e32 v9, 0xf0f0f0f, v9
	v_lshlrev_b32_e32 v10, 4, v10
	v_lshlrev_b32_e32 v11, 4, v11
	v_and_or_b32 v1, v10, s1, v1
	v_and_or_b32 v9, v11, s1, v9
	ds_write2_b32 v83, v1, v9 offset1:8
	;; [unrolled: 10-line block ×6, first 2 shown]
	s_waitcnt vmcnt(13)
	ds_write_b32 v115, v102
	s_waitcnt vmcnt(12)
	v_ashrrev_i32_e32 v1, v161, v103
	v_and_b32_e32 v1, 0xf0f0f0f, v1
	s_waitcnt vmcnt(11)
	v_ashrrev_i32_e32 v9, v185, v104
	v_and_or_b32 v1, v9, s16, v1
	ds_write_b32 v202, v1
	s_waitcnt vmcnt(10)
	v_ashrrev_i32_e32 v1, v161, v105
	v_and_b32_e32 v1, 0xf0f0f0f, v1
	s_waitcnt vmcnt(9)
	v_ashrrev_i32_e32 v9, v185, v106
	v_and_or_b32 v1, v9, s16, v1
	ds_write_b32 v203, v1
	s_waitcnt vmcnt(8)
	ds_write_b32 v206, v107
	s_waitcnt vmcnt(7)
	;; [unrolled: 2-line block ×9, first 2 shown]
	ds_write_b32 v95, v0
	s_waitcnt lgkmcnt(0)
	s_barrier
	ds_read_b32 v0, v228
	ds_read_b32 v1, v230 offset:128
	ds_read_b32 v2, v232 offset:256
	;; [unrolled: 1-line block ×3, first 2 shown]
	s_mov_b64 s[4:5], -1
	s_waitcnt lgkmcnt(3)
	v_cvt_f32_f16_e32 v96, v0
	v_cvt_f32_f16_sdwa v98, v0 dst_sel:DWORD dst_unused:UNUSED_PAD src0_sel:WORD_1
	s_waitcnt lgkmcnt(2)
	v_cvt_f32_f16_e32 v100, v1
	v_cvt_f32_f16_sdwa v102, v1 dst_sel:DWORD dst_unused:UNUSED_PAD src0_sel:WORD_1
	;; [unrolled: 3-line block ×4, first 2 shown]
	v_mov_b32_e32 v97, v96
	v_mov_b32_e32 v99, v98
	;; [unrolled: 1-line block ×8, first 2 shown]
.LBB173_6:                              ;   Parent Loop BB173_5 Depth=1
                                        ; =>  This Inner Loop Header: Depth=2
	s_lshl_b32 s18, s19, 1
	s_lshr_b32 s20, s19, 2
	v_or_b32_e32 v0, s18, v113
	s_add_i32 s20, s20, 0xa200
	v_lshlrev_b32_e32 v1, 2, v0
	v_lshrrev_b32_e32 v51, 1, v0
	v_lshlrev_b32_e32 v244, 2, v204
	v_lshlrev_b32_e32 v245, 2, v55
	s_lshl_b32 s19, s19, 3
	ds_read_b128 v[12:15], v1 offset:33280
	ds_read_b128 v[8:11], v1 offset:33296
	;; [unrolled: 1-line block ×4, first 2 shown]
	ds_read_b64 v[192:193], v51 offset:43584
	v_add3_u32 v51, s20, v244, v245
	v_add_u32_e32 v84, s19, v235
	ds_read2_b32 v[162:163], v84 offset1:1
	ds_read2_b32 v[170:171], v84 offset0:2 offset1:3
	ds_read2_b32 v[174:175], v84 offset0:4 offset1:5
	;; [unrolled: 1-line block ×3, first 2 shown]
	ds_read_u16 v85, v51
	ds_read_u8 v86, v51 offset:8
	ds_read_u8 v51, v51 offset:9
	v_lshlrev_b32_e32 v246, 2, v229
	ds_read2_b32 v[158:159], v84 offset0:8 offset1:9
	ds_read2_b32 v[186:187], v84 offset0:10 offset1:11
	;; [unrolled: 1-line block ×4, first 2 shown]
	s_waitcnt lgkmcnt(4)
	v_cvt_f32_ubyte0_e32 v184, v51
	v_add3_u32 v51, s20, v246, v241
	v_add_u32_e32 v84, s19, v236
	v_and_b32_e32 v250, 0xff, v85
	v_lshrrev_b16_e32 v253, 8, v85
	ds_read2_b32 v[132:133], v84 offset1:1
	ds_read2_b32 v[140:141], v84 offset0:2 offset1:3
	ds_read2_b32 v[142:143], v84 offset0:4 offset1:5
	;; [unrolled: 1-line block ×3, first 2 shown]
	ds_read_u16 v85, v51
	ds_read_u8 v87, v51 offset:8
	ds_read_u8 v51, v51 offset:9
	v_lshlrev_b32_e32 v247, 2, v231
	ds_read2_b32 v[128:129], v84 offset0:8 offset1:9
	ds_read2_b32 v[166:167], v84 offset0:10 offset1:11
	;; [unrolled: 1-line block ×4, first 2 shown]
	s_waitcnt lgkmcnt(4)
	v_cvt_f32_ubyte0_e32 v160, v51
	v_add3_u32 v51, s20, v247, v242
	v_add_u32_e32 v84, s19, v237
	v_and_b32_e32 v165, 0xff, v85
	v_cvt_f32_ubyte0_e32 v124, v87
	v_lshrrev_b16_e32 v251, 8, v85
	ds_read2_b32 v[136:137], v84 offset1:1
	ds_read2_b32 v[146:147], v84 offset0:2 offset1:3
	ds_read2_b32 v[148:149], v84 offset0:4 offset1:5
	ds_read2_b32 v[150:151], v84 offset0:6 offset1:7
	ds_read_u16 v85, v51
	ds_read_u8 v87, v51 offset:8
	ds_read_u8 v51, v51 offset:9
	v_mov_b32_e32 v53, 0
	v_mov_b32_e32 v254, 0
	s_waitcnt lgkmcnt(2)
	v_and_b32_e32 v249, 0xff, v85
	v_lshrrev_b16_e32 v252, 8, v85
	v_add_u32_e32 v85, s19, v238
	ds_read2_b32 v[138:139], v85 offset1:1
	ds_read2_b32 v[152:153], v85 offset0:2 offset1:3
	ds_read2_b32 v[154:155], v85 offset0:4 offset1:5
	;; [unrolled: 1-line block ×3, first 2 shown]
	v_mov_b32_e32 v255, 0
	s_waitcnt lgkmcnt(4)
	v_cvt_f32_ubyte0_e32 v164, v51
	v_mov_b32_e32 v51, 0
	v_dot4c_i32_i8_e32 v53, v162, v12
	v_dot4c_i32_i8_e32 v254, v132, v12
	v_dot4c_i32_i8_e32 v255, v136, v12
	s_waitcnt lgkmcnt(3)
	v_dot4c_i32_i8_e32 v51, v138, v12
	v_dot4c_i32_i8_e32 v53, v163, v13
	;; [unrolled: 1-line block ×8, first 2 shown]
	s_waitcnt lgkmcnt(2)
	v_dot4c_i32_i8_e32 v51, v152, v14
	v_dot4c_i32_i8_e32 v53, v171, v15
	;; [unrolled: 1-line block ×8, first 2 shown]
	v_lshlrev_b32_e32 v248, 2, v233
	s_waitcnt lgkmcnt(1)
	v_dot4c_i32_i8_e32 v51, v154, v8
	v_dot4c_i32_i8_e32 v53, v175, v9
	;; [unrolled: 1-line block ×4, first 2 shown]
	ds_read2_b32 v[130:131], v84 offset0:8 offset1:9
	ds_read2_b32 v[176:177], v84 offset0:10 offset1:11
	;; [unrolled: 1-line block ×4, first 2 shown]
	v_add3_u32 v84, s20, v248, v243
	v_dot4c_i32_i8_e32 v51, v155, v9
	v_dot4c_i32_i8_e32 v53, v178, v10
	;; [unrolled: 1-line block ×4, first 2 shown]
	s_waitcnt lgkmcnt(4)
	v_dot4c_i32_i8_e32 v51, v156, v10
	ds_read_u16 v8, v84
	ds_read_u8 v9, v84 offset:8
	ds_read_u8 v10, v84 offset:9
	ds_read2_b32 v[122:123], v85 offset0:8 offset1:9
	ds_read2_b32 v[116:117], v85 offset0:10 offset1:11
	;; [unrolled: 1-line block ×4, first 2 shown]
	v_cvt_f32_ubyte0_e32 v134, v86
	v_mov_b32_e32 v86, 0
	v_mov_b32_e32 v65, 0
	;; [unrolled: 1-line block ×4, first 2 shown]
	v_dot4c_i32_i8_e32 v86, v158, v4
	v_dot4c_i32_i8_e32 v65, v128, v4
	s_waitcnt lgkmcnt(10)
	v_dot4c_i32_i8_e32 v67, v130, v4
	s_waitcnt lgkmcnt(3)
	v_dot4c_i32_i8_e32 v69, v122, v4
	v_dot4c_i32_i8_e32 v86, v159, v5
	;; [unrolled: 1-line block ×8, first 2 shown]
	s_waitcnt lgkmcnt(2)
	v_dot4c_i32_i8_e32 v69, v116, v6
	v_dot4c_i32_i8_e32 v86, v187, v7
	;; [unrolled: 1-line block ×8, first 2 shown]
	s_waitcnt lgkmcnt(1)
	v_dot4c_i32_i8_e32 v69, v118, v0
	v_dot4c_i32_i8_e32 v86, v189, v1
	;; [unrolled: 1-line block ×5, first 2 shown]
	v_or_b32_e32 v0, s18, v208
	v_dot4c_i32_i8_e32 v86, v190, v2
	v_dot4c_i32_i8_e32 v65, v172, v2
	;; [unrolled: 1-line block ×3, first 2 shown]
	s_waitcnt lgkmcnt(0)
	v_dot4c_i32_i8_e32 v69, v120, v2
	v_lshlrev_b32_e32 v1, 2, v0
	v_dot4c_i32_i8_e32 v53, v179, v11
	v_dot4c_i32_i8_e32 v86, v191, v3
	v_dot4c_i32_i8_e32 v254, v145, v11
	v_dot4c_i32_i8_e32 v65, v173, v3
	v_dot4c_i32_i8_e32 v255, v151, v11
	v_dot4c_i32_i8_e32 v67, v183, v3
	v_dot4c_i32_i8_e32 v51, v157, v11
	v_and_b32_e32 v135, 0xff, v8
	v_cvt_f32_ubyte0_e32 v114, v9
	v_dot4c_i32_i8_e32 v69, v121, v3
	v_lshrrev_b16_e32 v127, 8, v8
	v_cvt_f32_ubyte0_e32 v112, v10
	v_lshrrev_b32_e32 v84, 1, v0
	ds_read_b128 v[12:15], v1 offset:33280
	ds_read_b128 v[8:11], v1 offset:33296
	;; [unrolled: 1-line block ×4, first 2 shown]
	ds_read_b64 v[196:197], v84 offset:43584
	v_mov_b32_e32 v84, 0
	v_cvt_f32_ubyte0_e32 v126, v87
	s_waitcnt lgkmcnt(4)
	v_dot4c_i32_i8_e32 v84, v162, v12
	v_mov_b32_e32 v87, 0
	v_dot4c_i32_i8_e32 v84, v163, v13
	s_waitcnt lgkmcnt(2)
	v_dot4c_i32_i8_e32 v87, v158, v4
	v_dot4c_i32_i8_e32 v84, v170, v14
	v_dot4c_i32_i8_e32 v87, v159, v5
	v_dot4c_i32_i8_e32 v84, v171, v15
	v_dot4c_i32_i8_e32 v87, v186, v6
	v_dot4c_i32_i8_e32 v84, v174, v8
	v_dot4c_i32_i8_e32 v87, v187, v7
	v_dot4c_i32_i8_e32 v84, v175, v9
	s_waitcnt lgkmcnt(1)
	v_dot4c_i32_i8_e32 v87, v188, v0
	v_dot4c_i32_i8_e32 v84, v178, v10
	;; [unrolled: 1-line block ×6, first 2 shown]
	v_mul_lo_u32 v53, v53, v250
	v_mul_lo_u32 v84, v84, v250
	s_waitcnt lgkmcnt(0)
	v_cvt_f32_f16_e32 v199, v196
	v_cvt_f32_f16_e32 v198, v192
	v_cvt_f32_f16_sdwa v201, v196 dst_sel:DWORD dst_unused:UNUSED_PAD src0_sel:WORD_1
	v_cvt_f32_f16_sdwa v200, v192 dst_sel:DWORD dst_unused:UNUSED_PAD src0_sel:WORD_1
	v_cvt_f32_f16_e32 v194, v193
	v_cvt_f32_f16_sdwa v196, v193 dst_sel:DWORD dst_unused:UNUSED_PAD src0_sel:WORD_1
	v_cvt_f32_i32_e32 v193, v84
	v_cvt_f32_i32_e32 v192, v53
	v_mul_lo_u32 v53, v86, v253
	v_mul_lo_u32 v86, v87, v253
	v_cvt_f32_f16_e32 v195, v197
	v_cvt_f32_i32_e32 v87, v86
	v_cvt_f32_i32_e32 v86, v53
	v_mov_b32_e32 v53, 0
	v_pk_fma_f32 v[192:193], v[198:199], v[192:193], 0 op_sel_hi:[1,1,0]
	v_dot4c_i32_i8_e32 v53, v132, v12
	v_pk_fma_f32 v[86:87], v[194:195], v[86:87], v[192:193]
	v_dot4c_i32_i8_e32 v53, v133, v13
	v_mov_b32_e32 v192, 0
	v_cvt_f32_f16_sdwa v197, v197 dst_sel:DWORD dst_unused:UNUSED_PAD src0_sel:WORD_1
	v_dot4c_i32_i8_e32 v53, v140, v14
	v_dot4c_i32_i8_e32 v192, v128, v4
	;; [unrolled: 1-line block ×6, first 2 shown]
	v_pk_fma_f32 v[84:85], v[134:135], v[200:201], 0 op_sel_hi:[0,1,0]
	v_dot4c_i32_i8_e32 v53, v143, v9
	v_dot4c_i32_i8_e32 v192, v167, v7
	v_pk_fma_f32 v[84:85], v[184:185], v[196:197], v[84:85] op_sel_hi:[0,1,1]
	v_dot4c_i32_i8_e32 v53, v144, v10
	v_dot4c_i32_i8_e32 v192, v168, v0
	v_pk_mul_f32 v[84:85], v[84:85], v[98:99]
	v_dot4c_i32_i8_e32 v53, v145, v11
	v_dot4c_i32_i8_e32 v192, v169, v1
	v_pk_fma_f32 v[84:85], v[86:87], v[96:97], v[84:85] neg_lo:[0,0,1] neg_hi:[0,0,1]
	v_dot4c_i32_i8_e32 v192, v172, v2
	v_mul_lo_u32 v53, v53, v165
	v_pk_add_f32 v[46:47], v[46:47], v[84:85]
	v_dot4c_i32_i8_e32 v192, v173, v3
	v_cvt_f32_i32_e32 v85, v53
	v_mul_lo_u32 v53, v65, v251
	v_mul_lo_u32 v84, v254, v165
	;; [unrolled: 1-line block ×3, first 2 shown]
	v_cvt_f32_i32_e32 v192, v53
	v_mov_b32_e32 v53, 0
	v_dot4c_i32_i8_e32 v53, v136, v12
	v_dot4c_i32_i8_e32 v53, v137, v13
	v_cvt_f32_i32_e32 v84, v84
	v_dot4c_i32_i8_e32 v53, v146, v14
	v_cvt_f32_i32_e32 v193, v65
	v_dot4c_i32_i8_e32 v53, v147, v15
	v_dot4c_i32_i8_e32 v53, v148, v8
	v_pk_fma_f32 v[86:87], v[124:125], v[200:201], 0 op_sel_hi:[0,1,0]
	v_dot4c_i32_i8_e32 v53, v149, v9
	v_pk_fma_f32 v[84:85], v[198:199], v[84:85], 0 op_sel_hi:[1,1,0]
	v_pk_fma_f32 v[86:87], v[160:161], v[196:197], v[86:87] op_sel_hi:[0,1,1]
	v_dot4c_i32_i8_e32 v53, v150, v10
	v_pk_fma_f32 v[84:85], v[194:195], v[192:193], v[84:85]
	v_pk_mul_f32 v[86:87], v[86:87], v[102:103]
	v_dot4c_i32_i8_e32 v53, v151, v11
	v_pk_fma_f32 v[84:85], v[84:85], v[100:101], v[86:87] neg_lo:[0,0,1] neg_hi:[0,0,1]
	v_pk_add_f32 v[44:45], v[44:45], v[84:85]
	v_mov_b32_e32 v65, 0
	v_mul_lo_u32 v53, v53, v249
	v_cvt_f32_i32_e32 v85, v53
	v_mul_lo_u32 v53, v67, v252
	v_cvt_f32_i32_e32 v192, v53
	v_mov_b32_e32 v53, 0
	v_dot4c_i32_i8_e32 v53, v138, v12
	v_dot4c_i32_i8_e32 v53, v139, v13
	;; [unrolled: 1-line block ×5, first 2 shown]
	v_mov_b32_e32 v8, 0
	v_dot4c_i32_i8_e32 v8, v122, v4
	v_dot4c_i32_i8_e32 v8, v123, v5
	;; [unrolled: 1-line block ×17, first 2 shown]
	v_mul_lo_u32 v0, v51, v135
	v_mul_lo_u32 v1, v53, v135
	v_cvt_f32_i32_e32 v1, v1
	v_cvt_f32_i32_e32 v0, v0
	v_mul_lo_u32 v4, v69, v127
	v_mul_lo_u32 v5, v8, v127
	v_cvt_f32_i32_e32 v5, v5
	v_cvt_f32_i32_e32 v4, v4
	v_dot4c_i32_i8_e32 v65, v182, v2
	v_dot4c_i32_i8_e32 v65, v183, v3
	v_mul_lo_u32 v84, v255, v249
	v_pk_fma_f32 v[2:3], v[114:115], v[200:201], 0 op_sel_hi:[0,1,0]
	v_cvt_f32_i32_e32 v84, v84
	v_mul_lo_u32 v65, v65, v252
	v_pk_fma_f32 v[0:1], v[198:199], v[0:1], 0 op_sel_hi:[1,1,0]
	v_pk_fma_f32 v[2:3], v[112:113], v[196:197], v[2:3] op_sel_hi:[0,1,1]
	v_cvt_f32_i32_e32 v193, v65
	v_pk_fma_f32 v[0:1], v[194:195], v[4:5], v[0:1]
	v_pk_mul_f32 v[2:3], v[2:3], v[110:111]
	v_pk_fma_f32 v[0:1], v[0:1], v[108:109], v[2:3] neg_lo:[0,0,1] neg_hi:[0,0,1]
	v_pk_add_f32 v[40:41], v[40:41], v[0:1]
	v_or_b32_e32 v0, s18, v211
	v_pk_fma_f32 v[84:85], v[198:199], v[84:85], 0 op_sel_hi:[1,1,0]
	v_lshlrev_b32_e32 v1, 2, v0
	v_pk_fma_f32 v[84:85], v[194:195], v[192:193], v[84:85]
	v_lshrrev_b32_e32 v51, 1, v0
	ds_read_b128 v[12:15], v1 offset:33280
	ds_read_b128 v[8:11], v1 offset:33296
	;; [unrolled: 1-line block ×4, first 2 shown]
	ds_read_b64 v[192:193], v51 offset:43584
	v_mov_b32_e32 v51, 0
	v_mov_b32_e32 v53, 0
	;; [unrolled: 1-line block ×8, first 2 shown]
	s_waitcnt lgkmcnt(4)
	v_dot4c_i32_i8_e32 v51, v162, v12
	s_waitcnt lgkmcnt(2)
	v_dot4c_i32_i8_e32 v53, v158, v4
	v_dot4c_i32_i8_e32 v65, v132, v12
	;; [unrolled: 1-line block ×15, first 2 shown]
	v_pk_fma_f32 v[86:87], v[126:127], v[200:201], 0 op_sel_hi:[0,1,0]
	v_dot4c_i32_i8_e32 v51, v170, v14
	v_dot4c_i32_i8_e32 v53, v186, v6
	v_dot4c_i32_i8_e32 v65, v140, v14
	v_dot4c_i32_i8_e32 v67, v166, v6
	v_dot4c_i32_i8_e32 v69, v146, v14
	v_dot4c_i32_i8_e32 v254, v176, v6
	v_dot4c_i32_i8_e32 v255, v152, v14
	v_dot4c_i32_i8_e32 v71, v116, v6
	v_pk_fma_f32 v[86:87], v[164:165], v[196:197], v[86:87] op_sel_hi:[0,1,1]
	v_dot4c_i32_i8_e32 v51, v171, v15
	v_dot4c_i32_i8_e32 v53, v187, v7
	;; [unrolled: 1-line block ×8, first 2 shown]
	v_pk_mul_f32 v[86:87], v[86:87], v[106:107]
	v_dot4c_i32_i8_e32 v51, v174, v8
	s_waitcnt lgkmcnt(1)
	v_dot4c_i32_i8_e32 v53, v188, v0
	v_dot4c_i32_i8_e32 v65, v142, v8
	;; [unrolled: 1-line block ×7, first 2 shown]
	v_pk_fma_f32 v[84:85], v[84:85], v[104:105], v[86:87] neg_lo:[0,0,1] neg_hi:[0,0,1]
	v_dot4c_i32_i8_e32 v51, v175, v9
	v_dot4c_i32_i8_e32 v53, v189, v1
	;; [unrolled: 1-line block ×8, first 2 shown]
	v_or_b32_e32 v0, s18, v214
	v_pk_add_f32 v[42:43], v[42:43], v[84:85]
	v_dot4c_i32_i8_e32 v51, v178, v10
	v_dot4c_i32_i8_e32 v53, v190, v2
	;; [unrolled: 1-line block ×8, first 2 shown]
	v_lshlrev_b32_e32 v1, 2, v0
	v_lshrrev_b32_e32 v84, 1, v0
	v_dot4c_i32_i8_e32 v51, v179, v11
	v_dot4c_i32_i8_e32 v53, v191, v3
	;; [unrolled: 1-line block ×8, first 2 shown]
	ds_read_b128 v[12:15], v1 offset:33280
	ds_read_b128 v[8:11], v1 offset:33296
	;; [unrolled: 1-line block ×4, first 2 shown]
	ds_read_b64 v[84:85], v84 offset:43584
	v_mov_b32_e32 v86, 0
	s_waitcnt lgkmcnt(4)
	v_dot4c_i32_i8_e32 v86, v162, v12
	v_dot4c_i32_i8_e32 v86, v163, v13
	;; [unrolled: 1-line block ×4, first 2 shown]
	s_waitcnt lgkmcnt(3)
	v_dot4c_i32_i8_e32 v86, v174, v8
	v_mov_b32_e32 v73, 0
	v_dot4c_i32_i8_e32 v86, v175, v9
	s_waitcnt lgkmcnt(2)
	v_dot4c_i32_i8_e32 v73, v158, v4
	v_dot4c_i32_i8_e32 v86, v178, v10
	;; [unrolled: 1-line block ×6, first 2 shown]
	s_waitcnt lgkmcnt(0)
	v_cvt_f32_f16_e32 v199, v84
	v_cvt_f32_f16_sdwa v201, v84 dst_sel:DWORD dst_unused:UNUSED_PAD src0_sel:WORD_1
	v_mul_lo_u32 v51, v51, v250
	v_mul_lo_u32 v84, v86, v250
	v_dot4c_i32_i8_e32 v73, v188, v0
	v_cvt_f32_f16_e32 v195, v85
	v_cvt_f32_f16_sdwa v197, v85 dst_sel:DWORD dst_unused:UNUSED_PAD src0_sel:WORD_1
	v_cvt_f32_i32_e32 v85, v84
	v_cvt_f32_i32_e32 v84, v51
	v_mul_lo_u32 v51, v53, v253
	v_dot4c_i32_i8_e32 v73, v189, v1
	v_cvt_f32_f16_e32 v198, v192
	v_cvt_f32_f16_sdwa v200, v192 dst_sel:DWORD dst_unused:UNUSED_PAD src0_sel:WORD_1
	v_cvt_f32_i32_e32 v192, v51
	v_mov_b32_e32 v51, 0
	v_dot4c_i32_i8_e32 v73, v190, v2
	v_dot4c_i32_i8_e32 v51, v132, v12
	;; [unrolled: 1-line block ×4, first 2 shown]
	v_cvt_f32_f16_sdwa v196, v193 dst_sel:DWORD dst_unused:UNUSED_PAD src0_sel:WORD_1
	v_dot4c_i32_i8_e32 v51, v140, v14
	v_mul_lo_u32 v53, v73, v253
	v_cvt_f32_f16_e32 v194, v193
	v_cvt_f32_i32_e32 v193, v53
	v_dot4c_i32_i8_e32 v51, v141, v15
	v_dot4c_i32_i8_e32 v51, v142, v8
	v_mov_b32_e32 v53, 0
	v_pk_fma_f32 v[86:87], v[134:135], v[200:201], 0 op_sel_hi:[0,1,0]
	v_dot4c_i32_i8_e32 v51, v143, v9
	v_dot4c_i32_i8_e32 v53, v128, v4
	v_pk_fma_f32 v[84:85], v[84:85], v[198:199], 0 op_sel_hi:[1,1,0]
	v_pk_fma_f32 v[86:87], v[184:185], v[196:197], v[86:87] op_sel_hi:[0,1,1]
	v_dot4c_i32_i8_e32 v51, v144, v10
	v_dot4c_i32_i8_e32 v53, v129, v5
	v_pk_fma_f32 v[84:85], v[192:193], v[194:195], v[84:85]
	v_pk_mul_f32 v[86:87], v[86:87], v[98:99]
	v_dot4c_i32_i8_e32 v51, v145, v11
	v_dot4c_i32_i8_e32 v53, v166, v6
	v_pk_fma_f32 v[84:85], v[84:85], v[96:97], v[86:87] neg_lo:[0,0,1] neg_hi:[0,0,1]
	v_dot4c_i32_i8_e32 v53, v167, v7
	v_mul_lo_u32 v51, v51, v165
	v_pk_add_f32 v[38:39], v[38:39], v[84:85]
	v_dot4c_i32_i8_e32 v53, v168, v0
	v_cvt_f32_i32_e32 v85, v51
	v_mul_lo_u32 v51, v67, v251
	v_dot4c_i32_i8_e32 v53, v169, v1
	v_cvt_f32_i32_e32 v192, v51
	v_mov_b32_e32 v51, 0
	v_dot4c_i32_i8_e32 v53, v172, v2
	v_dot4c_i32_i8_e32 v51, v136, v12
	;; [unrolled: 1-line block ×3, first 2 shown]
	v_mul_lo_u32 v65, v65, v165
	v_dot4c_i32_i8_e32 v51, v137, v13
	v_cvt_f32_i32_e32 v84, v65
	v_mul_lo_u32 v53, v53, v251
	v_dot4c_i32_i8_e32 v51, v146, v14
	v_cvt_f32_i32_e32 v193, v53
	v_dot4c_i32_i8_e32 v51, v147, v15
	v_dot4c_i32_i8_e32 v51, v148, v8
	v_pk_fma_f32 v[86:87], v[124:125], v[200:201], 0 op_sel_hi:[0,1,0]
	v_dot4c_i32_i8_e32 v51, v149, v9
	v_pk_fma_f32 v[84:85], v[84:85], v[198:199], 0 op_sel_hi:[1,1,0]
	v_pk_fma_f32 v[86:87], v[160:161], v[196:197], v[86:87] op_sel_hi:[0,1,1]
	v_dot4c_i32_i8_e32 v51, v150, v10
	v_pk_fma_f32 v[84:85], v[192:193], v[194:195], v[84:85]
	v_pk_mul_f32 v[86:87], v[86:87], v[102:103]
	v_dot4c_i32_i8_e32 v51, v151, v11
	v_pk_fma_f32 v[84:85], v[84:85], v[100:101], v[86:87] neg_lo:[0,0,1] neg_hi:[0,0,1]
	v_pk_add_f32 v[36:37], v[36:37], v[84:85]
	v_mov_b32_e32 v53, 0
	v_mul_lo_u32 v51, v51, v249
	v_cvt_f32_i32_e32 v85, v51
	v_mul_lo_u32 v51, v254, v252
	v_cvt_f32_i32_e32 v192, v51
	v_mov_b32_e32 v51, 0
	v_dot4c_i32_i8_e32 v51, v138, v12
	v_dot4c_i32_i8_e32 v51, v139, v13
	;; [unrolled: 1-line block ×5, first 2 shown]
	v_mov_b32_e32 v8, 0
	v_dot4c_i32_i8_e32 v8, v122, v4
	v_dot4c_i32_i8_e32 v8, v123, v5
	;; [unrolled: 1-line block ×17, first 2 shown]
	v_mul_lo_u32 v0, v255, v135
	v_mul_lo_u32 v1, v51, v135
	v_cvt_f32_i32_e32 v1, v1
	v_cvt_f32_i32_e32 v0, v0
	v_mul_lo_u32 v4, v71, v127
	v_mul_lo_u32 v5, v8, v127
	v_cvt_f32_i32_e32 v5, v5
	v_cvt_f32_i32_e32 v4, v4
	v_dot4c_i32_i8_e32 v53, v182, v2
	v_dot4c_i32_i8_e32 v53, v183, v3
	v_mul_lo_u32 v65, v69, v249
	v_pk_fma_f32 v[2:3], v[114:115], v[200:201], 0 op_sel_hi:[0,1,0]
	v_cvt_f32_i32_e32 v84, v65
	v_mul_lo_u32 v53, v53, v252
	v_pk_fma_f32 v[0:1], v[0:1], v[198:199], 0 op_sel_hi:[1,1,0]
	v_pk_fma_f32 v[2:3], v[112:113], v[196:197], v[2:3] op_sel_hi:[0,1,1]
	v_cvt_f32_i32_e32 v193, v53
	v_pk_fma_f32 v[0:1], v[4:5], v[194:195], v[0:1]
	v_pk_mul_f32 v[2:3], v[2:3], v[110:111]
	v_pk_fma_f32 v[0:1], v[0:1], v[108:109], v[2:3] neg_lo:[0,0,1] neg_hi:[0,0,1]
	v_pk_add_f32 v[32:33], v[32:33], v[0:1]
	v_or_b32_e32 v0, s18, v217
	v_pk_fma_f32 v[84:85], v[84:85], v[198:199], 0 op_sel_hi:[1,1,0]
	v_lshlrev_b32_e32 v1, 2, v0
	v_pk_fma_f32 v[84:85], v[192:193], v[194:195], v[84:85]
	v_lshrrev_b32_e32 v51, 1, v0
	ds_read_b128 v[12:15], v1 offset:33280
	ds_read_b128 v[8:11], v1 offset:33296
	;; [unrolled: 1-line block ×4, first 2 shown]
	ds_read_b64 v[192:193], v51 offset:43584
	v_mov_b32_e32 v51, 0
	v_mov_b32_e32 v53, 0
	;; [unrolled: 1-line block ×8, first 2 shown]
	s_waitcnt lgkmcnt(4)
	v_dot4c_i32_i8_e32 v51, v162, v12
	s_waitcnt lgkmcnt(2)
	v_dot4c_i32_i8_e32 v53, v158, v4
	v_dot4c_i32_i8_e32 v65, v132, v12
	;; [unrolled: 1-line block ×15, first 2 shown]
	v_pk_fma_f32 v[86:87], v[126:127], v[200:201], 0 op_sel_hi:[0,1,0]
	v_dot4c_i32_i8_e32 v51, v170, v14
	v_dot4c_i32_i8_e32 v53, v186, v6
	;; [unrolled: 1-line block ×8, first 2 shown]
	v_pk_fma_f32 v[86:87], v[164:165], v[196:197], v[86:87] op_sel_hi:[0,1,1]
	v_dot4c_i32_i8_e32 v51, v171, v15
	v_dot4c_i32_i8_e32 v53, v187, v7
	;; [unrolled: 1-line block ×8, first 2 shown]
	v_pk_mul_f32 v[86:87], v[86:87], v[106:107]
	v_dot4c_i32_i8_e32 v51, v174, v8
	s_waitcnt lgkmcnt(1)
	v_dot4c_i32_i8_e32 v53, v188, v0
	v_dot4c_i32_i8_e32 v65, v142, v8
	;; [unrolled: 1-line block ×7, first 2 shown]
	v_pk_fma_f32 v[84:85], v[84:85], v[104:105], v[86:87] neg_lo:[0,0,1] neg_hi:[0,0,1]
	v_dot4c_i32_i8_e32 v51, v175, v9
	v_dot4c_i32_i8_e32 v53, v189, v1
	;; [unrolled: 1-line block ×8, first 2 shown]
	v_or_b32_e32 v0, s18, v220
	v_pk_add_f32 v[34:35], v[34:35], v[84:85]
	v_dot4c_i32_i8_e32 v51, v178, v10
	v_dot4c_i32_i8_e32 v53, v190, v2
	;; [unrolled: 1-line block ×8, first 2 shown]
	v_lshlrev_b32_e32 v1, 2, v0
	v_lshrrev_b32_e32 v84, 1, v0
	v_dot4c_i32_i8_e32 v51, v179, v11
	v_dot4c_i32_i8_e32 v53, v191, v3
	;; [unrolled: 1-line block ×8, first 2 shown]
	ds_read_b128 v[12:15], v1 offset:33280
	ds_read_b128 v[8:11], v1 offset:33296
	;; [unrolled: 1-line block ×4, first 2 shown]
	ds_read_b64 v[84:85], v84 offset:43584
	v_mov_b32_e32 v86, 0
	s_waitcnt lgkmcnt(4)
	v_dot4c_i32_i8_e32 v86, v162, v12
	v_dot4c_i32_i8_e32 v86, v163, v13
	;; [unrolled: 1-line block ×4, first 2 shown]
	s_waitcnt lgkmcnt(3)
	v_dot4c_i32_i8_e32 v86, v174, v8
	v_mov_b32_e32 v255, 0
	v_dot4c_i32_i8_e32 v86, v175, v9
	s_waitcnt lgkmcnt(2)
	v_dot4c_i32_i8_e32 v255, v158, v4
	v_dot4c_i32_i8_e32 v86, v178, v10
	;; [unrolled: 1-line block ×6, first 2 shown]
	s_waitcnt lgkmcnt(0)
	v_cvt_f32_f16_e32 v199, v84
	v_cvt_f32_f16_sdwa v201, v84 dst_sel:DWORD dst_unused:UNUSED_PAD src0_sel:WORD_1
	v_mul_lo_u32 v51, v51, v250
	v_mul_lo_u32 v84, v86, v250
	v_dot4c_i32_i8_e32 v255, v188, v0
	v_cvt_f32_f16_e32 v195, v85
	v_cvt_f32_f16_sdwa v197, v85 dst_sel:DWORD dst_unused:UNUSED_PAD src0_sel:WORD_1
	v_cvt_f32_i32_e32 v85, v84
	v_cvt_f32_i32_e32 v84, v51
	v_mul_lo_u32 v51, v53, v253
	v_dot4c_i32_i8_e32 v255, v189, v1
	v_cvt_f32_f16_e32 v198, v192
	v_cvt_f32_f16_sdwa v200, v192 dst_sel:DWORD dst_unused:UNUSED_PAD src0_sel:WORD_1
	v_cvt_f32_i32_e32 v192, v51
	v_mov_b32_e32 v51, 0
	v_dot4c_i32_i8_e32 v255, v190, v2
	v_dot4c_i32_i8_e32 v51, v132, v12
	;; [unrolled: 1-line block ×4, first 2 shown]
	v_cvt_f32_f16_sdwa v196, v193 dst_sel:DWORD dst_unused:UNUSED_PAD src0_sel:WORD_1
	v_dot4c_i32_i8_e32 v51, v140, v14
	v_mul_lo_u32 v53, v255, v253
	v_cvt_f32_f16_e32 v194, v193
	v_cvt_f32_i32_e32 v193, v53
	v_dot4c_i32_i8_e32 v51, v141, v15
	v_dot4c_i32_i8_e32 v51, v142, v8
	v_mov_b32_e32 v53, 0
	v_pk_fma_f32 v[86:87], v[134:135], v[200:201], 0 op_sel_hi:[0,1,0]
	v_dot4c_i32_i8_e32 v51, v143, v9
	v_dot4c_i32_i8_e32 v53, v128, v4
	v_pk_fma_f32 v[84:85], v[84:85], v[198:199], 0 op_sel_hi:[1,1,0]
	v_pk_fma_f32 v[86:87], v[184:185], v[196:197], v[86:87] op_sel_hi:[0,1,1]
	v_dot4c_i32_i8_e32 v51, v144, v10
	v_dot4c_i32_i8_e32 v53, v129, v5
	v_pk_fma_f32 v[84:85], v[192:193], v[194:195], v[84:85]
	v_pk_mul_f32 v[86:87], v[86:87], v[98:99]
	v_dot4c_i32_i8_e32 v51, v145, v11
	v_dot4c_i32_i8_e32 v53, v166, v6
	v_pk_fma_f32 v[84:85], v[84:85], v[96:97], v[86:87] neg_lo:[0,0,1] neg_hi:[0,0,1]
	v_dot4c_i32_i8_e32 v53, v167, v7
	v_mul_lo_u32 v51, v51, v165
	v_pk_add_f32 v[30:31], v[30:31], v[84:85]
	v_dot4c_i32_i8_e32 v53, v168, v0
	v_cvt_f32_i32_e32 v85, v51
	v_mul_lo_u32 v51, v67, v251
	v_dot4c_i32_i8_e32 v53, v169, v1
	v_cvt_f32_i32_e32 v192, v51
	v_mov_b32_e32 v51, 0
	v_dot4c_i32_i8_e32 v53, v172, v2
	v_dot4c_i32_i8_e32 v51, v136, v12
	;; [unrolled: 1-line block ×3, first 2 shown]
	v_mul_lo_u32 v65, v65, v165
	v_dot4c_i32_i8_e32 v51, v137, v13
	v_cvt_f32_i32_e32 v84, v65
	v_mul_lo_u32 v53, v53, v251
	v_dot4c_i32_i8_e32 v51, v146, v14
	v_cvt_f32_i32_e32 v193, v53
	v_dot4c_i32_i8_e32 v51, v147, v15
	v_dot4c_i32_i8_e32 v51, v148, v8
	v_pk_fma_f32 v[86:87], v[124:125], v[200:201], 0 op_sel_hi:[0,1,0]
	v_dot4c_i32_i8_e32 v51, v149, v9
	v_pk_fma_f32 v[84:85], v[84:85], v[198:199], 0 op_sel_hi:[1,1,0]
	v_pk_fma_f32 v[86:87], v[160:161], v[196:197], v[86:87] op_sel_hi:[0,1,1]
	v_dot4c_i32_i8_e32 v51, v150, v10
	v_pk_fma_f32 v[84:85], v[192:193], v[194:195], v[84:85]
	v_pk_mul_f32 v[86:87], v[86:87], v[102:103]
	v_dot4c_i32_i8_e32 v51, v151, v11
	v_pk_fma_f32 v[84:85], v[84:85], v[100:101], v[86:87] neg_lo:[0,0,1] neg_hi:[0,0,1]
	v_pk_add_f32 v[28:29], v[28:29], v[84:85]
	v_mov_b32_e32 v53, 0
	v_mul_lo_u32 v51, v51, v249
	v_cvt_f32_i32_e32 v85, v51
	v_mul_lo_u32 v51, v71, v252
	v_cvt_f32_i32_e32 v192, v51
	v_mov_b32_e32 v51, 0
	v_dot4c_i32_i8_e32 v51, v138, v12
	v_dot4c_i32_i8_e32 v51, v139, v13
	;; [unrolled: 1-line block ×5, first 2 shown]
	v_mov_b32_e32 v8, 0
	v_dot4c_i32_i8_e32 v8, v122, v4
	v_dot4c_i32_i8_e32 v8, v123, v5
	;; [unrolled: 1-line block ×17, first 2 shown]
	v_mul_lo_u32 v0, v73, v135
	v_mul_lo_u32 v1, v51, v135
	v_cvt_f32_i32_e32 v1, v1
	v_cvt_f32_i32_e32 v0, v0
	v_mul_lo_u32 v4, v254, v127
	v_mul_lo_u32 v5, v8, v127
	v_cvt_f32_i32_e32 v5, v5
	v_cvt_f32_i32_e32 v4, v4
	v_dot4c_i32_i8_e32 v53, v182, v2
	v_dot4c_i32_i8_e32 v53, v183, v3
	v_mul_lo_u32 v65, v69, v249
	v_pk_fma_f32 v[2:3], v[114:115], v[200:201], 0 op_sel_hi:[0,1,0]
	v_cvt_f32_i32_e32 v84, v65
	v_mul_lo_u32 v53, v53, v252
	v_pk_fma_f32 v[0:1], v[0:1], v[198:199], 0 op_sel_hi:[1,1,0]
	v_pk_fma_f32 v[2:3], v[112:113], v[196:197], v[2:3] op_sel_hi:[0,1,1]
	v_cvt_f32_i32_e32 v193, v53
	v_pk_fma_f32 v[0:1], v[4:5], v[194:195], v[0:1]
	v_pk_mul_f32 v[2:3], v[2:3], v[110:111]
	v_pk_fma_f32 v[0:1], v[0:1], v[108:109], v[2:3] neg_lo:[0,0,1] neg_hi:[0,0,1]
	v_pk_add_f32 v[24:25], v[24:25], v[0:1]
	v_or_b32_e32 v0, s18, v223
	v_pk_fma_f32 v[84:85], v[84:85], v[198:199], 0 op_sel_hi:[1,1,0]
	v_lshlrev_b32_e32 v1, 2, v0
	v_pk_fma_f32 v[84:85], v[192:193], v[194:195], v[84:85]
	v_lshrrev_b32_e32 v51, 1, v0
	ds_read_b128 v[12:15], v1 offset:33280
	ds_read_b128 v[8:11], v1 offset:33296
	;; [unrolled: 1-line block ×4, first 2 shown]
	ds_read_b64 v[192:193], v51 offset:43584
	v_mov_b32_e32 v51, 0
	v_mov_b32_e32 v53, 0
	;; [unrolled: 1-line block ×8, first 2 shown]
	s_waitcnt lgkmcnt(4)
	v_dot4c_i32_i8_e32 v51, v162, v12
	s_waitcnt lgkmcnt(2)
	v_dot4c_i32_i8_e32 v53, v158, v4
	v_dot4c_i32_i8_e32 v65, v132, v12
	;; [unrolled: 1-line block ×23, first 2 shown]
	v_pk_fma_f32 v[86:87], v[126:127], v[200:201], 0 op_sel_hi:[0,1,0]
	v_dot4c_i32_i8_e32 v51, v171, v15
	v_dot4c_i32_i8_e32 v53, v187, v7
	;; [unrolled: 1-line block ×8, first 2 shown]
	v_pk_fma_f32 v[86:87], v[164:165], v[196:197], v[86:87] op_sel_hi:[0,1,1]
	v_dot4c_i32_i8_e32 v51, v174, v8
	s_waitcnt lgkmcnt(1)
	v_dot4c_i32_i8_e32 v53, v188, v0
	v_dot4c_i32_i8_e32 v65, v142, v8
	;; [unrolled: 1-line block ×7, first 2 shown]
	v_pk_mul_f32 v[86:87], v[86:87], v[106:107]
	v_dot4c_i32_i8_e32 v51, v175, v9
	v_dot4c_i32_i8_e32 v53, v189, v1
	;; [unrolled: 1-line block ×8, first 2 shown]
	v_or_b32_e32 v0, s18, v226
	v_pk_fma_f32 v[84:85], v[84:85], v[104:105], v[86:87] neg_lo:[0,0,1] neg_hi:[0,0,1]
	v_dot4c_i32_i8_e32 v51, v178, v10
	v_dot4c_i32_i8_e32 v53, v190, v2
	;; [unrolled: 1-line block ×8, first 2 shown]
	v_lshlrev_b32_e32 v1, 2, v0
	v_lshrrev_b32_e32 v73, 1, v0
	v_pk_add_f32 v[26:27], v[26:27], v[84:85]
	v_dot4c_i32_i8_e32 v51, v179, v11
	v_dot4c_i32_i8_e32 v53, v191, v3
	v_dot4c_i32_i8_e32 v65, v145, v11
	v_dot4c_i32_i8_e32 v67, v173, v3
	v_dot4c_i32_i8_e32 v69, v151, v11
	v_dot4c_i32_i8_e32 v71, v183, v3
	v_dot4c_i32_i8_e32 v195, v157, v11
	v_dot4c_i32_i8_e32 v194, v121, v3
	ds_read_b128 v[12:15], v1 offset:33280
	ds_read_b128 v[8:11], v1 offset:33296
	;; [unrolled: 1-line block ×4, first 2 shown]
	ds_read_b64 v[84:85], v73 offset:43584
	v_mov_b32_e32 v73, 0
	s_waitcnt lgkmcnt(4)
	v_dot4c_i32_i8_e32 v73, v162, v12
	v_dot4c_i32_i8_e32 v73, v163, v13
	;; [unrolled: 1-line block ×4, first 2 shown]
	s_waitcnt lgkmcnt(3)
	v_dot4c_i32_i8_e32 v73, v174, v8
	v_dot4c_i32_i8_e32 v73, v175, v9
	;; [unrolled: 1-line block ×3, first 2 shown]
	v_mov_b32_e32 v178, 0
	s_waitcnt lgkmcnt(2)
	v_dot4c_i32_i8_e32 v178, v158, v4
	v_dot4c_i32_i8_e32 v178, v159, v5
	;; [unrolled: 1-line block ×4, first 2 shown]
	s_waitcnt lgkmcnt(1)
	v_dot4c_i32_i8_e32 v178, v188, v0
	v_dot4c_i32_i8_e32 v178, v189, v1
	;; [unrolled: 1-line block ×3, first 2 shown]
	v_mul_lo_u32 v51, v51, v250
	v_dot4c_i32_i8_e32 v178, v191, v3
	s_waitcnt lgkmcnt(0)
	v_cvt_f32_f16_e32 v175, v84
	v_cvt_f32_f16_sdwa v171, v84 dst_sel:DWORD dst_unused:UNUSED_PAD src0_sel:WORD_1
	v_cvt_f32_i32_e32 v84, v51
	v_mul_lo_u32 v51, v53, v253
	v_mul_lo_u32 v53, v178, v253
	v_cvt_f32_i32_e32 v178, v51
	v_mov_b32_e32 v51, 0
	v_dot4c_i32_i8_e32 v73, v179, v11
	v_dot4c_i32_i8_e32 v51, v132, v12
	v_cvt_f32_f16_sdwa v170, v192 dst_sel:DWORD dst_unused:UNUSED_PAD src0_sel:WORD_1
	v_dot4c_i32_i8_e32 v51, v133, v13
	v_mul_lo_u32 v73, v73, v250
	v_cvt_f32_f16_e32 v174, v192
	v_cvt_f32_f16_e32 v163, v85
	v_cvt_f32_f16_sdwa v159, v85 dst_sel:DWORD dst_unused:UNUSED_PAD src0_sel:WORD_1
	v_cvt_f32_f16_sdwa v158, v193 dst_sel:DWORD dst_unused:UNUSED_PAD src0_sel:WORD_1
	v_cvt_f32_i32_e32 v85, v73
	v_dot4c_i32_i8_e32 v51, v140, v14
	v_cvt_f32_f16_e32 v162, v193
	v_cvt_f32_i32_e32 v179, v53
	v_dot4c_i32_i8_e32 v51, v141, v15
	v_dot4c_i32_i8_e32 v51, v142, v8
	v_pk_fma_f32 v[86:87], v[134:135], v[170:171], 0 op_sel_hi:[0,1,0]
	v_dot4c_i32_i8_e32 v51, v143, v9
	v_mov_b32_e32 v53, 0
	v_pk_fma_f32 v[84:85], v[84:85], v[174:175], 0 op_sel_hi:[1,1,0]
	v_pk_fma_f32 v[86:87], v[184:185], v[158:159], v[86:87] op_sel_hi:[0,1,1]
	v_dot4c_i32_i8_e32 v51, v144, v10
	v_dot4c_i32_i8_e32 v53, v128, v4
	v_pk_fma_f32 v[84:85], v[178:179], v[162:163], v[84:85]
	v_pk_mul_f32 v[86:87], v[86:87], v[98:99]
	v_dot4c_i32_i8_e32 v51, v145, v11
	v_dot4c_i32_i8_e32 v53, v129, v5
	v_pk_fma_f32 v[84:85], v[84:85], v[96:97], v[86:87] neg_lo:[0,0,1] neg_hi:[0,0,1]
	v_dot4c_i32_i8_e32 v53, v166, v6
	v_mul_lo_u32 v51, v51, v165
	v_pk_add_f32 v[22:23], v[22:23], v[84:85]
	v_dot4c_i32_i8_e32 v53, v167, v7
	v_cvt_f32_i32_e32 v85, v51
	v_mul_lo_u32 v51, v67, v251
	v_dot4c_i32_i8_e32 v53, v168, v0
	v_pk_fma_f32 v[86:87], v[124:125], v[170:171], 0 op_sel_hi:[0,1,0]
	v_cvt_f32_i32_e32 v128, v51
	v_mov_b32_e32 v51, 0
	v_mov_b32_e32 v124, 0
	v_dot4c_i32_i8_e32 v53, v169, v1
	v_dot4c_i32_i8_e32 v51, v136, v12
	;; [unrolled: 1-line block ×10, first 2 shown]
	v_mul_lo_u32 v53, v53, v251
	v_dot4c_i32_i8_e32 v124, v153, v15
	v_cvt_f32_i32_e32 v129, v53
	v_dot4c_i32_i8_e32 v51, v148, v8
	v_mov_b32_e32 v53, 0
	v_dot4c_i32_i8_e32 v124, v154, v8
	v_mov_b32_e32 v8, 0
	v_mul_lo_u32 v65, v65, v165
	v_dot4c_i32_i8_e32 v53, v130, v4
	v_dot4c_i32_i8_e32 v8, v122, v4
	v_cvt_f32_i32_e32 v84, v65
	v_dot4c_i32_i8_e32 v53, v131, v5
	v_dot4c_i32_i8_e32 v8, v123, v5
	;; [unrolled: 1-line block ×10, first 2 shown]
	v_pk_fma_f32 v[84:85], v[84:85], v[174:175], 0 op_sel_hi:[1,1,0]
	v_pk_fma_f32 v[86:87], v[160:161], v[158:159], v[86:87] op_sel_hi:[0,1,1]
	v_dot4c_i32_i8_e32 v51, v150, v10
	v_dot4c_i32_i8_e32 v53, v181, v1
	;; [unrolled: 1-line block ×4, first 2 shown]
	v_pk_fma_f32 v[84:85], v[128:129], v[162:163], v[84:85]
	v_pk_mul_f32 v[86:87], v[86:87], v[102:103]
	v_dot4c_i32_i8_e32 v51, v151, v11
	v_dot4c_i32_i8_e32 v53, v182, v2
	;; [unrolled: 1-line block ×4, first 2 shown]
	v_pk_fma_f32 v[84:85], v[84:85], v[100:101], v[86:87] neg_lo:[0,0,1] neg_hi:[0,0,1]
	v_dot4c_i32_i8_e32 v53, v183, v3
	v_mul_lo_u32 v65, v69, v249
	v_mul_lo_u32 v51, v51, v249
	v_dot4c_i32_i8_e32 v8, v121, v3
	v_mul_lo_u32 v0, v195, v135
	v_mul_lo_u32 v1, v124, v135
	v_pk_add_f32 v[20:21], v[20:21], v[84:85]
	v_cvt_f32_i32_e32 v85, v51
	v_cvt_f32_i32_e32 v84, v65
	v_mul_lo_u32 v51, v71, v252
	v_mul_lo_u32 v53, v53, v252
	v_cvt_f32_i32_e32 v1, v1
	v_cvt_f32_i32_e32 v0, v0
	v_mul_lo_u32 v4, v194, v127
	v_mul_lo_u32 v5, v8, v127
	v_cvt_f32_i32_e32 v129, v53
	v_cvt_f32_i32_e32 v128, v51
	;; [unrolled: 1-line block ×4, first 2 shown]
	v_pk_fma_f32 v[86:87], v[126:127], v[170:171], 0 op_sel_hi:[0,1,0]
	v_pk_fma_f32 v[2:3], v[114:115], v[170:171], 0 op_sel_hi:[0,1,0]
	v_pk_fma_f32 v[84:85], v[84:85], v[174:175], 0 op_sel_hi:[1,1,0]
	v_pk_fma_f32 v[86:87], v[164:165], v[158:159], v[86:87] op_sel_hi:[0,1,1]
	v_pk_fma_f32 v[0:1], v[0:1], v[174:175], 0 op_sel_hi:[1,1,0]
	v_pk_fma_f32 v[2:3], v[112:113], v[158:159], v[2:3] op_sel_hi:[0,1,1]
	v_pk_fma_f32 v[84:85], v[128:129], v[162:163], v[84:85]
	v_pk_mul_f32 v[86:87], v[86:87], v[106:107]
	v_pk_fma_f32 v[0:1], v[4:5], v[162:163], v[0:1]
	v_pk_mul_f32 v[2:3], v[2:3], v[110:111]
	v_pk_fma_f32 v[84:85], v[84:85], v[104:105], v[86:87] neg_lo:[0,0,1] neg_hi:[0,0,1]
	v_pk_fma_f32 v[0:1], v[0:1], v[108:109], v[2:3] neg_lo:[0,0,1] neg_hi:[0,0,1]
	v_pk_add_f32 v[18:19], v[18:19], v[84:85]
	v_pk_add_f32 v[16:17], v[16:17], v[0:1]
	s_mov_b32 s19, 8
	s_and_b64 vcc, exec, s[4:5]
	s_mov_b64 s[4:5], 0
	s_cbranch_vccnz .LBB173_6
; %bb.7:                                ;   in Loop: Header=BB173_5 Depth=1
	v_add_u32_e32 v14, s17, v229
	v_add_u32_e32 v0, v14, v205
	v_add_u32_e32 v2, v14, v207
	v_add_u32_e32 v4, v14, v210
	v_add_u32_e32 v6, v14, v213
	v_add_u32_e32 v8, v14, v216
	v_mad_i64_i32 v[0:1], s[4:5], v0, 36, v[92:93]
	v_mad_i64_i32 v[2:3], s[4:5], v2, 36, v[92:93]
	;; [unrolled: 1-line block ×5, first 2 shown]
	v_add_u32_e32 v10, v14, v219
	v_add_u32_e32 v12, v14, v222
	;; [unrolled: 1-line block ×3, first 2 shown]
	s_barrier
	v_mad_i64_i32 v[10:11], s[4:5], v10, 36, v[92:93]
	v_mad_i64_i32 v[12:13], s[4:5], v12, 36, v[92:93]
	;; [unrolled: 1-line block ×3, first 2 shown]
	global_load_dword v51, v[0:1], off offset:4
	s_nop 0
	global_load_dword v2, v[2:3], off offset:4
	s_nop 0
	global_load_dword v3, v[4:5], off offset:4
	s_nop 0
	global_load_dword v4, v[6:7], off offset:4
	global_load_dword v5, v[8:9], off offset:4
	s_nop 0
	global_load_dword v6, v[10:11], off offset:4
	global_load_dword v7, v[12:13], off offset:4
	;; [unrolled: 1-line block ×3, first 2 shown]
	v_add_u32_e32 v0, 4, v125
	v_mad_u64_u32 v[0:1], s[4:5], v0, 36, s[2:3]
	global_load_dword v0, v[0:1], off
	s_mov_b32 s4, 16
	s_waitcnt vmcnt(8)
	ds_write_b32 v206, v51
	s_waitcnt vmcnt(7)
	ds_write_b32 v209, v2
	;; [unrolled: 2-line block ×9, first 2 shown]
	s_waitcnt lgkmcnt(0)
	s_barrier
	ds_read_b32 v0, v228
	ds_read_b32 v1, v230 offset:128
	ds_read_b32 v2, v232 offset:256
	;; [unrolled: 1-line block ×3, first 2 shown]
	s_waitcnt lgkmcnt(2)
	v_cvt_f32_f16_e32 v100, v1
	v_cvt_f32_f16_e32 v96, v0
	v_cvt_f32_f16_sdwa v98, v0 dst_sel:DWORD dst_unused:UNUSED_PAD src0_sel:WORD_1
	v_cvt_f32_f16_sdwa v102, v1 dst_sel:DWORD dst_unused:UNUSED_PAD src0_sel:WORD_1
	s_waitcnt lgkmcnt(1)
	v_cvt_f32_f16_e32 v104, v2
	v_cvt_f32_f16_sdwa v106, v2 dst_sel:DWORD dst_unused:UNUSED_PAD src0_sel:WORD_1
	s_waitcnt lgkmcnt(0)
	v_cvt_f32_f16_e32 v108, v3
	v_cvt_f32_f16_sdwa v110, v3 dst_sel:DWORD dst_unused:UNUSED_PAD src0_sel:WORD_1
	v_mov_b32_e32 v97, v96
	v_mov_b32_e32 v99, v98
	;; [unrolled: 1-line block ×8, first 2 shown]
.LBB173_8:                              ;   Parent Loop BB173_5 Depth=1
                                        ; =>  This Inner Loop Header: Depth=2
	s_lshr_b32 s5, s4, 2
	s_and_b32 s17, s5, 0x3ffffffe
	s_lshl_b32 s5, s4, 1
	s_and_b32 s5, s5, 16
	v_or_b32_e32 v0, s5, v113
	v_lshlrev_b32_e32 v1, 2, v0
	v_lshrrev_b32_e32 v51, 1, v0
	s_add_i32 s17, s17, 0xa200
	s_lshl_b32 s18, s4, 3
	ds_read_b128 v[12:15], v1 offset:33280
	ds_read_b128 v[8:11], v1 offset:33296
	ds_read_b128 v[4:7], v1 offset:33312
	ds_read_b128 v[0:3], v1 offset:33328
	ds_read_b64 v[192:193], v51 offset:43584
	v_add3_u32 v51, s17, v244, v245
	v_add_u32_e32 v53, s18, v235
	ds_read2_b32 v[176:177], v53 offset1:1
	ds_read2_b32 v[178:179], v53 offset0:2 offset1:3
	ds_read2_b32 v[180:181], v53 offset0:4 offset1:5
	;; [unrolled: 1-line block ×3, first 2 shown]
	ds_read_u16 v67, v51
	ds_read_u16 v51, v51 offset:8
	ds_read2_b32 v[158:159], v53 offset0:8 offset1:9
	ds_read2_b32 v[186:187], v53 offset0:10 offset1:11
	;; [unrolled: 1-line block ×4, first 2 shown]
	s_waitcnt lgkmcnt(4)
	v_cvt_f32_ubyte0_e32 v138, v51
	v_cvt_f32_ubyte1_e32 v184, v51
	v_add3_u32 v51, s17, v246, v241
	v_add_u32_e32 v53, s18, v236
	v_and_b32_e32 v249, 0xff, v67
	v_lshrrev_b16_e32 v252, 8, v67
	ds_read2_b32 v[128:129], v53 offset1:1
	ds_read2_b32 v[146:147], v53 offset0:2 offset1:3
	ds_read2_b32 v[152:153], v53 offset0:4 offset1:5
	;; [unrolled: 1-line block ×3, first 2 shown]
	ds_read_u16 v67, v51
	ds_read_u16 v51, v51 offset:8
	ds_read2_b32 v[136:137], v53 offset0:8 offset1:9
	ds_read2_b32 v[166:167], v53 offset0:10 offset1:11
	;; [unrolled: 1-line block ×4, first 2 shown]
	s_waitcnt lgkmcnt(4)
	v_cvt_f32_ubyte0_e32 v132, v51
	v_cvt_f32_ubyte1_e32 v162, v51
	v_add3_u32 v51, s17, v247, v242
	v_add_u32_e32 v53, s18, v237
	v_and_b32_e32 v163, 0xff, v67
	v_lshrrev_b16_e32 v251, 8, v67
	ds_read2_b32 v[126:127], v53 offset1:1
	ds_read2_b32 v[142:143], v53 offset0:2 offset1:3
	ds_read2_b32 v[148:149], v53 offset0:4 offset1:5
	;; [unrolled: 1-line block ×3, first 2 shown]
	ds_read_u16 v67, v51
	ds_read_u16 v51, v51 offset:8
	v_mov_b32_e32 v65, 0
	v_mov_b32_e32 v254, 0
	;; [unrolled: 1-line block ×3, first 2 shown]
	s_waitcnt lgkmcnt(1)
	v_and_b32_e32 v139, 0xff, v67
	v_lshrrev_b16_e32 v250, 8, v67
	v_add_u32_e32 v67, s18, v238
	ds_read2_b32 v[124:125], v67 offset1:1
	ds_read2_b32 v[140:141], v67 offset0:2 offset1:3
	ds_read2_b32 v[144:145], v67 offset0:4 offset1:5
	;; [unrolled: 1-line block ×3, first 2 shown]
	s_waitcnt lgkmcnt(4)
	v_cvt_f32_ubyte0_e32 v130, v51
	v_cvt_f32_ubyte1_e32 v160, v51
	v_mov_b32_e32 v51, 0
	v_dot4c_i32_i8_e32 v65, v176, v12
	v_dot4c_i32_i8_e32 v254, v128, v12
	;; [unrolled: 1-line block ×3, first 2 shown]
	s_waitcnt lgkmcnt(3)
	v_dot4c_i32_i8_e32 v51, v124, v12
	v_dot4c_i32_i8_e32 v65, v177, v13
	;; [unrolled: 1-line block ×8, first 2 shown]
	s_waitcnt lgkmcnt(2)
	v_dot4c_i32_i8_e32 v51, v140, v14
	v_dot4c_i32_i8_e32 v65, v179, v15
	;; [unrolled: 1-line block ×8, first 2 shown]
	ds_read2_b32 v[134:135], v53 offset0:8 offset1:9
	ds_read2_b32 v[164:165], v53 offset0:10 offset1:11
	;; [unrolled: 1-line block ×4, first 2 shown]
	v_add3_u32 v53, s17, v248, v243
	s_waitcnt lgkmcnt(5)
	v_dot4c_i32_i8_e32 v51, v144, v8
	v_dot4c_i32_i8_e32 v65, v181, v9
	;; [unrolled: 1-line block ×5, first 2 shown]
	ds_read_u16 v8, v53
	ds_read_u16 v9, v53 offset:8
	ds_read2_b32 v[122:123], v67 offset0:8 offset1:9
	ds_read2_b32 v[116:117], v67 offset0:10 offset1:11
	;; [unrolled: 1-line block ×4, first 2 shown]
	v_mov_b32_e32 v69, 0
	v_mov_b32_e32 v71, 0
	;; [unrolled: 1-line block ×4, first 2 shown]
	v_dot4c_i32_i8_e32 v69, v158, v4
	v_dot4c_i32_i8_e32 v71, v136, v4
	s_waitcnt lgkmcnt(9)
	v_dot4c_i32_i8_e32 v73, v134, v4
	s_waitcnt lgkmcnt(3)
	v_dot4c_i32_i8_e32 v53, v122, v4
	v_dot4c_i32_i8_e32 v69, v159, v5
	;; [unrolled: 1-line block ×8, first 2 shown]
	s_waitcnt lgkmcnt(2)
	v_dot4c_i32_i8_e32 v53, v116, v6
	v_dot4c_i32_i8_e32 v69, v187, v7
	;; [unrolled: 1-line block ×8, first 2 shown]
	s_waitcnt lgkmcnt(1)
	v_dot4c_i32_i8_e32 v53, v118, v0
	v_dot4c_i32_i8_e32 v69, v189, v1
	;; [unrolled: 1-line block ×5, first 2 shown]
	v_or_b32_e32 v0, s5, v208
	v_dot4c_i32_i8_e32 v65, v182, v10
	v_dot4c_i32_i8_e32 v69, v190, v2
	;; [unrolled: 1-line block ×7, first 2 shown]
	s_waitcnt lgkmcnt(0)
	v_dot4c_i32_i8_e32 v53, v120, v2
	v_lshlrev_b32_e32 v1, 2, v0
	v_dot4c_i32_i8_e32 v65, v183, v11
	v_dot4c_i32_i8_e32 v69, v191, v3
	;; [unrolled: 1-line block ×7, first 2 shown]
	v_and_b32_e32 v133, 0xff, v8
	v_cvt_f32_ubyte0_e32 v114, v9
	v_dot4c_i32_i8_e32 v53, v121, v3
	v_lshrrev_b16_e32 v131, 8, v8
	v_cvt_f32_ubyte1_e32 v112, v9
	v_lshrrev_b32_e32 v67, 1, v0
	ds_read_b128 v[12:15], v1 offset:33280
	ds_read_b128 v[8:11], v1 offset:33296
	;; [unrolled: 1-line block ×4, first 2 shown]
	ds_read_b64 v[84:85], v67 offset:43584
	v_mov_b32_e32 v67, 0
	s_waitcnt lgkmcnt(4)
	v_dot4c_i32_i8_e32 v67, v176, v12
	v_mov_b32_e32 v255, 0
	v_dot4c_i32_i8_e32 v67, v177, v13
	s_waitcnt lgkmcnt(2)
	v_dot4c_i32_i8_e32 v255, v158, v4
	v_dot4c_i32_i8_e32 v67, v178, v14
	;; [unrolled: 1-line block ×7, first 2 shown]
	v_mul_lo_u32 v65, v65, v249
	v_dot4c_i32_i8_e32 v67, v181, v9
	s_waitcnt lgkmcnt(1)
	v_dot4c_i32_i8_e32 v255, v188, v0
	s_waitcnt lgkmcnt(0)
	v_cvt_f32_f16_e32 v199, v84
	v_cvt_f32_f16_sdwa v201, v84 dst_sel:DWORD dst_unused:UNUSED_PAD src0_sel:WORD_1
	v_cvt_f32_i32_e32 v84, v65
	v_mul_lo_u32 v65, v69, v252
	v_dot4c_i32_i8_e32 v67, v182, v10
	v_dot4c_i32_i8_e32 v255, v189, v1
	v_cvt_f32_f16_e32 v198, v192
	v_cvt_f32_f16_sdwa v200, v192 dst_sel:DWORD dst_unused:UNUSED_PAD src0_sel:WORD_1
	v_cvt_f32_i32_e32 v192, v65
	v_mov_b32_e32 v65, 0
	v_dot4c_i32_i8_e32 v67, v183, v11
	v_dot4c_i32_i8_e32 v255, v190, v2
	;; [unrolled: 1-line block ×4, first 2 shown]
	v_mul_lo_u32 v67, v67, v249
	v_dot4c_i32_i8_e32 v65, v129, v13
	v_cvt_f32_f16_e32 v195, v85
	v_cvt_f32_f16_sdwa v197, v85 dst_sel:DWORD dst_unused:UNUSED_PAD src0_sel:WORD_1
	v_cvt_f32_f16_sdwa v196, v193 dst_sel:DWORD dst_unused:UNUSED_PAD src0_sel:WORD_1
	v_cvt_f32_i32_e32 v85, v67
	v_mul_lo_u32 v67, v255, v252
	v_dot4c_i32_i8_e32 v65, v146, v14
	v_cvt_f32_f16_e32 v194, v193
	v_cvt_f32_i32_e32 v193, v67
	v_dot4c_i32_i8_e32 v65, v147, v15
	v_dot4c_i32_i8_e32 v65, v152, v8
	v_mov_b32_e32 v67, 0
	v_pk_fma_f32 v[86:87], v[138:139], v[200:201], 0 op_sel_hi:[0,1,0]
	v_dot4c_i32_i8_e32 v65, v153, v9
	v_dot4c_i32_i8_e32 v67, v136, v4
	v_pk_fma_f32 v[84:85], v[198:199], v[84:85], 0 op_sel_hi:[1,1,0]
	v_pk_fma_f32 v[86:87], v[184:185], v[196:197], v[86:87] op_sel_hi:[0,1,1]
	v_dot4c_i32_i8_e32 v65, v156, v10
	v_dot4c_i32_i8_e32 v67, v137, v5
	v_pk_fma_f32 v[84:85], v[194:195], v[192:193], v[84:85]
	v_pk_mul_f32 v[86:87], v[86:87], v[98:99]
	v_dot4c_i32_i8_e32 v65, v157, v11
	v_dot4c_i32_i8_e32 v67, v166, v6
	v_pk_fma_f32 v[84:85], v[84:85], v[96:97], v[86:87] neg_lo:[0,0,1] neg_hi:[0,0,1]
	v_dot4c_i32_i8_e32 v67, v167, v7
	v_mul_lo_u32 v65, v65, v163
	v_pk_add_f32 v[46:47], v[46:47], v[84:85]
	v_dot4c_i32_i8_e32 v67, v170, v0
	v_cvt_f32_i32_e32 v85, v65
	v_mul_lo_u32 v65, v71, v251
	v_dot4c_i32_i8_e32 v67, v171, v1
	v_cvt_f32_i32_e32 v192, v65
	v_mov_b32_e32 v65, 0
	v_dot4c_i32_i8_e32 v67, v174, v2
	v_dot4c_i32_i8_e32 v65, v126, v12
	;; [unrolled: 1-line block ×3, first 2 shown]
	v_mul_lo_u32 v69, v254, v163
	v_dot4c_i32_i8_e32 v65, v127, v13
	v_cvt_f32_i32_e32 v84, v69
	v_mul_lo_u32 v67, v67, v251
	v_dot4c_i32_i8_e32 v65, v142, v14
	v_cvt_f32_i32_e32 v193, v67
	v_dot4c_i32_i8_e32 v65, v143, v15
	v_dot4c_i32_i8_e32 v65, v148, v8
	v_pk_fma_f32 v[86:87], v[132:133], v[200:201], 0 op_sel_hi:[0,1,0]
	v_dot4c_i32_i8_e32 v65, v149, v9
	v_pk_fma_f32 v[84:85], v[198:199], v[84:85], 0 op_sel_hi:[1,1,0]
	v_pk_fma_f32 v[86:87], v[162:163], v[196:197], v[86:87] op_sel_hi:[0,1,1]
	v_dot4c_i32_i8_e32 v65, v154, v10
	v_pk_fma_f32 v[84:85], v[194:195], v[192:193], v[84:85]
	v_pk_mul_f32 v[86:87], v[86:87], v[102:103]
	v_dot4c_i32_i8_e32 v65, v155, v11
	v_pk_fma_f32 v[84:85], v[84:85], v[100:101], v[86:87] neg_lo:[0,0,1] neg_hi:[0,0,1]
	v_pk_add_f32 v[44:45], v[44:45], v[84:85]
	v_mov_b32_e32 v67, 0
	v_mul_lo_u32 v65, v65, v139
	v_cvt_f32_i32_e32 v85, v65
	v_mul_lo_u32 v65, v73, v250
	v_cvt_f32_i32_e32 v192, v65
	v_mov_b32_e32 v65, 0
	v_dot4c_i32_i8_e32 v65, v124, v12
	v_dot4c_i32_i8_e32 v65, v125, v13
	;; [unrolled: 1-line block ×5, first 2 shown]
	v_mov_b32_e32 v8, 0
	v_dot4c_i32_i8_e32 v8, v122, v4
	v_dot4c_i32_i8_e32 v8, v123, v5
	;; [unrolled: 1-line block ×17, first 2 shown]
	v_mul_lo_u32 v0, v51, v133
	v_mul_lo_u32 v1, v65, v133
	v_cvt_f32_i32_e32 v1, v1
	v_cvt_f32_i32_e32 v0, v0
	v_mul_lo_u32 v4, v53, v131
	v_mul_lo_u32 v5, v8, v131
	v_cvt_f32_i32_e32 v5, v5
	v_cvt_f32_i32_e32 v4, v4
	v_dot4c_i32_i8_e32 v67, v172, v2
	v_dot4c_i32_i8_e32 v67, v173, v3
	v_mul_lo_u32 v69, v253, v139
	v_pk_fma_f32 v[2:3], v[114:115], v[200:201], 0 op_sel_hi:[0,1,0]
	v_cvt_f32_i32_e32 v84, v69
	v_mul_lo_u32 v67, v67, v250
	v_pk_fma_f32 v[0:1], v[198:199], v[0:1], 0 op_sel_hi:[1,1,0]
	v_pk_fma_f32 v[2:3], v[112:113], v[196:197], v[2:3] op_sel_hi:[0,1,1]
	v_cvt_f32_i32_e32 v193, v67
	v_pk_fma_f32 v[0:1], v[194:195], v[4:5], v[0:1]
	v_pk_mul_f32 v[2:3], v[2:3], v[110:111]
	v_pk_fma_f32 v[0:1], v[0:1], v[108:109], v[2:3] neg_lo:[0,0,1] neg_hi:[0,0,1]
	v_pk_add_f32 v[40:41], v[40:41], v[0:1]
	v_or_b32_e32 v0, s5, v211
	v_pk_fma_f32 v[84:85], v[198:199], v[84:85], 0 op_sel_hi:[1,1,0]
	v_lshlrev_b32_e32 v1, 2, v0
	v_pk_fma_f32 v[84:85], v[194:195], v[192:193], v[84:85]
	v_lshrrev_b32_e32 v51, 1, v0
	ds_read_b128 v[12:15], v1 offset:33280
	ds_read_b128 v[8:11], v1 offset:33296
	;; [unrolled: 1-line block ×4, first 2 shown]
	ds_read_b64 v[192:193], v51 offset:43584
	v_mov_b32_e32 v51, 0
	v_mov_b32_e32 v53, 0
	;; [unrolled: 1-line block ×8, first 2 shown]
	s_waitcnt lgkmcnt(4)
	v_dot4c_i32_i8_e32 v51, v176, v12
	s_waitcnt lgkmcnt(2)
	v_dot4c_i32_i8_e32 v53, v158, v4
	v_dot4c_i32_i8_e32 v65, v128, v12
	;; [unrolled: 1-line block ×15, first 2 shown]
	v_pk_fma_f32 v[86:87], v[130:131], v[200:201], 0 op_sel_hi:[0,1,0]
	v_dot4c_i32_i8_e32 v51, v178, v14
	v_dot4c_i32_i8_e32 v53, v186, v6
	;; [unrolled: 1-line block ×8, first 2 shown]
	v_pk_fma_f32 v[86:87], v[160:161], v[196:197], v[86:87] op_sel_hi:[0,1,1]
	v_dot4c_i32_i8_e32 v51, v179, v15
	v_dot4c_i32_i8_e32 v53, v187, v7
	;; [unrolled: 1-line block ×8, first 2 shown]
	v_pk_mul_f32 v[86:87], v[86:87], v[106:107]
	v_dot4c_i32_i8_e32 v51, v180, v8
	s_waitcnt lgkmcnt(1)
	v_dot4c_i32_i8_e32 v53, v188, v0
	v_dot4c_i32_i8_e32 v65, v152, v8
	;; [unrolled: 1-line block ×7, first 2 shown]
	v_pk_fma_f32 v[84:85], v[84:85], v[104:105], v[86:87] neg_lo:[0,0,1] neg_hi:[0,0,1]
	v_dot4c_i32_i8_e32 v51, v181, v9
	v_dot4c_i32_i8_e32 v53, v189, v1
	;; [unrolled: 1-line block ×8, first 2 shown]
	v_or_b32_e32 v0, s5, v214
	v_pk_add_f32 v[42:43], v[42:43], v[84:85]
	v_dot4c_i32_i8_e32 v51, v182, v10
	v_dot4c_i32_i8_e32 v53, v190, v2
	;; [unrolled: 1-line block ×8, first 2 shown]
	v_lshlrev_b32_e32 v1, 2, v0
	v_lshrrev_b32_e32 v84, 1, v0
	v_dot4c_i32_i8_e32 v51, v183, v11
	v_dot4c_i32_i8_e32 v53, v191, v3
	;; [unrolled: 1-line block ×8, first 2 shown]
	ds_read_b128 v[12:15], v1 offset:33280
	ds_read_b128 v[8:11], v1 offset:33296
	;; [unrolled: 1-line block ×4, first 2 shown]
	ds_read_b64 v[84:85], v84 offset:43584
	v_mov_b32_e32 v86, 0
	s_waitcnt lgkmcnt(4)
	v_dot4c_i32_i8_e32 v86, v176, v12
	v_dot4c_i32_i8_e32 v86, v177, v13
	;; [unrolled: 1-line block ×4, first 2 shown]
	s_waitcnt lgkmcnt(3)
	v_dot4c_i32_i8_e32 v86, v180, v8
	v_mov_b32_e32 v254, 0
	v_dot4c_i32_i8_e32 v86, v181, v9
	s_waitcnt lgkmcnt(2)
	v_dot4c_i32_i8_e32 v254, v158, v4
	v_dot4c_i32_i8_e32 v86, v182, v10
	v_dot4c_i32_i8_e32 v254, v159, v5
	v_dot4c_i32_i8_e32 v86, v183, v11
	v_dot4c_i32_i8_e32 v254, v186, v6
	v_dot4c_i32_i8_e32 v254, v187, v7
	s_waitcnt lgkmcnt(0)
	v_cvt_f32_f16_e32 v199, v84
	v_cvt_f32_f16_sdwa v201, v84 dst_sel:DWORD dst_unused:UNUSED_PAD src0_sel:WORD_1
	v_mul_lo_u32 v51, v51, v249
	v_mul_lo_u32 v84, v86, v249
	v_dot4c_i32_i8_e32 v254, v188, v0
	v_cvt_f32_f16_e32 v195, v85
	v_cvt_f32_f16_sdwa v197, v85 dst_sel:DWORD dst_unused:UNUSED_PAD src0_sel:WORD_1
	v_cvt_f32_i32_e32 v85, v84
	v_cvt_f32_i32_e32 v84, v51
	v_mul_lo_u32 v51, v53, v252
	v_dot4c_i32_i8_e32 v254, v189, v1
	v_cvt_f32_f16_e32 v198, v192
	v_cvt_f32_f16_sdwa v200, v192 dst_sel:DWORD dst_unused:UNUSED_PAD src0_sel:WORD_1
	v_cvt_f32_i32_e32 v192, v51
	v_mov_b32_e32 v51, 0
	v_dot4c_i32_i8_e32 v254, v190, v2
	v_dot4c_i32_i8_e32 v51, v128, v12
	v_dot4c_i32_i8_e32 v254, v191, v3
	v_dot4c_i32_i8_e32 v51, v129, v13
	v_cvt_f32_f16_sdwa v196, v193 dst_sel:DWORD dst_unused:UNUSED_PAD src0_sel:WORD_1
	v_dot4c_i32_i8_e32 v51, v146, v14
	v_mul_lo_u32 v53, v254, v252
	v_cvt_f32_f16_e32 v194, v193
	v_cvt_f32_i32_e32 v193, v53
	v_dot4c_i32_i8_e32 v51, v147, v15
	v_dot4c_i32_i8_e32 v51, v152, v8
	v_mov_b32_e32 v53, 0
	v_pk_fma_f32 v[86:87], v[138:139], v[200:201], 0 op_sel_hi:[0,1,0]
	v_dot4c_i32_i8_e32 v51, v153, v9
	v_dot4c_i32_i8_e32 v53, v136, v4
	v_pk_fma_f32 v[84:85], v[84:85], v[198:199], 0 op_sel_hi:[1,1,0]
	v_pk_fma_f32 v[86:87], v[184:185], v[196:197], v[86:87] op_sel_hi:[0,1,1]
	v_dot4c_i32_i8_e32 v51, v156, v10
	v_dot4c_i32_i8_e32 v53, v137, v5
	v_pk_fma_f32 v[84:85], v[192:193], v[194:195], v[84:85]
	v_pk_mul_f32 v[86:87], v[86:87], v[98:99]
	v_dot4c_i32_i8_e32 v51, v157, v11
	v_dot4c_i32_i8_e32 v53, v166, v6
	v_pk_fma_f32 v[84:85], v[84:85], v[96:97], v[86:87] neg_lo:[0,0,1] neg_hi:[0,0,1]
	v_dot4c_i32_i8_e32 v53, v167, v7
	v_mul_lo_u32 v51, v51, v163
	v_pk_add_f32 v[38:39], v[38:39], v[84:85]
	v_dot4c_i32_i8_e32 v53, v170, v0
	v_cvt_f32_i32_e32 v85, v51
	v_mul_lo_u32 v51, v67, v251
	v_dot4c_i32_i8_e32 v53, v171, v1
	v_cvt_f32_i32_e32 v192, v51
	v_mov_b32_e32 v51, 0
	v_dot4c_i32_i8_e32 v53, v174, v2
	v_dot4c_i32_i8_e32 v51, v126, v12
	;; [unrolled: 1-line block ×3, first 2 shown]
	v_mul_lo_u32 v65, v65, v163
	v_dot4c_i32_i8_e32 v51, v127, v13
	v_cvt_f32_i32_e32 v84, v65
	v_mul_lo_u32 v53, v53, v251
	v_dot4c_i32_i8_e32 v51, v142, v14
	v_cvt_f32_i32_e32 v193, v53
	v_dot4c_i32_i8_e32 v51, v143, v15
	v_dot4c_i32_i8_e32 v51, v148, v8
	v_pk_fma_f32 v[86:87], v[132:133], v[200:201], 0 op_sel_hi:[0,1,0]
	v_dot4c_i32_i8_e32 v51, v149, v9
	v_pk_fma_f32 v[84:85], v[84:85], v[198:199], 0 op_sel_hi:[1,1,0]
	v_pk_fma_f32 v[86:87], v[162:163], v[196:197], v[86:87] op_sel_hi:[0,1,1]
	v_dot4c_i32_i8_e32 v51, v154, v10
	v_pk_fma_f32 v[84:85], v[192:193], v[194:195], v[84:85]
	v_pk_mul_f32 v[86:87], v[86:87], v[102:103]
	v_dot4c_i32_i8_e32 v51, v155, v11
	v_pk_fma_f32 v[84:85], v[84:85], v[100:101], v[86:87] neg_lo:[0,0,1] neg_hi:[0,0,1]
	v_pk_add_f32 v[36:37], v[36:37], v[84:85]
	v_mov_b32_e32 v53, 0
	v_mul_lo_u32 v51, v51, v139
	v_cvt_f32_i32_e32 v85, v51
	v_mul_lo_u32 v51, v71, v250
	v_cvt_f32_i32_e32 v192, v51
	v_mov_b32_e32 v51, 0
	v_dot4c_i32_i8_e32 v51, v124, v12
	v_dot4c_i32_i8_e32 v51, v125, v13
	;; [unrolled: 1-line block ×5, first 2 shown]
	v_mov_b32_e32 v8, 0
	v_dot4c_i32_i8_e32 v8, v122, v4
	v_dot4c_i32_i8_e32 v8, v123, v5
	;; [unrolled: 1-line block ×17, first 2 shown]
	v_mul_lo_u32 v0, v73, v133
	v_mul_lo_u32 v1, v51, v133
	v_cvt_f32_i32_e32 v1, v1
	v_cvt_f32_i32_e32 v0, v0
	v_mul_lo_u32 v4, v253, v131
	v_mul_lo_u32 v5, v8, v131
	v_cvt_f32_i32_e32 v5, v5
	v_cvt_f32_i32_e32 v4, v4
	v_dot4c_i32_i8_e32 v53, v172, v2
	v_dot4c_i32_i8_e32 v53, v173, v3
	v_mul_lo_u32 v65, v69, v139
	v_pk_fma_f32 v[2:3], v[114:115], v[200:201], 0 op_sel_hi:[0,1,0]
	v_cvt_f32_i32_e32 v84, v65
	v_mul_lo_u32 v53, v53, v250
	v_pk_fma_f32 v[0:1], v[0:1], v[198:199], 0 op_sel_hi:[1,1,0]
	v_pk_fma_f32 v[2:3], v[112:113], v[196:197], v[2:3] op_sel_hi:[0,1,1]
	v_cvt_f32_i32_e32 v193, v53
	v_pk_fma_f32 v[0:1], v[4:5], v[194:195], v[0:1]
	v_pk_mul_f32 v[2:3], v[2:3], v[110:111]
	v_pk_fma_f32 v[0:1], v[0:1], v[108:109], v[2:3] neg_lo:[0,0,1] neg_hi:[0,0,1]
	v_pk_add_f32 v[32:33], v[32:33], v[0:1]
	v_or_b32_e32 v0, s5, v217
	v_pk_fma_f32 v[84:85], v[84:85], v[198:199], 0 op_sel_hi:[1,1,0]
	v_lshlrev_b32_e32 v1, 2, v0
	v_pk_fma_f32 v[84:85], v[192:193], v[194:195], v[84:85]
	v_lshrrev_b32_e32 v51, 1, v0
	ds_read_b128 v[12:15], v1 offset:33280
	ds_read_b128 v[8:11], v1 offset:33296
	;; [unrolled: 1-line block ×4, first 2 shown]
	ds_read_b64 v[192:193], v51 offset:43584
	v_mov_b32_e32 v51, 0
	v_mov_b32_e32 v53, 0
	;; [unrolled: 1-line block ×8, first 2 shown]
	s_waitcnt lgkmcnt(4)
	v_dot4c_i32_i8_e32 v51, v176, v12
	s_waitcnt lgkmcnt(2)
	v_dot4c_i32_i8_e32 v53, v158, v4
	v_dot4c_i32_i8_e32 v65, v128, v12
	;; [unrolled: 1-line block ×15, first 2 shown]
	v_pk_fma_f32 v[86:87], v[130:131], v[200:201], 0 op_sel_hi:[0,1,0]
	v_dot4c_i32_i8_e32 v51, v178, v14
	v_dot4c_i32_i8_e32 v53, v186, v6
	;; [unrolled: 1-line block ×8, first 2 shown]
	v_pk_fma_f32 v[86:87], v[160:161], v[196:197], v[86:87] op_sel_hi:[0,1,1]
	v_dot4c_i32_i8_e32 v51, v179, v15
	v_dot4c_i32_i8_e32 v53, v187, v7
	;; [unrolled: 1-line block ×8, first 2 shown]
	v_pk_mul_f32 v[86:87], v[86:87], v[106:107]
	v_dot4c_i32_i8_e32 v51, v180, v8
	s_waitcnt lgkmcnt(1)
	v_dot4c_i32_i8_e32 v53, v188, v0
	v_dot4c_i32_i8_e32 v65, v152, v8
	;; [unrolled: 1-line block ×7, first 2 shown]
	v_pk_fma_f32 v[84:85], v[84:85], v[104:105], v[86:87] neg_lo:[0,0,1] neg_hi:[0,0,1]
	v_dot4c_i32_i8_e32 v51, v181, v9
	v_dot4c_i32_i8_e32 v53, v189, v1
	;; [unrolled: 1-line block ×8, first 2 shown]
	v_or_b32_e32 v0, s5, v220
	v_pk_add_f32 v[34:35], v[34:35], v[84:85]
	v_dot4c_i32_i8_e32 v51, v182, v10
	v_dot4c_i32_i8_e32 v53, v190, v2
	;; [unrolled: 1-line block ×8, first 2 shown]
	v_lshlrev_b32_e32 v1, 2, v0
	v_lshrrev_b32_e32 v84, 1, v0
	v_dot4c_i32_i8_e32 v51, v183, v11
	v_dot4c_i32_i8_e32 v53, v191, v3
	;; [unrolled: 1-line block ×8, first 2 shown]
	ds_read_b128 v[12:15], v1 offset:33280
	ds_read_b128 v[8:11], v1 offset:33296
	;; [unrolled: 1-line block ×4, first 2 shown]
	ds_read_b64 v[84:85], v84 offset:43584
	v_mov_b32_e32 v86, 0
	s_waitcnt lgkmcnt(4)
	v_dot4c_i32_i8_e32 v86, v176, v12
	v_dot4c_i32_i8_e32 v86, v177, v13
	;; [unrolled: 1-line block ×4, first 2 shown]
	s_waitcnt lgkmcnt(3)
	v_dot4c_i32_i8_e32 v86, v180, v8
	v_mov_b32_e32 v254, 0
	v_dot4c_i32_i8_e32 v86, v181, v9
	s_waitcnt lgkmcnt(2)
	v_dot4c_i32_i8_e32 v254, v158, v4
	v_dot4c_i32_i8_e32 v86, v182, v10
	;; [unrolled: 1-line block ×6, first 2 shown]
	s_waitcnt lgkmcnt(0)
	v_cvt_f32_f16_e32 v199, v84
	v_cvt_f32_f16_sdwa v201, v84 dst_sel:DWORD dst_unused:UNUSED_PAD src0_sel:WORD_1
	v_mul_lo_u32 v51, v51, v249
	v_mul_lo_u32 v84, v86, v249
	v_dot4c_i32_i8_e32 v254, v188, v0
	v_cvt_f32_f16_e32 v195, v85
	v_cvt_f32_f16_sdwa v197, v85 dst_sel:DWORD dst_unused:UNUSED_PAD src0_sel:WORD_1
	v_cvt_f32_i32_e32 v85, v84
	v_cvt_f32_i32_e32 v84, v51
	v_mul_lo_u32 v51, v53, v252
	v_dot4c_i32_i8_e32 v254, v189, v1
	v_cvt_f32_f16_e32 v198, v192
	v_cvt_f32_f16_sdwa v200, v192 dst_sel:DWORD dst_unused:UNUSED_PAD src0_sel:WORD_1
	v_cvt_f32_i32_e32 v192, v51
	v_mov_b32_e32 v51, 0
	v_dot4c_i32_i8_e32 v254, v190, v2
	v_dot4c_i32_i8_e32 v51, v128, v12
	;; [unrolled: 1-line block ×4, first 2 shown]
	v_cvt_f32_f16_sdwa v196, v193 dst_sel:DWORD dst_unused:UNUSED_PAD src0_sel:WORD_1
	v_dot4c_i32_i8_e32 v51, v146, v14
	v_mul_lo_u32 v53, v254, v252
	v_cvt_f32_f16_e32 v194, v193
	v_cvt_f32_i32_e32 v193, v53
	v_dot4c_i32_i8_e32 v51, v147, v15
	v_dot4c_i32_i8_e32 v51, v152, v8
	v_mov_b32_e32 v53, 0
	v_pk_fma_f32 v[86:87], v[138:139], v[200:201], 0 op_sel_hi:[0,1,0]
	v_dot4c_i32_i8_e32 v51, v153, v9
	v_dot4c_i32_i8_e32 v53, v136, v4
	v_pk_fma_f32 v[84:85], v[84:85], v[198:199], 0 op_sel_hi:[1,1,0]
	v_pk_fma_f32 v[86:87], v[184:185], v[196:197], v[86:87] op_sel_hi:[0,1,1]
	v_dot4c_i32_i8_e32 v51, v156, v10
	v_dot4c_i32_i8_e32 v53, v137, v5
	v_pk_fma_f32 v[84:85], v[192:193], v[194:195], v[84:85]
	v_pk_mul_f32 v[86:87], v[86:87], v[98:99]
	v_dot4c_i32_i8_e32 v51, v157, v11
	v_dot4c_i32_i8_e32 v53, v166, v6
	v_pk_fma_f32 v[84:85], v[84:85], v[96:97], v[86:87] neg_lo:[0,0,1] neg_hi:[0,0,1]
	v_dot4c_i32_i8_e32 v53, v167, v7
	v_mul_lo_u32 v51, v51, v163
	v_pk_add_f32 v[30:31], v[30:31], v[84:85]
	v_dot4c_i32_i8_e32 v53, v170, v0
	v_cvt_f32_i32_e32 v85, v51
	v_mul_lo_u32 v51, v67, v251
	v_dot4c_i32_i8_e32 v53, v171, v1
	v_cvt_f32_i32_e32 v192, v51
	v_mov_b32_e32 v51, 0
	v_dot4c_i32_i8_e32 v53, v174, v2
	v_dot4c_i32_i8_e32 v51, v126, v12
	;; [unrolled: 1-line block ×3, first 2 shown]
	v_mul_lo_u32 v65, v65, v163
	v_dot4c_i32_i8_e32 v51, v127, v13
	v_cvt_f32_i32_e32 v84, v65
	v_mul_lo_u32 v53, v53, v251
	v_dot4c_i32_i8_e32 v51, v142, v14
	v_cvt_f32_i32_e32 v193, v53
	v_dot4c_i32_i8_e32 v51, v143, v15
	v_dot4c_i32_i8_e32 v51, v148, v8
	v_pk_fma_f32 v[86:87], v[132:133], v[200:201], 0 op_sel_hi:[0,1,0]
	v_dot4c_i32_i8_e32 v51, v149, v9
	v_pk_fma_f32 v[84:85], v[84:85], v[198:199], 0 op_sel_hi:[1,1,0]
	v_pk_fma_f32 v[86:87], v[162:163], v[196:197], v[86:87] op_sel_hi:[0,1,1]
	v_dot4c_i32_i8_e32 v51, v154, v10
	v_pk_fma_f32 v[84:85], v[192:193], v[194:195], v[84:85]
	v_pk_mul_f32 v[86:87], v[86:87], v[102:103]
	v_dot4c_i32_i8_e32 v51, v155, v11
	v_pk_fma_f32 v[84:85], v[84:85], v[100:101], v[86:87] neg_lo:[0,0,1] neg_hi:[0,0,1]
	v_pk_add_f32 v[28:29], v[28:29], v[84:85]
	v_mov_b32_e32 v53, 0
	v_mul_lo_u32 v51, v51, v139
	v_cvt_f32_i32_e32 v85, v51
	v_mul_lo_u32 v51, v71, v250
	v_cvt_f32_i32_e32 v192, v51
	v_mov_b32_e32 v51, 0
	v_dot4c_i32_i8_e32 v51, v124, v12
	v_dot4c_i32_i8_e32 v51, v125, v13
	v_dot4c_i32_i8_e32 v51, v140, v14
	v_dot4c_i32_i8_e32 v51, v141, v15
	v_dot4c_i32_i8_e32 v51, v144, v8
	v_mov_b32_e32 v8, 0
	v_dot4c_i32_i8_e32 v8, v122, v4
	v_dot4c_i32_i8_e32 v8, v123, v5
	;; [unrolled: 1-line block ×17, first 2 shown]
	v_mul_lo_u32 v0, v73, v133
	v_mul_lo_u32 v1, v51, v133
	v_cvt_f32_i32_e32 v1, v1
	v_cvt_f32_i32_e32 v0, v0
	v_mul_lo_u32 v4, v253, v131
	v_mul_lo_u32 v5, v8, v131
	v_cvt_f32_i32_e32 v5, v5
	v_cvt_f32_i32_e32 v4, v4
	v_dot4c_i32_i8_e32 v53, v172, v2
	v_dot4c_i32_i8_e32 v53, v173, v3
	v_mul_lo_u32 v65, v69, v139
	v_pk_fma_f32 v[2:3], v[114:115], v[200:201], 0 op_sel_hi:[0,1,0]
	v_cvt_f32_i32_e32 v84, v65
	v_mul_lo_u32 v53, v53, v250
	v_pk_fma_f32 v[0:1], v[0:1], v[198:199], 0 op_sel_hi:[1,1,0]
	v_pk_fma_f32 v[2:3], v[112:113], v[196:197], v[2:3] op_sel_hi:[0,1,1]
	v_cvt_f32_i32_e32 v193, v53
	v_pk_fma_f32 v[0:1], v[4:5], v[194:195], v[0:1]
	v_pk_mul_f32 v[2:3], v[2:3], v[110:111]
	v_pk_fma_f32 v[0:1], v[0:1], v[108:109], v[2:3] neg_lo:[0,0,1] neg_hi:[0,0,1]
	v_pk_add_f32 v[24:25], v[24:25], v[0:1]
	v_or_b32_e32 v0, s5, v223
	v_pk_fma_f32 v[84:85], v[84:85], v[198:199], 0 op_sel_hi:[1,1,0]
	v_lshlrev_b32_e32 v1, 2, v0
	v_pk_fma_f32 v[84:85], v[192:193], v[194:195], v[84:85]
	v_lshrrev_b32_e32 v51, 1, v0
	ds_read_b128 v[12:15], v1 offset:33280
	ds_read_b128 v[8:11], v1 offset:33296
	;; [unrolled: 1-line block ×4, first 2 shown]
	ds_read_b64 v[192:193], v51 offset:43584
	v_mov_b32_e32 v51, 0
	v_mov_b32_e32 v53, 0
	;; [unrolled: 1-line block ×8, first 2 shown]
	s_waitcnt lgkmcnt(4)
	v_dot4c_i32_i8_e32 v51, v176, v12
	s_waitcnt lgkmcnt(2)
	v_dot4c_i32_i8_e32 v53, v158, v4
	v_dot4c_i32_i8_e32 v65, v128, v12
	;; [unrolled: 1-line block ×23, first 2 shown]
	v_pk_fma_f32 v[86:87], v[130:131], v[200:201], 0 op_sel_hi:[0,1,0]
	v_dot4c_i32_i8_e32 v51, v179, v15
	v_dot4c_i32_i8_e32 v53, v187, v7
	;; [unrolled: 1-line block ×8, first 2 shown]
	v_pk_fma_f32 v[86:87], v[160:161], v[196:197], v[86:87] op_sel_hi:[0,1,1]
	v_dot4c_i32_i8_e32 v51, v180, v8
	s_waitcnt lgkmcnt(1)
	v_dot4c_i32_i8_e32 v53, v188, v0
	v_dot4c_i32_i8_e32 v65, v152, v8
	v_dot4c_i32_i8_e32 v67, v170, v0
	v_dot4c_i32_i8_e32 v69, v148, v8
	v_dot4c_i32_i8_e32 v71, v168, v0
	v_dot4c_i32_i8_e32 v195, v144, v8
	v_dot4c_i32_i8_e32 v194, v118, v0
	v_pk_mul_f32 v[86:87], v[86:87], v[106:107]
	v_dot4c_i32_i8_e32 v51, v181, v9
	v_dot4c_i32_i8_e32 v53, v189, v1
	v_dot4c_i32_i8_e32 v65, v153, v9
	v_dot4c_i32_i8_e32 v67, v171, v1
	v_dot4c_i32_i8_e32 v69, v149, v9
	v_dot4c_i32_i8_e32 v71, v169, v1
	v_dot4c_i32_i8_e32 v195, v145, v9
	v_dot4c_i32_i8_e32 v194, v119, v1
	v_or_b32_e32 v0, s5, v226
	v_pk_fma_f32 v[84:85], v[84:85], v[104:105], v[86:87] neg_lo:[0,0,1] neg_hi:[0,0,1]
	v_dot4c_i32_i8_e32 v51, v182, v10
	v_dot4c_i32_i8_e32 v53, v190, v2
	;; [unrolled: 1-line block ×8, first 2 shown]
	v_lshlrev_b32_e32 v1, 2, v0
	v_lshrrev_b32_e32 v73, 1, v0
	v_pk_add_f32 v[26:27], v[26:27], v[84:85]
	v_dot4c_i32_i8_e32 v51, v183, v11
	v_dot4c_i32_i8_e32 v53, v191, v3
	v_dot4c_i32_i8_e32 v65, v157, v11
	v_dot4c_i32_i8_e32 v67, v175, v3
	v_dot4c_i32_i8_e32 v69, v155, v11
	v_dot4c_i32_i8_e32 v71, v173, v3
	v_dot4c_i32_i8_e32 v195, v151, v11
	v_dot4c_i32_i8_e32 v194, v121, v3
	ds_read_b128 v[12:15], v1 offset:33280
	ds_read_b128 v[8:11], v1 offset:33296
	;; [unrolled: 1-line block ×4, first 2 shown]
	ds_read_b64 v[84:85], v73 offset:43584
	v_mov_b32_e32 v73, 0
	s_waitcnt lgkmcnt(4)
	v_dot4c_i32_i8_e32 v73, v176, v12
	v_dot4c_i32_i8_e32 v73, v177, v13
	;; [unrolled: 1-line block ×4, first 2 shown]
	s_waitcnt lgkmcnt(3)
	v_dot4c_i32_i8_e32 v73, v180, v8
	v_dot4c_i32_i8_e32 v73, v181, v9
	;; [unrolled: 1-line block ×3, first 2 shown]
	v_mov_b32_e32 v182, 0
	s_waitcnt lgkmcnt(2)
	v_dot4c_i32_i8_e32 v182, v158, v4
	v_dot4c_i32_i8_e32 v182, v159, v5
	;; [unrolled: 1-line block ×4, first 2 shown]
	s_waitcnt lgkmcnt(1)
	v_dot4c_i32_i8_e32 v182, v188, v0
	v_dot4c_i32_i8_e32 v182, v189, v1
	;; [unrolled: 1-line block ×3, first 2 shown]
	v_mul_lo_u32 v51, v51, v249
	v_dot4c_i32_i8_e32 v182, v191, v3
	s_waitcnt lgkmcnt(0)
	v_cvt_f32_f16_e32 v181, v84
	v_cvt_f32_f16_sdwa v179, v84 dst_sel:DWORD dst_unused:UNUSED_PAD src0_sel:WORD_1
	v_cvt_f32_i32_e32 v84, v51
	v_mul_lo_u32 v51, v53, v252
	v_mul_lo_u32 v53, v182, v252
	v_cvt_f32_i32_e32 v182, v51
	v_mov_b32_e32 v51, 0
	v_dot4c_i32_i8_e32 v73, v183, v11
	v_dot4c_i32_i8_e32 v51, v128, v12
	v_cvt_f32_f16_sdwa v178, v192 dst_sel:DWORD dst_unused:UNUSED_PAD src0_sel:WORD_1
	v_cvt_f32_i32_e32 v183, v53
	v_mul_lo_u32 v73, v73, v249
	v_dot4c_i32_i8_e32 v51, v129, v13
	v_mov_b32_e32 v53, 0
	v_cvt_f32_f16_e32 v180, v192
	v_cvt_f32_f16_e32 v177, v85
	v_cvt_f32_f16_sdwa v159, v85 dst_sel:DWORD dst_unused:UNUSED_PAD src0_sel:WORD_1
	v_cvt_f32_f16_sdwa v158, v193 dst_sel:DWORD dst_unused:UNUSED_PAD src0_sel:WORD_1
	v_cvt_f32_i32_e32 v85, v73
	v_dot4c_i32_i8_e32 v51, v146, v14
	v_dot4c_i32_i8_e32 v53, v136, v4
	v_cvt_f32_f16_e32 v176, v193
	v_dot4c_i32_i8_e32 v51, v147, v15
	v_dot4c_i32_i8_e32 v53, v137, v5
	;; [unrolled: 1-line block ×4, first 2 shown]
	v_pk_fma_f32 v[86:87], v[138:139], v[178:179], 0 op_sel_hi:[0,1,0]
	v_dot4c_i32_i8_e32 v51, v153, v9
	v_dot4c_i32_i8_e32 v53, v167, v7
	v_pk_fma_f32 v[84:85], v[84:85], v[180:181], 0 op_sel_hi:[1,1,0]
	v_pk_fma_f32 v[86:87], v[184:185], v[158:159], v[86:87] op_sel_hi:[0,1,1]
	v_dot4c_i32_i8_e32 v51, v156, v10
	v_dot4c_i32_i8_e32 v53, v170, v0
	v_pk_fma_f32 v[84:85], v[182:183], v[176:177], v[84:85]
	v_pk_mul_f32 v[86:87], v[86:87], v[98:99]
	v_dot4c_i32_i8_e32 v51, v157, v11
	v_dot4c_i32_i8_e32 v53, v171, v1
	v_pk_fma_f32 v[84:85], v[84:85], v[96:97], v[86:87] neg_lo:[0,0,1] neg_hi:[0,0,1]
	v_dot4c_i32_i8_e32 v53, v174, v2
	v_mul_lo_u32 v51, v51, v163
	v_pk_add_f32 v[22:23], v[22:23], v[84:85]
	v_dot4c_i32_i8_e32 v53, v175, v3
	v_cvt_f32_i32_e32 v85, v51
	v_mul_lo_u32 v51, v67, v251
	v_cvt_f32_i32_e32 v128, v51
	v_mul_lo_u32 v53, v53, v251
	v_mov_b32_e32 v51, 0
	v_cvt_f32_i32_e32 v129, v53
	v_dot4c_i32_i8_e32 v51, v126, v12
	v_mov_b32_e32 v53, 0
	v_mul_lo_u32 v65, v65, v163
	v_dot4c_i32_i8_e32 v51, v127, v13
	v_dot4c_i32_i8_e32 v53, v134, v4
	v_cvt_f32_i32_e32 v84, v65
	v_dot4c_i32_i8_e32 v51, v142, v14
	v_dot4c_i32_i8_e32 v53, v135, v5
	;; [unrolled: 1-line block ×6, first 2 shown]
	v_pk_fma_f32 v[86:87], v[132:133], v[178:179], 0 op_sel_hi:[0,1,0]
	v_dot4c_i32_i8_e32 v51, v149, v9
	v_dot4c_i32_i8_e32 v53, v168, v0
	v_pk_fma_f32 v[84:85], v[84:85], v[180:181], 0 op_sel_hi:[1,1,0]
	v_pk_fma_f32 v[86:87], v[162:163], v[158:159], v[86:87] op_sel_hi:[0,1,1]
	v_dot4c_i32_i8_e32 v51, v154, v10
	v_dot4c_i32_i8_e32 v53, v169, v1
	v_pk_fma_f32 v[84:85], v[128:129], v[176:177], v[84:85]
	v_pk_mul_f32 v[86:87], v[86:87], v[102:103]
	v_dot4c_i32_i8_e32 v51, v155, v11
	v_dot4c_i32_i8_e32 v53, v172, v2
	v_pk_fma_f32 v[84:85], v[84:85], v[100:101], v[86:87] neg_lo:[0,0,1] neg_hi:[0,0,1]
	v_dot4c_i32_i8_e32 v53, v173, v3
	v_mul_lo_u32 v65, v69, v139
	v_mul_lo_u32 v51, v51, v139
	v_pk_add_f32 v[20:21], v[20:21], v[84:85]
	v_cvt_f32_i32_e32 v85, v51
	v_cvt_f32_i32_e32 v84, v65
	v_mul_lo_u32 v51, v71, v250
	v_mul_lo_u32 v53, v53, v250
	v_cvt_f32_i32_e32 v127, v53
	v_cvt_f32_i32_e32 v126, v51
	v_pk_fma_f32 v[84:85], v[84:85], v[180:181], 0 op_sel_hi:[1,1,0]
	v_pk_fma_f32 v[86:87], v[130:131], v[178:179], 0 op_sel_hi:[0,1,0]
	;; [unrolled: 1-line block ×3, first 2 shown]
	v_pk_fma_f32 v[84:85], v[126:127], v[176:177], v[84:85]
	v_mov_b32_e32 v126, 0
	v_dot4c_i32_i8_e32 v126, v124, v12
	v_dot4c_i32_i8_e32 v126, v125, v13
	;; [unrolled: 1-line block ×5, first 2 shown]
	v_mov_b32_e32 v8, 0
	v_dot4c_i32_i8_e32 v8, v122, v4
	v_dot4c_i32_i8_e32 v8, v123, v5
	;; [unrolled: 1-line block ×11, first 2 shown]
	v_mul_lo_u32 v0, v195, v133
	v_mul_lo_u32 v1, v126, v133
	v_cvt_f32_i32_e32 v1, v1
	v_cvt_f32_i32_e32 v0, v0
	v_mul_lo_u32 v4, v194, v131
	v_mul_lo_u32 v5, v8, v131
	v_cvt_f32_i32_e32 v5, v5
	v_cvt_f32_i32_e32 v4, v4
	v_pk_fma_f32 v[2:3], v[114:115], v[178:179], 0 op_sel_hi:[0,1,0]
	v_pk_fma_f32 v[0:1], v[0:1], v[180:181], 0 op_sel_hi:[1,1,0]
	;; [unrolled: 1-line block ×3, first 2 shown]
	v_pk_mul_f32 v[86:87], v[86:87], v[106:107]
	v_pk_fma_f32 v[0:1], v[4:5], v[176:177], v[0:1]
	v_pk_mul_f32 v[2:3], v[2:3], v[110:111]
	v_pk_fma_f32 v[84:85], v[84:85], v[104:105], v[86:87] neg_lo:[0,0,1] neg_hi:[0,0,1]
	v_pk_fma_f32 v[0:1], v[0:1], v[108:109], v[2:3] neg_lo:[0,0,1] neg_hi:[0,0,1]
	s_add_i32 s5, s4, 8
	v_pk_add_f32 v[18:19], v[18:19], v[84:85]
	v_pk_add_f32 v[16:17], v[16:17], v[0:1]
	s_cmp_lt_u32 s4, 24
	s_mov_b32 s4, s5
	s_cbranch_scc1 .LBB173_8
; %bb.9:                                ;   in Loop: Header=BB173_5 Depth=1
	s_add_i32 s0, s0, 1
	s_cmp_eq_u32 s0, s7
	s_barrier
	s_cbranch_scc0 .LBB173_5
; %bb.10:
	buffer_load_dword v1, off, s[24:27], 0 offset:24 ; 4-byte Folded Reload
	buffer_load_dword v2, off, s[24:27], 0 offset:28 ; 4-byte Folded Reload
.LBB173_11:
	s_waitcnt vmcnt(0)
	v_cmp_gt_u32_e32 vcc, s8, v2
	s_and_saveexec_b64 s[0:1], vcc
	s_cbranch_execz .LBB173_62
; %bb.12:
	v_add_u32_e32 v0, s6, v49
	v_mul_lo_u32 v5, v2, s10
	v_cmp_gt_u32_e32 vcc, s10, v0
	s_and_saveexec_b64 s[2:3], vcc
	s_cbranch_execz .LBB173_14
; %bb.13:
	v_bfe_u32 v2, v46, 16, 1
	s_movk_i32 s0, 0x7fff
	v_add3_u32 v2, v46, v2, s0
	v_lshrrev_b32_e32 v2, 16, v2
	v_mov_b32_e32 v3, 0x7fc0
	v_cmp_o_f32_e64 s[0:1], v46, v46
	v_cndmask_b32_e64 v4, v3, v2, s[0:1]
	v_add_u32_e32 v2, v0, v5
	v_mov_b32_e32 v3, 0
	v_lshlrev_b64 v[2:3], 1, v[2:3]
	s_waitcnt lgkmcnt(0)
	v_mov_b32_e32 v6, s13
	v_add_co_u32_e64 v2, s[0:1], s12, v2
	v_addc_co_u32_e64 v3, s[0:1], v6, v3, s[0:1]
	global_store_short v[2:3], v4, off
.LBB173_14:
	s_or_b64 exec, exec, s[2:3]
	v_add_u32_e32 v2, 32, v0
	v_cmp_gt_u32_e64 s[0:1], s10, v2
	s_and_saveexec_b64 s[4:5], s[0:1]
	s_cbranch_execz .LBB173_16
; %bb.15:
	v_bfe_u32 v3, v44, 16, 1
	s_movk_i32 s2, 0x7fff
	v_add3_u32 v3, v44, v3, s2
	v_add_u32_e32 v6, v2, v5
	v_mov_b32_e32 v7, 0
	v_lshrrev_b32_e32 v3, 16, v3
	v_mov_b32_e32 v4, 0x7fc0
	v_cmp_o_f32_e64 s[2:3], v44, v44
	v_lshlrev_b64 v[6:7], 1, v[6:7]
	v_cndmask_b32_e64 v3, v4, v3, s[2:3]
	s_waitcnt lgkmcnt(0)
	v_mov_b32_e32 v4, s13
	v_add_co_u32_e64 v6, s[2:3], s12, v6
	v_addc_co_u32_e64 v7, s[2:3], v4, v7, s[2:3]
	global_store_short v[6:7], v3, off
.LBB173_16:
	s_or_b64 exec, exec, s[4:5]
	v_add_u32_e32 v3, 64, v0
	v_cmp_gt_u32_e64 s[2:3], s10, v3
	s_and_saveexec_b64 s[6:7], s[2:3]
	s_cbranch_execz .LBB173_18
; %bb.17:
	v_bfe_u32 v4, v42, 16, 1
	s_movk_i32 s4, 0x7fff
	v_add3_u32 v4, v42, v4, s4
	v_lshrrev_b32_e32 v4, 16, v4
	v_mov_b32_e32 v6, 0x7fc0
	v_cmp_o_f32_e64 s[4:5], v42, v42
	v_cndmask_b32_e64 v4, v6, v4, s[4:5]
	v_add_u32_e32 v6, v3, v5
	v_mov_b32_e32 v7, 0
	v_lshlrev_b64 v[6:7], 1, v[6:7]
	s_waitcnt lgkmcnt(0)
	v_mov_b32_e32 v8, s13
	v_add_co_u32_e64 v6, s[4:5], s12, v6
	v_addc_co_u32_e64 v7, s[4:5], v8, v7, s[4:5]
	global_store_short v[6:7], v4, off
.LBB173_18:
	s_or_b64 exec, exec, s[6:7]
	v_add_u32_e32 v4, 0x60, v0
	v_cmp_gt_u32_e64 s[4:5], s10, v4
	s_and_saveexec_b64 s[14:15], s[4:5]
	s_cbranch_execz .LBB173_20
; %bb.19:
	v_bfe_u32 v6, v40, 16, 1
	s_movk_i32 s6, 0x7fff
	v_add3_u32 v6, v40, v6, s6
	v_lshrrev_b32_e32 v6, 16, v6
	v_mov_b32_e32 v7, 0x7fc0
	v_cmp_o_f32_e64 s[6:7], v40, v40
	v_cndmask_b32_e64 v8, v7, v6, s[6:7]
	v_add_u32_e32 v6, v4, v5
	v_mov_b32_e32 v7, 0
	v_lshlrev_b64 v[6:7], 1, v[6:7]
	s_waitcnt lgkmcnt(0)
	v_mov_b32_e32 v5, s13
	v_add_co_u32_e64 v6, s[6:7], s12, v6
	v_addc_co_u32_e64 v7, s[6:7], v5, v7, s[6:7]
	global_store_short v[6:7], v8, off
.LBB173_20:
	s_or_b64 exec, exec, s[14:15]
	v_add3_u32 v5, v1, s11, 8
	v_cmp_gt_u32_e64 s[6:7], s8, v5
	s_and_b64 exec, exec, s[6:7]
	s_cbranch_execz .LBB173_62
; %bb.21:
	v_mul_lo_u32 v5, v5, s10
	s_and_saveexec_b64 s[14:15], vcc
	s_cbranch_execnz .LBB173_63
; %bb.22:
	s_or_b64 exec, exec, s[14:15]
	s_and_saveexec_b64 s[14:15], s[0:1]
	s_cbranch_execnz .LBB173_64
.LBB173_23:
	s_or_b64 exec, exec, s[14:15]
	s_and_saveexec_b64 s[14:15], s[2:3]
	s_cbranch_execnz .LBB173_65
.LBB173_24:
	s_or_b64 exec, exec, s[14:15]
	s_and_saveexec_b64 s[14:15], s[4:5]
	s_cbranch_execz .LBB173_26
.LBB173_25:
	v_bfe_u32 v6, v41, 16, 1
	s_movk_i32 s6, 0x7fff
	v_add3_u32 v6, v41, v6, s6
	v_lshrrev_b32_e32 v6, 16, v6
	v_mov_b32_e32 v7, 0x7fc0
	v_cmp_o_f32_e64 s[6:7], v41, v41
	v_cndmask_b32_e64 v8, v7, v6, s[6:7]
	v_add_u32_e32 v6, v5, v4
	v_mov_b32_e32 v7, 0
	v_lshlrev_b64 v[6:7], 1, v[6:7]
	s_waitcnt lgkmcnt(0)
	v_mov_b32_e32 v5, s13
	v_add_co_u32_e64 v6, s[6:7], s12, v6
	v_addc_co_u32_e64 v7, s[6:7], v5, v7, s[6:7]
	global_store_short v[6:7], v8, off
.LBB173_26:
	s_or_b64 exec, exec, s[14:15]
	v_add3_u32 v5, v1, s11, 16
	v_cmp_gt_u32_e64 s[6:7], s8, v5
	s_and_b64 exec, exec, s[6:7]
	s_cbranch_execz .LBB173_62
; %bb.27:
	v_mul_lo_u32 v5, v5, s10
	s_and_saveexec_b64 s[14:15], vcc
	s_cbranch_execnz .LBB173_66
; %bb.28:
	s_or_b64 exec, exec, s[14:15]
	s_and_saveexec_b64 s[14:15], s[0:1]
	s_cbranch_execnz .LBB173_67
.LBB173_29:
	s_or_b64 exec, exec, s[14:15]
	s_and_saveexec_b64 s[14:15], s[2:3]
	s_cbranch_execnz .LBB173_68
.LBB173_30:
	s_or_b64 exec, exec, s[14:15]
	s_and_saveexec_b64 s[14:15], s[4:5]
	s_cbranch_execz .LBB173_32
.LBB173_31:
	v_bfe_u32 v6, v32, 16, 1
	s_movk_i32 s6, 0x7fff
	v_add3_u32 v6, v32, v6, s6
	v_lshrrev_b32_e32 v6, 16, v6
	v_mov_b32_e32 v7, 0x7fc0
	v_cmp_o_f32_e64 s[6:7], v32, v32
	v_cndmask_b32_e64 v8, v7, v6, s[6:7]
	v_add_u32_e32 v6, v5, v4
	v_mov_b32_e32 v7, 0
	v_lshlrev_b64 v[6:7], 1, v[6:7]
	s_waitcnt lgkmcnt(0)
	v_mov_b32_e32 v5, s13
	v_add_co_u32_e64 v6, s[6:7], s12, v6
	v_addc_co_u32_e64 v7, s[6:7], v5, v7, s[6:7]
	global_store_short v[6:7], v8, off
.LBB173_32:
	s_or_b64 exec, exec, s[14:15]
	v_add3_u32 v5, v1, s11, 24
	v_cmp_gt_u32_e64 s[6:7], s8, v5
	s_and_b64 exec, exec, s[6:7]
	s_cbranch_execz .LBB173_62
; %bb.33:
	v_mul_lo_u32 v5, v5, s10
	s_and_saveexec_b64 s[14:15], vcc
	s_cbranch_execnz .LBB173_69
; %bb.34:
	s_or_b64 exec, exec, s[14:15]
	s_and_saveexec_b64 s[14:15], s[0:1]
	s_cbranch_execnz .LBB173_70
.LBB173_35:
	s_or_b64 exec, exec, s[14:15]
	s_and_saveexec_b64 s[14:15], s[2:3]
	s_cbranch_execnz .LBB173_71
.LBB173_36:
	s_or_b64 exec, exec, s[14:15]
	s_and_saveexec_b64 s[14:15], s[4:5]
	s_cbranch_execz .LBB173_38
.LBB173_37:
	v_bfe_u32 v6, v33, 16, 1
	s_movk_i32 s6, 0x7fff
	v_add3_u32 v6, v33, v6, s6
	v_lshrrev_b32_e32 v6, 16, v6
	v_mov_b32_e32 v7, 0x7fc0
	v_cmp_o_f32_e64 s[6:7], v33, v33
	v_cndmask_b32_e64 v8, v7, v6, s[6:7]
	v_add_u32_e32 v6, v5, v4
	v_mov_b32_e32 v7, 0
	v_lshlrev_b64 v[6:7], 1, v[6:7]
	s_waitcnt lgkmcnt(0)
	v_mov_b32_e32 v5, s13
	v_add_co_u32_e64 v6, s[6:7], s12, v6
	v_addc_co_u32_e64 v7, s[6:7], v5, v7, s[6:7]
	global_store_short v[6:7], v8, off
.LBB173_38:
	s_or_b64 exec, exec, s[14:15]
	v_add3_u32 v5, v1, s11, 32
	v_cmp_gt_u32_e64 s[6:7], s8, v5
	s_and_b64 exec, exec, s[6:7]
	s_cbranch_execz .LBB173_62
; %bb.39:
	v_mul_lo_u32 v5, v5, s10
	s_and_saveexec_b64 s[14:15], vcc
	s_cbranch_execnz .LBB173_72
; %bb.40:
	s_or_b64 exec, exec, s[14:15]
	s_and_saveexec_b64 s[14:15], s[0:1]
	s_cbranch_execnz .LBB173_73
.LBB173_41:
	s_or_b64 exec, exec, s[14:15]
	s_and_saveexec_b64 s[14:15], s[2:3]
	s_cbranch_execnz .LBB173_74
.LBB173_42:
	s_or_b64 exec, exec, s[14:15]
	s_and_saveexec_b64 s[14:15], s[4:5]
	s_cbranch_execz .LBB173_44
.LBB173_43:
	v_bfe_u32 v6, v24, 16, 1
	s_movk_i32 s6, 0x7fff
	v_add3_u32 v6, v24, v6, s6
	v_lshrrev_b32_e32 v6, 16, v6
	v_mov_b32_e32 v7, 0x7fc0
	v_cmp_o_f32_e64 s[6:7], v24, v24
	v_cndmask_b32_e64 v8, v7, v6, s[6:7]
	v_add_u32_e32 v6, v5, v4
	v_mov_b32_e32 v7, 0
	v_lshlrev_b64 v[6:7], 1, v[6:7]
	s_waitcnt lgkmcnt(0)
	v_mov_b32_e32 v5, s13
	v_add_co_u32_e64 v6, s[6:7], s12, v6
	v_addc_co_u32_e64 v7, s[6:7], v5, v7, s[6:7]
	global_store_short v[6:7], v8, off
.LBB173_44:
	s_or_b64 exec, exec, s[14:15]
	v_add3_u32 v5, v1, s11, 40
	v_cmp_gt_u32_e64 s[6:7], s8, v5
	s_and_b64 exec, exec, s[6:7]
	s_cbranch_execz .LBB173_62
; %bb.45:
	v_mul_lo_u32 v5, v5, s10
	s_and_saveexec_b64 s[14:15], vcc
	s_cbranch_execnz .LBB173_75
; %bb.46:
	s_or_b64 exec, exec, s[14:15]
	s_and_saveexec_b64 s[14:15], s[0:1]
	s_cbranch_execnz .LBB173_76
.LBB173_47:
	s_or_b64 exec, exec, s[14:15]
	s_and_saveexec_b64 s[14:15], s[2:3]
	s_cbranch_execnz .LBB173_77
.LBB173_48:
	s_or_b64 exec, exec, s[14:15]
	s_and_saveexec_b64 s[14:15], s[4:5]
	s_cbranch_execz .LBB173_50
.LBB173_49:
	v_bfe_u32 v6, v25, 16, 1
	s_movk_i32 s6, 0x7fff
	v_add3_u32 v6, v25, v6, s6
	v_lshrrev_b32_e32 v6, 16, v6
	v_mov_b32_e32 v7, 0x7fc0
	v_cmp_o_f32_e64 s[6:7], v25, v25
	v_cndmask_b32_e64 v8, v7, v6, s[6:7]
	v_add_u32_e32 v6, v5, v4
	v_mov_b32_e32 v7, 0
	v_lshlrev_b64 v[6:7], 1, v[6:7]
	s_waitcnt lgkmcnt(0)
	v_mov_b32_e32 v5, s13
	v_add_co_u32_e64 v6, s[6:7], s12, v6
	v_addc_co_u32_e64 v7, s[6:7], v5, v7, s[6:7]
	global_store_short v[6:7], v8, off
.LBB173_50:
	s_or_b64 exec, exec, s[14:15]
	v_add3_u32 v5, v1, s11, 48
	v_cmp_gt_u32_e64 s[6:7], s8, v5
	s_and_b64 exec, exec, s[6:7]
	s_cbranch_execz .LBB173_62
; %bb.51:
	v_mul_lo_u32 v5, v5, s10
	s_and_saveexec_b64 s[14:15], vcc
	s_cbranch_execnz .LBB173_78
; %bb.52:
	s_or_b64 exec, exec, s[14:15]
	s_and_saveexec_b64 s[14:15], s[0:1]
	s_cbranch_execnz .LBB173_79
.LBB173_53:
	s_or_b64 exec, exec, s[14:15]
	s_and_saveexec_b64 s[14:15], s[2:3]
	s_cbranch_execnz .LBB173_80
.LBB173_54:
	s_or_b64 exec, exec, s[14:15]
	s_and_saveexec_b64 s[14:15], s[4:5]
	s_cbranch_execz .LBB173_56
.LBB173_55:
	v_bfe_u32 v6, v16, 16, 1
	s_movk_i32 s6, 0x7fff
	v_add3_u32 v6, v16, v6, s6
	v_lshrrev_b32_e32 v6, 16, v6
	v_mov_b32_e32 v7, 0x7fc0
	v_cmp_o_f32_e64 s[6:7], v16, v16
	v_cndmask_b32_e64 v8, v7, v6, s[6:7]
	v_add_u32_e32 v6, v5, v4
	v_mov_b32_e32 v7, 0
	v_lshlrev_b64 v[6:7], 1, v[6:7]
	s_waitcnt lgkmcnt(0)
	v_mov_b32_e32 v5, s13
	v_add_co_u32_e64 v6, s[6:7], s12, v6
	v_addc_co_u32_e64 v7, s[6:7], v5, v7, s[6:7]
	global_store_short v[6:7], v8, off
.LBB173_56:
	s_or_b64 exec, exec, s[14:15]
	v_add3_u32 v1, v1, s11, 56
	v_cmp_gt_u32_e64 s[6:7], s8, v1
	s_and_b64 exec, exec, s[6:7]
	s_cbranch_execz .LBB173_62
; %bb.57:
	v_mul_lo_u32 v1, v1, s10
	s_and_saveexec_b64 s[6:7], vcc
	s_cbranch_execnz .LBB173_81
; %bb.58:
	s_or_b64 exec, exec, s[6:7]
	s_and_saveexec_b64 s[6:7], s[0:1]
	s_cbranch_execnz .LBB173_82
.LBB173_59:
	s_or_b64 exec, exec, s[6:7]
	s_and_saveexec_b64 s[0:1], s[2:3]
	s_cbranch_execnz .LBB173_83
.LBB173_60:
	s_or_b64 exec, exec, s[0:1]
	s_and_b64 exec, exec, s[4:5]
	s_cbranch_execz .LBB173_62
.LBB173_61:
	v_bfe_u32 v0, v17, 16, 1
	s_movk_i32 s0, 0x7fff
	v_add3_u32 v0, v17, v0, s0
	v_lshrrev_b32_e32 v0, 16, v0
	v_mov_b32_e32 v2, 0x7fc0
	v_cmp_o_f32_e32 vcc, v17, v17
	v_cndmask_b32_e32 v2, v2, v0, vcc
	v_add_u32_e32 v0, v1, v4
	v_mov_b32_e32 v1, 0
	v_lshlrev_b64 v[0:1], 1, v[0:1]
	s_waitcnt lgkmcnt(0)
	v_mov_b32_e32 v3, s13
	v_add_co_u32_e32 v0, vcc, s12, v0
	v_addc_co_u32_e32 v1, vcc, v3, v1, vcc
	global_store_short v[0:1], v2, off
.LBB173_62:
	s_endpgm
.LBB173_63:
	v_bfe_u32 v6, v47, 16, 1
	s_movk_i32 s6, 0x7fff
	v_add3_u32 v6, v47, v6, s6
	v_lshrrev_b32_e32 v6, 16, v6
	v_mov_b32_e32 v7, 0x7fc0
	v_cmp_o_f32_e64 s[6:7], v47, v47
	v_cndmask_b32_e64 v8, v7, v6, s[6:7]
	v_add_u32_e32 v6, v5, v0
	v_mov_b32_e32 v7, 0
	v_lshlrev_b64 v[6:7], 1, v[6:7]
	s_waitcnt lgkmcnt(0)
	v_mov_b32_e32 v9, s13
	v_add_co_u32_e64 v6, s[6:7], s12, v6
	v_addc_co_u32_e64 v7, s[6:7], v9, v7, s[6:7]
	global_store_short v[6:7], v8, off
	s_or_b64 exec, exec, s[14:15]
	s_and_saveexec_b64 s[14:15], s[0:1]
	s_cbranch_execz .LBB173_23
.LBB173_64:
	v_bfe_u32 v6, v45, 16, 1
	s_movk_i32 s6, 0x7fff
	v_add3_u32 v6, v45, v6, s6
	v_lshrrev_b32_e32 v6, 16, v6
	v_mov_b32_e32 v7, 0x7fc0
	v_cmp_o_f32_e64 s[6:7], v45, v45
	v_cndmask_b32_e64 v8, v7, v6, s[6:7]
	v_add_u32_e32 v6, v5, v2
	v_mov_b32_e32 v7, 0
	v_lshlrev_b64 v[6:7], 1, v[6:7]
	s_waitcnt lgkmcnt(0)
	v_mov_b32_e32 v9, s13
	v_add_co_u32_e64 v6, s[6:7], s12, v6
	v_addc_co_u32_e64 v7, s[6:7], v9, v7, s[6:7]
	global_store_short v[6:7], v8, off
	s_or_b64 exec, exec, s[14:15]
	s_and_saveexec_b64 s[14:15], s[2:3]
	s_cbranch_execz .LBB173_24
.LBB173_65:
	v_bfe_u32 v6, v43, 16, 1
	s_movk_i32 s6, 0x7fff
	v_add3_u32 v6, v43, v6, s6
	v_lshrrev_b32_e32 v6, 16, v6
	v_mov_b32_e32 v7, 0x7fc0
	v_cmp_o_f32_e64 s[6:7], v43, v43
	v_cndmask_b32_e64 v8, v7, v6, s[6:7]
	v_add_u32_e32 v6, v5, v3
	v_mov_b32_e32 v7, 0
	v_lshlrev_b64 v[6:7], 1, v[6:7]
	s_waitcnt lgkmcnt(0)
	v_mov_b32_e32 v9, s13
	v_add_co_u32_e64 v6, s[6:7], s12, v6
	v_addc_co_u32_e64 v7, s[6:7], v9, v7, s[6:7]
	global_store_short v[6:7], v8, off
	s_or_b64 exec, exec, s[14:15]
	s_and_saveexec_b64 s[14:15], s[4:5]
	s_cbranch_execnz .LBB173_25
	s_branch .LBB173_26
.LBB173_66:
	v_bfe_u32 v6, v38, 16, 1
	s_movk_i32 s6, 0x7fff
	v_add3_u32 v6, v38, v6, s6
	v_lshrrev_b32_e32 v6, 16, v6
	v_mov_b32_e32 v7, 0x7fc0
	v_cmp_o_f32_e64 s[6:7], v38, v38
	v_cndmask_b32_e64 v8, v7, v6, s[6:7]
	v_add_u32_e32 v6, v5, v0
	v_mov_b32_e32 v7, 0
	v_lshlrev_b64 v[6:7], 1, v[6:7]
	s_waitcnt lgkmcnt(0)
	v_mov_b32_e32 v9, s13
	v_add_co_u32_e64 v6, s[6:7], s12, v6
	v_addc_co_u32_e64 v7, s[6:7], v9, v7, s[6:7]
	global_store_short v[6:7], v8, off
	s_or_b64 exec, exec, s[14:15]
	s_and_saveexec_b64 s[14:15], s[0:1]
	s_cbranch_execz .LBB173_29
.LBB173_67:
	v_bfe_u32 v6, v36, 16, 1
	s_movk_i32 s6, 0x7fff
	v_add3_u32 v6, v36, v6, s6
	v_lshrrev_b32_e32 v6, 16, v6
	v_mov_b32_e32 v7, 0x7fc0
	v_cmp_o_f32_e64 s[6:7], v36, v36
	v_cndmask_b32_e64 v8, v7, v6, s[6:7]
	v_add_u32_e32 v6, v5, v2
	v_mov_b32_e32 v7, 0
	v_lshlrev_b64 v[6:7], 1, v[6:7]
	s_waitcnt lgkmcnt(0)
	v_mov_b32_e32 v9, s13
	v_add_co_u32_e64 v6, s[6:7], s12, v6
	v_addc_co_u32_e64 v7, s[6:7], v9, v7, s[6:7]
	global_store_short v[6:7], v8, off
	s_or_b64 exec, exec, s[14:15]
	s_and_saveexec_b64 s[14:15], s[2:3]
	s_cbranch_execz .LBB173_30
.LBB173_68:
	v_bfe_u32 v6, v34, 16, 1
	s_movk_i32 s6, 0x7fff
	v_add3_u32 v6, v34, v6, s6
	v_lshrrev_b32_e32 v6, 16, v6
	v_mov_b32_e32 v7, 0x7fc0
	v_cmp_o_f32_e64 s[6:7], v34, v34
	v_cndmask_b32_e64 v8, v7, v6, s[6:7]
	v_add_u32_e32 v6, v5, v3
	v_mov_b32_e32 v7, 0
	v_lshlrev_b64 v[6:7], 1, v[6:7]
	s_waitcnt lgkmcnt(0)
	v_mov_b32_e32 v9, s13
	v_add_co_u32_e64 v6, s[6:7], s12, v6
	v_addc_co_u32_e64 v7, s[6:7], v9, v7, s[6:7]
	global_store_short v[6:7], v8, off
	s_or_b64 exec, exec, s[14:15]
	s_and_saveexec_b64 s[14:15], s[4:5]
	s_cbranch_execnz .LBB173_31
	s_branch .LBB173_32
.LBB173_69:
	v_bfe_u32 v6, v39, 16, 1
	s_movk_i32 s6, 0x7fff
	v_add3_u32 v6, v39, v6, s6
	v_lshrrev_b32_e32 v6, 16, v6
	v_mov_b32_e32 v7, 0x7fc0
	v_cmp_o_f32_e64 s[6:7], v39, v39
	v_cndmask_b32_e64 v8, v7, v6, s[6:7]
	v_add_u32_e32 v6, v5, v0
	v_mov_b32_e32 v7, 0
	v_lshlrev_b64 v[6:7], 1, v[6:7]
	s_waitcnt lgkmcnt(0)
	v_mov_b32_e32 v9, s13
	v_add_co_u32_e64 v6, s[6:7], s12, v6
	v_addc_co_u32_e64 v7, s[6:7], v9, v7, s[6:7]
	global_store_short v[6:7], v8, off
	s_or_b64 exec, exec, s[14:15]
	s_and_saveexec_b64 s[14:15], s[0:1]
	s_cbranch_execz .LBB173_35
.LBB173_70:
	v_bfe_u32 v6, v37, 16, 1
	s_movk_i32 s6, 0x7fff
	v_add3_u32 v6, v37, v6, s6
	v_lshrrev_b32_e32 v6, 16, v6
	v_mov_b32_e32 v7, 0x7fc0
	v_cmp_o_f32_e64 s[6:7], v37, v37
	v_cndmask_b32_e64 v8, v7, v6, s[6:7]
	v_add_u32_e32 v6, v5, v2
	v_mov_b32_e32 v7, 0
	v_lshlrev_b64 v[6:7], 1, v[6:7]
	s_waitcnt lgkmcnt(0)
	v_mov_b32_e32 v9, s13
	v_add_co_u32_e64 v6, s[6:7], s12, v6
	v_addc_co_u32_e64 v7, s[6:7], v9, v7, s[6:7]
	global_store_short v[6:7], v8, off
	s_or_b64 exec, exec, s[14:15]
	s_and_saveexec_b64 s[14:15], s[2:3]
	s_cbranch_execz .LBB173_36
.LBB173_71:
	v_bfe_u32 v6, v35, 16, 1
	s_movk_i32 s6, 0x7fff
	v_add3_u32 v6, v35, v6, s6
	v_lshrrev_b32_e32 v6, 16, v6
	v_mov_b32_e32 v7, 0x7fc0
	v_cmp_o_f32_e64 s[6:7], v35, v35
	v_cndmask_b32_e64 v8, v7, v6, s[6:7]
	v_add_u32_e32 v6, v5, v3
	v_mov_b32_e32 v7, 0
	v_lshlrev_b64 v[6:7], 1, v[6:7]
	s_waitcnt lgkmcnt(0)
	v_mov_b32_e32 v9, s13
	v_add_co_u32_e64 v6, s[6:7], s12, v6
	v_addc_co_u32_e64 v7, s[6:7], v9, v7, s[6:7]
	global_store_short v[6:7], v8, off
	s_or_b64 exec, exec, s[14:15]
	s_and_saveexec_b64 s[14:15], s[4:5]
	s_cbranch_execnz .LBB173_37
	s_branch .LBB173_38
.LBB173_72:
	v_bfe_u32 v6, v30, 16, 1
	s_movk_i32 s6, 0x7fff
	v_add3_u32 v6, v30, v6, s6
	v_lshrrev_b32_e32 v6, 16, v6
	v_mov_b32_e32 v7, 0x7fc0
	v_cmp_o_f32_e64 s[6:7], v30, v30
	v_cndmask_b32_e64 v8, v7, v6, s[6:7]
	v_add_u32_e32 v6, v5, v0
	v_mov_b32_e32 v7, 0
	v_lshlrev_b64 v[6:7], 1, v[6:7]
	s_waitcnt lgkmcnt(0)
	v_mov_b32_e32 v9, s13
	v_add_co_u32_e64 v6, s[6:7], s12, v6
	v_addc_co_u32_e64 v7, s[6:7], v9, v7, s[6:7]
	global_store_short v[6:7], v8, off
	s_or_b64 exec, exec, s[14:15]
	s_and_saveexec_b64 s[14:15], s[0:1]
	s_cbranch_execz .LBB173_41
.LBB173_73:
	v_bfe_u32 v6, v28, 16, 1
	s_movk_i32 s6, 0x7fff
	v_add3_u32 v6, v28, v6, s6
	v_lshrrev_b32_e32 v6, 16, v6
	v_mov_b32_e32 v7, 0x7fc0
	v_cmp_o_f32_e64 s[6:7], v28, v28
	v_cndmask_b32_e64 v8, v7, v6, s[6:7]
	v_add_u32_e32 v6, v5, v2
	v_mov_b32_e32 v7, 0
	v_lshlrev_b64 v[6:7], 1, v[6:7]
	s_waitcnt lgkmcnt(0)
	v_mov_b32_e32 v9, s13
	v_add_co_u32_e64 v6, s[6:7], s12, v6
	v_addc_co_u32_e64 v7, s[6:7], v9, v7, s[6:7]
	global_store_short v[6:7], v8, off
	s_or_b64 exec, exec, s[14:15]
	s_and_saveexec_b64 s[14:15], s[2:3]
	s_cbranch_execz .LBB173_42
.LBB173_74:
	v_bfe_u32 v6, v26, 16, 1
	s_movk_i32 s6, 0x7fff
	v_add3_u32 v6, v26, v6, s6
	v_lshrrev_b32_e32 v6, 16, v6
	v_mov_b32_e32 v7, 0x7fc0
	v_cmp_o_f32_e64 s[6:7], v26, v26
	v_cndmask_b32_e64 v8, v7, v6, s[6:7]
	v_add_u32_e32 v6, v5, v3
	v_mov_b32_e32 v7, 0
	v_lshlrev_b64 v[6:7], 1, v[6:7]
	s_waitcnt lgkmcnt(0)
	v_mov_b32_e32 v9, s13
	v_add_co_u32_e64 v6, s[6:7], s12, v6
	v_addc_co_u32_e64 v7, s[6:7], v9, v7, s[6:7]
	global_store_short v[6:7], v8, off
	s_or_b64 exec, exec, s[14:15]
	s_and_saveexec_b64 s[14:15], s[4:5]
	s_cbranch_execnz .LBB173_43
	s_branch .LBB173_44
.LBB173_75:
	v_bfe_u32 v6, v31, 16, 1
	s_movk_i32 s6, 0x7fff
	v_add3_u32 v6, v31, v6, s6
	v_lshrrev_b32_e32 v6, 16, v6
	v_mov_b32_e32 v7, 0x7fc0
	v_cmp_o_f32_e64 s[6:7], v31, v31
	v_cndmask_b32_e64 v8, v7, v6, s[6:7]
	v_add_u32_e32 v6, v5, v0
	v_mov_b32_e32 v7, 0
	v_lshlrev_b64 v[6:7], 1, v[6:7]
	s_waitcnt lgkmcnt(0)
	v_mov_b32_e32 v9, s13
	v_add_co_u32_e64 v6, s[6:7], s12, v6
	v_addc_co_u32_e64 v7, s[6:7], v9, v7, s[6:7]
	global_store_short v[6:7], v8, off
	s_or_b64 exec, exec, s[14:15]
	s_and_saveexec_b64 s[14:15], s[0:1]
	s_cbranch_execz .LBB173_47
.LBB173_76:
	v_bfe_u32 v6, v29, 16, 1
	s_movk_i32 s6, 0x7fff
	v_add3_u32 v6, v29, v6, s6
	v_lshrrev_b32_e32 v6, 16, v6
	v_mov_b32_e32 v7, 0x7fc0
	v_cmp_o_f32_e64 s[6:7], v29, v29
	v_cndmask_b32_e64 v8, v7, v6, s[6:7]
	v_add_u32_e32 v6, v5, v2
	v_mov_b32_e32 v7, 0
	v_lshlrev_b64 v[6:7], 1, v[6:7]
	s_waitcnt lgkmcnt(0)
	v_mov_b32_e32 v9, s13
	v_add_co_u32_e64 v6, s[6:7], s12, v6
	v_addc_co_u32_e64 v7, s[6:7], v9, v7, s[6:7]
	global_store_short v[6:7], v8, off
	s_or_b64 exec, exec, s[14:15]
	s_and_saveexec_b64 s[14:15], s[2:3]
	s_cbranch_execz .LBB173_48
.LBB173_77:
	v_bfe_u32 v6, v27, 16, 1
	s_movk_i32 s6, 0x7fff
	v_add3_u32 v6, v27, v6, s6
	v_lshrrev_b32_e32 v6, 16, v6
	v_mov_b32_e32 v7, 0x7fc0
	v_cmp_o_f32_e64 s[6:7], v27, v27
	v_cndmask_b32_e64 v8, v7, v6, s[6:7]
	v_add_u32_e32 v6, v5, v3
	v_mov_b32_e32 v7, 0
	v_lshlrev_b64 v[6:7], 1, v[6:7]
	s_waitcnt lgkmcnt(0)
	v_mov_b32_e32 v9, s13
	v_add_co_u32_e64 v6, s[6:7], s12, v6
	v_addc_co_u32_e64 v7, s[6:7], v9, v7, s[6:7]
	global_store_short v[6:7], v8, off
	s_or_b64 exec, exec, s[14:15]
	s_and_saveexec_b64 s[14:15], s[4:5]
	s_cbranch_execnz .LBB173_49
	s_branch .LBB173_50
.LBB173_78:
	v_bfe_u32 v6, v22, 16, 1
	s_movk_i32 s6, 0x7fff
	v_add3_u32 v6, v22, v6, s6
	v_lshrrev_b32_e32 v6, 16, v6
	v_mov_b32_e32 v7, 0x7fc0
	v_cmp_o_f32_e64 s[6:7], v22, v22
	v_cndmask_b32_e64 v8, v7, v6, s[6:7]
	v_add_u32_e32 v6, v5, v0
	v_mov_b32_e32 v7, 0
	v_lshlrev_b64 v[6:7], 1, v[6:7]
	s_waitcnt lgkmcnt(0)
	v_mov_b32_e32 v9, s13
	v_add_co_u32_e64 v6, s[6:7], s12, v6
	v_addc_co_u32_e64 v7, s[6:7], v9, v7, s[6:7]
	global_store_short v[6:7], v8, off
	s_or_b64 exec, exec, s[14:15]
	s_and_saveexec_b64 s[14:15], s[0:1]
	s_cbranch_execz .LBB173_53
.LBB173_79:
	v_bfe_u32 v6, v20, 16, 1
	s_movk_i32 s6, 0x7fff
	v_add3_u32 v6, v20, v6, s6
	v_lshrrev_b32_e32 v6, 16, v6
	v_mov_b32_e32 v7, 0x7fc0
	v_cmp_o_f32_e64 s[6:7], v20, v20
	v_cndmask_b32_e64 v8, v7, v6, s[6:7]
	v_add_u32_e32 v6, v5, v2
	v_mov_b32_e32 v7, 0
	v_lshlrev_b64 v[6:7], 1, v[6:7]
	s_waitcnt lgkmcnt(0)
	v_mov_b32_e32 v9, s13
	v_add_co_u32_e64 v6, s[6:7], s12, v6
	v_addc_co_u32_e64 v7, s[6:7], v9, v7, s[6:7]
	global_store_short v[6:7], v8, off
	s_or_b64 exec, exec, s[14:15]
	s_and_saveexec_b64 s[14:15], s[2:3]
	s_cbranch_execz .LBB173_54
.LBB173_80:
	v_bfe_u32 v6, v18, 16, 1
	s_movk_i32 s6, 0x7fff
	v_add3_u32 v6, v18, v6, s6
	v_lshrrev_b32_e32 v6, 16, v6
	v_mov_b32_e32 v7, 0x7fc0
	v_cmp_o_f32_e64 s[6:7], v18, v18
	v_cndmask_b32_e64 v8, v7, v6, s[6:7]
	v_add_u32_e32 v6, v5, v3
	v_mov_b32_e32 v7, 0
	v_lshlrev_b64 v[6:7], 1, v[6:7]
	s_waitcnt lgkmcnt(0)
	v_mov_b32_e32 v9, s13
	v_add_co_u32_e64 v6, s[6:7], s12, v6
	v_addc_co_u32_e64 v7, s[6:7], v9, v7, s[6:7]
	global_store_short v[6:7], v8, off
	s_or_b64 exec, exec, s[14:15]
	s_and_saveexec_b64 s[14:15], s[4:5]
	s_cbranch_execnz .LBB173_55
	s_branch .LBB173_56
.LBB173_81:
	v_bfe_u32 v5, v23, 16, 1
	s_movk_i32 s8, 0x7fff
	v_add3_u32 v5, v23, v5, s8
	v_lshrrev_b32_e32 v5, 16, v5
	v_mov_b32_e32 v6, 0x7fc0
	v_cmp_o_f32_e32 vcc, v23, v23
	v_cndmask_b32_e32 v5, v6, v5, vcc
	v_add_u32_e32 v6, v1, v0
	v_mov_b32_e32 v7, 0
	v_lshlrev_b64 v[6:7], 1, v[6:7]
	s_waitcnt lgkmcnt(0)
	v_mov_b32_e32 v0, s13
	v_add_co_u32_e32 v6, vcc, s12, v6
	v_addc_co_u32_e32 v7, vcc, v0, v7, vcc
	global_store_short v[6:7], v5, off
	s_or_b64 exec, exec, s[6:7]
	s_and_saveexec_b64 s[6:7], s[0:1]
	s_cbranch_execz .LBB173_59
.LBB173_82:
	v_bfe_u32 v0, v21, 16, 1
	s_movk_i32 s0, 0x7fff
	v_add3_u32 v0, v21, v0, s0
	v_add_u32_e32 v6, v1, v2
	v_mov_b32_e32 v7, 0
	v_lshrrev_b32_e32 v0, 16, v0
	v_mov_b32_e32 v5, 0x7fc0
	v_cmp_o_f32_e32 vcc, v21, v21
	v_lshlrev_b64 v[6:7], 1, v[6:7]
	v_cndmask_b32_e32 v0, v5, v0, vcc
	s_waitcnt lgkmcnt(0)
	v_mov_b32_e32 v2, s13
	v_add_co_u32_e32 v6, vcc, s12, v6
	v_addc_co_u32_e32 v7, vcc, v2, v7, vcc
	global_store_short v[6:7], v0, off
	s_or_b64 exec, exec, s[6:7]
	s_and_saveexec_b64 s[0:1], s[2:3]
	s_cbranch_execz .LBB173_60
.LBB173_83:
	v_bfe_u32 v0, v19, 16, 1
	s_movk_i32 s2, 0x7fff
	v_add3_u32 v0, v19, v0, s2
	v_lshrrev_b32_e32 v0, 16, v0
	v_mov_b32_e32 v2, 0x7fc0
	v_cmp_o_f32_e32 vcc, v19, v19
	v_cndmask_b32_e32 v0, v2, v0, vcc
	v_add_u32_e32 v2, v1, v3
	v_mov_b32_e32 v3, 0
	v_lshlrev_b64 v[2:3], 1, v[2:3]
	s_waitcnt lgkmcnt(0)
	v_mov_b32_e32 v5, s13
	v_add_co_u32_e32 v2, vcc, s12, v2
	v_addc_co_u32_e32 v3, vcc, v5, v3, vcc
	global_store_short v[2:3], v0, off
	s_or_b64 exec, exec, s[0:1]
	s_and_b64 exec, exec, s[4:5]
	s_cbranch_execnz .LBB173_61
	s_branch .LBB173_62
	.section	.rodata,"a",@progbits
	.p2align	6, 0x0
	.amdhsa_kernel _ZL12mul_mat_q5_KIN3c108BFloat16ELb0EEvPKvS3_PT_iiiii
		.amdhsa_group_segment_fixed_size 45136
		.amdhsa_private_segment_fixed_size 36
		.amdhsa_kernarg_size 44
		.amdhsa_user_sgpr_count 6
		.amdhsa_user_sgpr_private_segment_buffer 1
		.amdhsa_user_sgpr_dispatch_ptr 0
		.amdhsa_user_sgpr_queue_ptr 0
		.amdhsa_user_sgpr_kernarg_segment_ptr 1
		.amdhsa_user_sgpr_dispatch_id 0
		.amdhsa_user_sgpr_flat_scratch_init 0
		.amdhsa_user_sgpr_kernarg_preload_length 0
		.amdhsa_user_sgpr_kernarg_preload_offset 0
		.amdhsa_user_sgpr_private_segment_size 0
		.amdhsa_uses_dynamic_stack 0
		.amdhsa_system_sgpr_private_segment_wavefront_offset 1
		.amdhsa_system_sgpr_workgroup_id_x 1
		.amdhsa_system_sgpr_workgroup_id_y 1
		.amdhsa_system_sgpr_workgroup_id_z 0
		.amdhsa_system_sgpr_workgroup_info 0
		.amdhsa_system_vgpr_workitem_id 1
		.amdhsa_next_free_vgpr 256
		.amdhsa_next_free_sgpr 28
		.amdhsa_accum_offset 256
		.amdhsa_reserve_vcc 1
		.amdhsa_reserve_flat_scratch 0
		.amdhsa_float_round_mode_32 0
		.amdhsa_float_round_mode_16_64 0
		.amdhsa_float_denorm_mode_32 3
		.amdhsa_float_denorm_mode_16_64 3
		.amdhsa_dx10_clamp 1
		.amdhsa_ieee_mode 1
		.amdhsa_fp16_overflow 0
		.amdhsa_tg_split 0
		.amdhsa_exception_fp_ieee_invalid_op 0
		.amdhsa_exception_fp_denorm_src 0
		.amdhsa_exception_fp_ieee_div_zero 0
		.amdhsa_exception_fp_ieee_overflow 0
		.amdhsa_exception_fp_ieee_underflow 0
		.amdhsa_exception_fp_ieee_inexact 0
		.amdhsa_exception_int_div_zero 0
	.end_amdhsa_kernel
	.section	.text._ZL12mul_mat_q5_KIN3c108BFloat16ELb0EEvPKvS3_PT_iiiii,"axG",@progbits,_ZL12mul_mat_q5_KIN3c108BFloat16ELb0EEvPKvS3_PT_iiiii,comdat
.Lfunc_end173:
	.size	_ZL12mul_mat_q5_KIN3c108BFloat16ELb0EEvPKvS3_PT_iiiii, .Lfunc_end173-_ZL12mul_mat_q5_KIN3c108BFloat16ELb0EEvPKvS3_PT_iiiii
                                        ; -- End function
	.section	.AMDGPU.csdata,"",@progbits
; Kernel info:
; codeLenInByte = 19020
; NumSgprs: 32
; NumVgprs: 256
; NumAgprs: 0
; TotalNumVgprs: 256
; ScratchSize: 36
; MemoryBound: 0
; FloatMode: 240
; IeeeMode: 1
; LDSByteSize: 45136 bytes/workgroup (compile time only)
; SGPRBlocks: 3
; VGPRBlocks: 31
; NumSGPRsForWavesPerEU: 32
; NumVGPRsForWavesPerEU: 256
; AccumOffset: 256
; Occupancy: 1
; WaveLimiterHint : 0
; COMPUTE_PGM_RSRC2:SCRATCH_EN: 1
; COMPUTE_PGM_RSRC2:USER_SGPR: 6
; COMPUTE_PGM_RSRC2:TRAP_HANDLER: 0
; COMPUTE_PGM_RSRC2:TGID_X_EN: 1
; COMPUTE_PGM_RSRC2:TGID_Y_EN: 1
; COMPUTE_PGM_RSRC2:TGID_Z_EN: 0
; COMPUTE_PGM_RSRC2:TIDIG_COMP_CNT: 1
; COMPUTE_PGM_RSRC3_GFX90A:ACCUM_OFFSET: 63
; COMPUTE_PGM_RSRC3_GFX90A:TG_SPLIT: 0
	.section	.text._ZL12mul_mat_q5_KIN3c108BFloat16ELb1EEvPKvS3_PT_iiiii,"axG",@progbits,_ZL12mul_mat_q5_KIN3c108BFloat16ELb1EEvPKvS3_PT_iiiii,comdat
	.globl	_ZL12mul_mat_q5_KIN3c108BFloat16ELb1EEvPKvS3_PT_iiiii ; -- Begin function _ZL12mul_mat_q5_KIN3c108BFloat16ELb1EEvPKvS3_PT_iiiii
	.p2align	8
	.type	_ZL12mul_mat_q5_KIN3c108BFloat16ELb1EEvPKvS3_PT_iiiii,@function
_ZL12mul_mat_q5_KIN3c108BFloat16ELb1EEvPKvS3_PT_iiiii: ; @_ZL12mul_mat_q5_KIN3c108BFloat16ELb1EEvPKvS3_PT_iiiii
; %bb.0:
	s_mov_b64 s[26:27], s[2:3]
	s_mov_b64 s[24:25], s[0:1]
	s_add_u32 s24, s24, s8
	s_load_dwordx4 s[8:11], s[4:5], 0x18
	s_load_dword s14, s[4:5], 0x28
	s_addc_u32 s25, s25, 0
	s_lshl_b32 s15, s7, 6
	v_bfe_u32 v48, v0, 10, 10
	s_waitcnt lgkmcnt(0)
	s_cmpk_gt_i32 s8, 0xff
	s_cbranch_scc1 .LBB174_2
; %bb.1:
	v_bfe_u32 v1, v0, 10, 10
	v_and_b32_e32 v54, 0x3ff, v0
	v_add_u32_e32 v2, s15, v1
	s_mov_b64 s[0:1], 0
	s_mov_b32 s2, 0
	s_branch .LBB174_3
.LBB174_2:
	s_mov_b64 s[0:1], -1
                                        ; implicit-def: $sgpr2
                                        ; implicit-def: $vgpr1
                                        ; implicit-def: $vgpr54
                                        ; implicit-def: $vgpr2
.LBB174_3:
	s_load_dwordx2 s[12:13], s[4:5], 0x10
	s_lshl_b32 s6, s6, 7
	s_andn2_b64 vcc, exec, s[0:1]
	v_mov_b32_e32 v17, s2
	v_mov_b32_e32 v16, s2
	;; [unrolled: 1-line block ×32, first 2 shown]
	s_cbranch_vccnz .LBB174_11
; %bb.4:
	s_load_dwordx4 s[0:3], s[4:5], 0x0
	s_ashr_i32 s4, s8, 31
	s_lshr_b32 s4, s4, 24
	s_add_i32 s4, s8, s4
	s_ashr_i32 s7, s4, 8
	s_ashr_i32 s4, s11, 31
	s_lshr_b32 s4, s4, 27
	s_add_i32 s4, s11, s4
	s_mul_i32 s5, s7, s6
	s_ashr_i32 s4, s4, 5
	s_mul_hi_i32 s16, s5, 0xb0
	s_mulk_i32 s5, 0xb0
	s_waitcnt lgkmcnt(0)
	s_add_u32 s11, s0, s5
	s_addc_u32 s16, s1, s16
	s_not_b32 s0, s6
	v_and_b32_e32 v54, 0x3ff, v0
	s_add_i32 s5, s0, s9
	v_lshlrev_b32_e32 v0, 1, v54
	v_and_b32_e32 v2, 7, v54
	v_and_or_b32 v0, v0, 48, v2
	v_min_i32_e32 v2, s5, v48
	v_mul_lo_u32 v4, v2, s7
	buffer_store_dword v4, off, s[24:27], 0 ; 4-byte Folded Spill
	s_nop 0
	buffer_store_dword v5, off, s[24:27], 0 offset:4 ; 4-byte Folded Spill
	v_lshrrev_b32_e32 v1, 2, v54
	v_lshlrev_b32_e32 v0, 2, v0
	s_movk_i32 s1, 0x104
	v_add_u32_e32 v3, 8, v48
	v_mad_u64_u32 v[56:57], s[18:19], v2, s1, v[0:1]
	v_min_i32_e32 v2, s5, v3
	v_mul_lo_u32 v4, v2, s7
	v_mad_u64_u32 v[60:61], s[18:19], v2, s1, v[0:1]
	v_add_u32_e32 v8, 24, v48
	v_add_u32_e32 v9, 32, v48
	v_add_u32_e32 v10, 40, v48
	v_add_u32_e32 v11, 48, v48
	v_add_u32_e32 v12, 56, v48
	v_lshlrev_b32_e32 v57, 5, v48
	s_mov_b32 s9, 0xae40
	v_and_b32_e32 v59, 6, v1
	v_lshlrev_b32_e32 v55, 2, v54
	v_and_b32_e32 v52, 28, v55
	v_mov_b32_e32 v19, s3
	s_mov_b32 s17, 0xa200
	v_add_u32_e32 v21, s15, v48
	v_and_b32_e32 v18, 31, v54
	v_lshlrev_b32_e32 v79, 5, v3
	v_lshlrev_b32_e32 v91, 5, v8
	;; [unrolled: 1-line block ×4, first 2 shown]
	v_lshrrev_b32_e32 v22, 5, v54
	s_mov_b32 s0, 0
	s_movk_i32 s8, 0xb0
	v_and_b32_e32 v50, 0x7c, v55
	v_or_b32_e32 v63, 1, v59
	v_lshrrev_b32_e32 v71, 3, v54
	v_mov_b32_e32 v86, v22
	v_mul_u32_u24_e32 v217, 0x104, v54
	buffer_store_dword v4, off, s[24:27], 0 offset:8 ; 4-byte Folded Spill
	s_nop 0
	buffer_store_dword v5, off, s[24:27], 0 offset:12 ; 4-byte Folded Spill
	v_add_u32_e32 v5, 16, v48
	v_min_i32_e32 v2, s5, v5
	v_mul_lo_u32 v4, v2, s7
	buffer_store_dword v4, off, s[24:27], 0 offset:16 ; 4-byte Folded Spill
	s_nop 0
	buffer_store_dword v5, off, s[24:27], 0 offset:20 ; 4-byte Folded Spill
	v_mad_u64_u32 v[64:65], s[18:19], v2, s1, v[0:1]
	v_min_i32_e32 v2, s5, v8
	v_mul_lo_u32 v4, v2, s7
	v_mad_u64_u32 v[68:69], s[18:19], v2, s1, v[0:1]
	v_min_i32_e32 v2, s5, v9
	v_mad_u64_u32 v[72:73], s[18:19], v2, s1, v[0:1]
	buffer_store_dword v4, off, s[24:27], 0 offset:24 ; 4-byte Folded Spill
	s_nop 0
	buffer_store_dword v5, off, s[24:27], 0 offset:28 ; 4-byte Folded Spill
	v_mul_lo_u32 v4, v2, s7
	v_min_i32_e32 v2, s5, v10
	v_mad_u64_u32 v[76:77], s[18:19], v2, s1, v[0:1]
	buffer_store_dword v4, off, s[24:27], 0 offset:32 ; 4-byte Folded Spill
	s_nop 0
	buffer_store_dword v5, off, s[24:27], 0 offset:36 ; 4-byte Folded Spill
	v_mul_lo_u32 v4, v2, s7
	;; [unrolled: 6-line block ×4, first 2 shown]
	v_add_u32_e32 v2, 64, v48
	v_min_i32_e32 v2, s5, v2
	v_mad_u64_u32 v[88:89], s[18:19], v2, s1, v[0:1]
	buffer_store_dword v4, off, s[24:27], 0 offset:56 ; 4-byte Folded Spill
	s_nop 0
	buffer_store_dword v5, off, s[24:27], 0 offset:60 ; 4-byte Folded Spill
	v_mul_lo_u32 v4, v2, s7
	v_add_u32_e32 v2, 0x48, v48
	v_min_i32_e32 v2, s5, v2
	v_mul_lo_u32 v90, v2, s7
	v_mad_u64_u32 v[92:93], s[18:19], v2, s1, v[0:1]
	v_add_u32_e32 v2, 0x50, v48
	v_min_i32_e32 v2, s5, v2
	v_mul_lo_u32 v94, v2, s7
	v_mad_u64_u32 v[96:97], s[18:19], v2, s1, v[0:1]
	;; [unrolled: 4-line block ×6, first 2 shown]
	v_add_u32_e32 v2, 0x78, v48
	v_min_i32_e32 v2, s5, v2
	v_mad_u64_u32 v[116:117], s[18:19], v2, s1, v[0:1]
	v_add_u32_e32 v0, v57, v54
	v_and_b32_e32 v0, 0x7f, v0
	v_min_i32_e32 v0, s5, v0
	v_mul_lo_u32 v114, v2, s7
	v_ashrrev_i32_e32 v2, 31, v0
	v_lshrrev_b32_e32 v2, 27, v2
	v_add_u32_e32 v2, v0, v2
	v_ashrrev_i32_e32 v2, 5, v2
	v_mul_lo_u32 v118, v0, s7
	v_lshlrev_b32_e32 v2, 2, v2
	v_lshlrev_b32_e32 v0, 2, v0
	v_add3_u32 v61, v2, v0, s9
	v_and_b32_e32 v0, 3, v54
	v_add_u32_e32 v2, 0xfe, v0
	v_cmp_gt_u32_e32 vcc, 2, v0
	v_cndmask_b32_e32 v2, v2, v0, vcc
	v_lshl_add_u32 v1, v48, 3, v1
	v_and_b32_e32 v6, 0xff, v2
	v_cmp_ne_u32_e32 vcc, 0, v0
	v_addc_co_u32_e32 v2, vcc, 0, v6, vcc
	v_lshlrev_b32_e32 v58, 1, v6
	v_and_b32_e32 v6, 0x7f, v1
	v_min_i32_e32 v7, s5, v6
	v_ashrrev_i32_e32 v13, 31, v7
	v_xor_b32_e32 v6, 64, v6
	v_lshrrev_b32_e32 v13, 29, v13
	v_min_i32_e32 v6, s5, v6
	v_cmp_lt_u32_e32 vcc, 1, v0
	v_mul_lo_u32 v120, v7, s7
	v_add_u32_e32 v13, v7, v13
	v_lshlrev_b32_e32 v15, 4, v7
	v_ashrrev_i32_e32 v7, 31, v6
	buffer_store_dword v4, off, s[24:27], 0 offset:64 ; 4-byte Folded Spill
	s_nop 0
	buffer_store_dword v5, off, s[24:27], 0 offset:68 ; 4-byte Folded Spill
	v_and_b32_e32 v4, 4, v55
	v_cndmask_b32_e32 v65, 0, v4, vcc
	v_cndmask_b32_e64 v4, 0, 1, vcc
	v_lshrrev_b32_e32 v7, 29, v7
	v_add_co_u32_e32 v124, vcc, s2, v52
	v_and_b32_e32 v1, 63, v1
	v_add_u32_e32 v7, v6, v7
	s_add_i32 s5, s10, -1
	v_addc_co_u32_e32 v125, vcc, 0, v19, vcc
	v_or_b32_e32 v19, s15, v1
	v_lshlrev_b32_e32 v14, 2, v0
	v_ashrrev_i32_e32 v7, 3, v7
	v_min_i32_e32 v19, s5, v19
	v_lshlrev_b32_e32 v7, 2, v7
	v_mad_u64_u32 v[126:127], s[18:19], v19, s4, v[0:1]
	v_lshl_or_b32 v0, v1, 4, v14
	v_mul_lo_u32 v122, v6, s7
	v_add3_u32 v16, v7, v14, s17
	v_lshlrev_b32_e32 v17, 4, v6
	v_cvt_f64_i32_e32 v[6:7], s5
	v_add_u32_e32 v69, 0xaa40, v0
	v_cvt_f64_u32_e32 v[0:1], v21
	v_ashrrev_i32_e32 v13, 3, v13
	v_min_f64 v[0:1], v[0:1], v[6:7]
	v_lshlrev_b32_e32 v13, 2, v13
	v_cvt_i32_f64_e32 v0, v[0:1]
	v_add3_u32 v13, v13, v14, s17
	v_mul_lo_u32 v73, s4, v0
	v_or_b32_e32 v0, v57, v18
	v_mov_b32_e32 v14, 0x8200
	v_lshl_add_u32 v75, v0, 2, v14
	v_add_u32_e32 v0, 8, v21
	v_cvt_f64_u32_e32 v[0:1], v0
	v_min_f64 v[0:1], v[0:1], v[6:7]
	v_cvt_i32_f64_e32 v0, v[0:1]
	v_mul_lo_u32 v77, s4, v0
	v_or_b32_e32 v0, v79, v18
	v_lshl_add_u32 v81, v0, 2, v14
	v_add_u32_e32 v0, 16, v21
	v_cvt_f64_u32_e32 v[0:1], v0
	v_min_f64 v[0:1], v[0:1], v[6:7]
	v_cvt_i32_f64_e32 v0, v[0:1]
	v_mul_lo_u32 v83, s4, v0
	v_lshlrev_b32_e32 v97, 5, v9
	v_lshlrev_b32_e32 v109, 5, v11
	buffer_store_dword v21, off, s[24:27], 0 offset:76 ; 4-byte Folded Spill
	v_lshlrev_b32_e32 v237, 2, v2
	v_lshlrev_b32_e32 v238, 2, v4
	v_add_u32_e32 v239, v13, v15
	v_add_u32_e32 v240, v16, v17
	buffer_store_dword v48, off, s[24:27], 0 offset:72 ; 4-byte Folded Spill
	v_lshlrev_b32_e32 v85, 5, v5
	v_or_b32_e32 v0, v85, v18
	v_lshl_add_u32 v87, v0, 2, v14
	v_add_u32_e32 v0, 24, v21
	v_cvt_f64_u32_e32 v[0:1], v0
	v_min_f64 v[0:1], v[0:1], v[6:7]
	v_cvt_i32_f64_e32 v0, v[0:1]
	v_mul_lo_u32 v89, s4, v0
	v_or_b32_e32 v0, v91, v18
	v_lshl_add_u32 v93, v0, 2, v14
	v_add_u32_e32 v0, 32, v21
	v_cvt_f64_u32_e32 v[0:1], v0
	v_min_f64 v[0:1], v[0:1], v[6:7]
	v_cvt_i32_f64_e32 v0, v[0:1]
	v_mul_lo_u32 v95, s4, v0
	;; [unrolled: 7-line block ×5, first 2 shown]
	v_or_b32_e32 v0, v115, v18
	v_lshl_add_u32 v117, v0, 2, v14
	v_lshlrev_b32_e32 v0, 2, v22
	v_add3_u32 v119, v0, v55, s9
	v_add_u32_e32 v0, 32, v54
	v_lshrrev_b32_e32 v121, 3, v0
	v_lshlrev_b32_e32 v1, 2, v0
	v_and_b32_e32 v0, 60, v121
	v_add3_u32 v123, v55, v0, s9
	v_add_u32_e32 v0, 64, v54
	v_lshrrev_b32_e32 v127, 3, v0
	v_lshlrev_b32_e32 v3, 2, v0
	v_and_b32_e32 v0, 60, v127
	;; [unrolled: 5-line block ×3, first 2 shown]
	v_add3_u32 v193, v55, v0, s9
	v_mov_b32_e32 v0, 0x2080
	v_mad_u32_u24 v234, v54, s1, v0
	v_mov_b32_e32 v0, 0x4100
	v_mad_u32_u24 v235, v54, s1, v0
	;; [unrolled: 2-line block ×3, first 2 shown]
	s_mov_b32 s1, s0
	v_pk_mov_b32 v[46:47], s[0:1], s[0:1] op_sel:[0,1]
	s_mov_b32 s1, 0x10101010
	s_mov_b32 s9, 0x30303030
	v_lshlrev_b32_e32 v241, 2, v1
	v_lshlrev_b32_e32 v242, 2, v3
	;; [unrolled: 1-line block ×3, first 2 shown]
	v_pk_mov_b32 v[38:39], v[46:47], v[46:47] op_sel:[0,1]
	v_pk_mov_b32 v[30:31], v[46:47], v[46:47] op_sel:[0,1]
	;; [unrolled: 1-line block ×15, first 2 shown]
.LBB174_5:                              ; =>This Loop Header: Depth=1
                                        ;     Child Loop BB174_6 Depth 2
                                        ;     Child Loop BB174_8 Depth 2
	buffer_load_dword v4, off, s[24:27], 0  ; 4-byte Folded Reload
	buffer_load_dword v5, off, s[24:27], 0 offset:4 ; 4-byte Folded Reload
	buffer_load_dword v8, off, s[24:27], 0 offset:8 ; 4-byte Folded Reload
	;; [unrolled: 1-line block ×3, first 2 shown]
	s_mul_i32 s4, s0, 0xb0
	s_mul_hi_u32 s5, s0, 0xb0
	s_add_u32 s4, s11, s4
	s_addc_u32 s5, s16, s5
	v_pk_mov_b32 v[0:1], s[4:5], s[4:5] op_sel:[0,1]
	v_mad_u64_u32 v[2:3], s[4:5], v86, s8, v[0:1]
	s_lshl_b32 s17, s0, 3
	v_add_u32_e32 v157, s17, v126
	s_mov_b32 s19, 0
	s_waitcnt vmcnt(2)
	v_mad_i64_i32 v[4:5], s[4:5], v4, s8, v[2:3]
	v_add_co_u32_e32 v6, vcc, v4, v50
	v_addc_co_u32_e32 v7, vcc, 0, v5, vcc
	v_add_co_u32_e32 v4, vcc, v4, v52
	v_addc_co_u32_e32 v5, vcc, 0, v5, vcc
	s_waitcnt vmcnt(0)
	v_mad_i64_i32 v[8:9], s[4:5], v8, s8, v[2:3]
	v_add_co_u32_e32 v10, vcc, v8, v50
	v_addc_co_u32_e32 v11, vcc, 0, v9, vcc
	global_load_dword v12, v[6:7], off offset:48
	global_load_dword v13, v[4:5], off offset:16
	;; [unrolled: 1-line block ×3, first 2 shown]
	v_add_co_u32_e32 v4, vcc, v8, v52
	v_addc_co_u32_e32 v5, vcc, 0, v9, vcc
	global_load_dword v15, v[4:5], off offset:16
	s_nop 0
	buffer_load_dword v4, off, s[24:27], 0 offset:16 ; 4-byte Folded Reload
	buffer_load_dword v5, off, s[24:27], 0 offset:20 ; 4-byte Folded Reload
	;; [unrolled: 1-line block ×6, first 2 shown]
	s_waitcnt vmcnt(6)
	v_ashrrev_i32_e32 v67, v59, v15
	s_waitcnt vmcnt(4)
	v_mad_i64_i32 v[4:5], s[4:5], v4, s8, v[2:3]
	v_add_co_u32_e32 v10, vcc, v4, v50
	v_addc_co_u32_e32 v11, vcc, 0, v5, vcc
	v_add_co_u32_e32 v4, vcc, v4, v52
	s_waitcnt vmcnt(2)
	v_mad_i64_i32 v[6:7], s[4:5], v6, s8, v[2:3]
	v_addc_co_u32_e32 v5, vcc, 0, v5, vcc
	global_load_dword v48, v[10:11], off offset:48
	global_load_dword v49, v[4:5], off offset:16
	v_add_co_u32_e32 v4, vcc, v6, v50
	v_addc_co_u32_e32 v5, vcc, 0, v7, vcc
	global_load_dword v51, v[4:5], off offset:48
	v_add_co_u32_e32 v4, vcc, v6, v52
	v_addc_co_u32_e32 v5, vcc, 0, v7, vcc
	global_load_dword v53, v[4:5], off offset:16
	s_nop 0
	buffer_load_dword v4, off, s[24:27], 0 offset:40 ; 4-byte Folded Reload
	buffer_load_dword v5, off, s[24:27], 0 offset:44 ; 4-byte Folded Reload
	s_waitcnt vmcnt(6)
	v_mad_i64_i32 v[8:9], s[4:5], v8, s8, v[2:3]
	v_add_co_u32_e32 v6, vcc, v8, v50
	v_addc_co_u32_e32 v7, vcc, 0, v9, vcc
	v_add_co_u32_e32 v8, vcc, v8, v52
	v_addc_co_u32_e32 v9, vcc, 0, v9, vcc
	global_load_dword v66, v[6:7], off offset:48
	s_nop 0
	global_load_dword v8, v[8:9], off offset:16
	v_and_b32_e32 v6, 0xf0f0f0f, v12
	v_lshrrev_b32_e32 v7, 4, v12
	v_ashrrev_i32_e32 v9, v59, v13
	v_ashrrev_i32_e32 v12, v63, v13
	v_and_b32_e32 v7, 0xf0f0f0f, v7
	v_lshlrev_b32_e32 v9, 4, v9
	v_lshlrev_b32_e32 v12, 4, v12
	v_and_or_b32 v6, v9, s1, v6
	v_and_or_b32 v7, v12, s1, v7
	ds_write2_b32 v56, v6, v7 offset1:8
	v_and_b32_e32 v13, 0xf0f0f0f, v14
	v_lshlrev_b32_e32 v67, 4, v67
	v_and_or_b32 v9, v67, s1, v13
	v_lshrrev_b32_e32 v14, 4, v14
	v_ashrrev_i32_e32 v15, v63, v15
	v_and_b32_e32 v14, 0xf0f0f0f, v14
	v_lshlrev_b32_e32 v15, 4, v15
	s_waitcnt vmcnt(2)
	v_mad_i64_i32 v[4:5], s[4:5], v4, s8, v[2:3]
	v_add_co_u32_e32 v10, vcc, v4, v50
	v_addc_co_u32_e32 v11, vcc, 0, v5, vcc
	v_add_co_u32_e32 v4, vcc, v4, v52
	v_addc_co_u32_e32 v5, vcc, 0, v5, vcc
	global_load_dword v10, v[10:11], off offset:48
	s_nop 0
	global_load_dword v11, v[4:5], off offset:16
	s_nop 0
	buffer_load_dword v4, off, s[24:27], 0 offset:48 ; 4-byte Folded Reload
	buffer_load_dword v5, off, s[24:27], 0 offset:52 ; 4-byte Folded Reload
	s_waitcnt vmcnt(0)
	v_mad_i64_i32 v[4:5], s[4:5], v4, s8, v[2:3]
	v_add_co_u32_e32 v6, vcc, v4, v50
	v_addc_co_u32_e32 v7, vcc, 0, v5, vcc
	v_add_co_u32_e32 v4, vcc, v4, v52
	v_addc_co_u32_e32 v5, vcc, 0, v5, vcc
	global_load_dword v12, v[6:7], off offset:48
	global_load_dword v13, v[4:5], off offset:16
	s_nop 0
	buffer_load_dword v4, off, s[24:27], 0 offset:56 ; 4-byte Folded Reload
	buffer_load_dword v5, off, s[24:27], 0 offset:60 ; 4-byte Folded Reload
	s_waitcnt vmcnt(0)
	v_mad_i64_i32 v[4:5], s[4:5], v4, s8, v[2:3]
	v_add_co_u32_e32 v6, vcc, v4, v50
	v_addc_co_u32_e32 v7, vcc, 0, v5, vcc
	v_add_co_u32_e32 v4, vcc, v4, v52
	v_addc_co_u32_e32 v5, vcc, 0, v5, vcc
	global_load_dword v67, v[6:7], off offset:48
	global_load_dword v128, v[4:5], off offset:16
	v_and_or_b32 v4, v15, s1, v14
	v_lshrrev_b32_e32 v5, 4, v48
	v_ashrrev_i32_e32 v6, v59, v49
	v_ashrrev_i32_e32 v7, v63, v49
	ds_write2_b32 v60, v9, v4 offset1:8
	v_and_b32_e32 v4, 0xf0f0f0f, v48
	v_and_b32_e32 v5, 0xf0f0f0f, v5
	v_lshlrev_b32_e32 v6, 4, v6
	v_lshlrev_b32_e32 v7, 4, v7
	v_and_or_b32 v4, v6, s1, v4
	v_and_or_b32 v5, v7, s1, v5
	ds_write2_b32 v64, v4, v5 offset1:8
	v_lshrrev_b32_e32 v5, 4, v51
	v_and_b32_e32 v9, 0xf0f0f0f, v5
	v_ashrrev_i32_e32 v5, v59, v53
	v_and_b32_e32 v4, 0xf0f0f0f, v51
	v_lshlrev_b32_e32 v5, 4, v5
	v_and_or_b32 v15, v5, s1, v4
	buffer_load_dword v4, off, s[24:27], 0 offset:64 ; 4-byte Folded Reload
	buffer_load_dword v5, off, s[24:27], 0 offset:68 ; 4-byte Folded Reload
	v_ashrrev_i32_e32 v6, v63, v53
	v_lshlrev_b32_e32 v14, 4, v6
	s_waitcnt vmcnt(0)
	v_mad_i64_i32 v[4:5], s[4:5], v4, s8, v[2:3]
	v_add_co_u32_e32 v6, vcc, v4, v50
	v_addc_co_u32_e32 v7, vcc, 0, v5, vcc
	v_add_co_u32_e32 v4, vcc, v4, v52
	v_addc_co_u32_e32 v5, vcc, 0, v5, vcc
	global_load_dword v48, v[6:7], off offset:48
	global_load_dword v49, v[4:5], off offset:16
	v_mad_i64_i32 v[4:5], s[4:5], v90, s8, v[2:3]
	v_add_co_u32_e32 v6, vcc, v4, v50
	v_addc_co_u32_e32 v7, vcc, 0, v5, vcc
	v_add_co_u32_e32 v4, vcc, v4, v52
	v_addc_co_u32_e32 v5, vcc, 0, v5, vcc
	global_load_dword v51, v[6:7], off offset:48
	global_load_dword v53, v[4:5], off offset:16
	v_and_or_b32 v4, v14, s1, v9
	v_lshrrev_b32_e32 v5, 4, v66
	v_ashrrev_i32_e32 v6, v59, v8
	v_ashrrev_i32_e32 v7, v63, v8
	ds_write2_b32 v68, v15, v4 offset1:8
	v_and_b32_e32 v4, 0xf0f0f0f, v66
	v_and_b32_e32 v5, 0xf0f0f0f, v5
	v_lshlrev_b32_e32 v6, 4, v6
	v_lshlrev_b32_e32 v7, 4, v7
	v_and_or_b32 v4, v6, s1, v4
	v_and_or_b32 v5, v7, s1, v5
	ds_write2_b32 v72, v4, v5 offset1:8
	v_lshrrev_b32_e32 v5, 4, v10
	v_ashrrev_i32_e32 v6, v59, v11
	v_ashrrev_i32_e32 v7, v63, v11
	v_and_b32_e32 v4, 0xf0f0f0f, v10
	v_and_b32_e32 v5, 0xf0f0f0f, v5
	v_lshlrev_b32_e32 v6, 4, v6
	v_lshlrev_b32_e32 v7, 4, v7
	v_and_or_b32 v4, v6, s1, v4
	v_and_or_b32 v5, v7, s1, v5
	ds_write2_b32 v76, v4, v5 offset1:8
	v_lshrrev_b32_e32 v5, 4, v12
	v_ashrrev_i32_e32 v6, v59, v13
	v_ashrrev_i32_e32 v7, v63, v13
	;; [unrolled: 10-line block ×3, first 2 shown]
	v_and_b32_e32 v4, 0xf0f0f0f, v67
	v_and_b32_e32 v5, 0xf0f0f0f, v5
	v_lshlrev_b32_e32 v6, 4, v6
	v_lshlrev_b32_e32 v7, 4, v7
	v_and_or_b32 v4, v6, s1, v4
	v_and_or_b32 v5, v7, s1, v5
	ds_write2_b32 v84, v4, v5 offset1:8
	v_mad_i64_i32 v[4:5], s[4:5], v94, s8, v[2:3]
	v_add_co_u32_e32 v6, vcc, v4, v50
	v_addc_co_u32_e32 v7, vcc, 0, v5, vcc
	v_add_co_u32_e32 v4, vcc, v4, v52
	v_addc_co_u32_e32 v5, vcc, 0, v5, vcc
	v_mad_i64_i32 v[8:9], s[4:5], v98, s8, v[2:3]
	v_add_co_u32_e32 v10, vcc, v8, v50
	v_addc_co_u32_e32 v11, vcc, 0, v9, vcc
	v_add_co_u32_e32 v8, vcc, v8, v52
	v_addc_co_u32_e32 v9, vcc, 0, v9, vcc
	global_load_dword v66, v[6:7], off offset:48
	global_load_dword v67, v[4:5], off offset:16
	;; [unrolled: 1-line block ×4, first 2 shown]
	v_mad_i64_i32 v[8:9], s[4:5], v106, s8, v[2:3]
	v_mad_i64_i32 v[12:13], s[4:5], v110, s8, v[2:3]
	s_waitcnt vmcnt(7)
	v_lshrrev_b32_e32 v5, 4, v48
	s_waitcnt vmcnt(6)
	v_ashrrev_i32_e32 v6, v59, v49
	v_ashrrev_i32_e32 v7, v63, v49
	v_and_b32_e32 v4, 0xf0f0f0f, v48
	v_and_b32_e32 v5, 0xf0f0f0f, v5
	v_lshlrev_b32_e32 v6, 4, v6
	v_lshlrev_b32_e32 v7, 4, v7
	v_and_or_b32 v4, v6, s1, v4
	v_and_or_b32 v5, v7, s1, v5
	ds_write2_b32 v88, v4, v5 offset1:8
	s_waitcnt vmcnt(5)
	v_lshrrev_b32_e32 v5, 4, v51
	s_waitcnt vmcnt(4)
	v_ashrrev_i32_e32 v6, v59, v53
	v_ashrrev_i32_e32 v7, v63, v53
	v_and_b32_e32 v4, 0xf0f0f0f, v51
	v_and_b32_e32 v5, 0xf0f0f0f, v5
	v_lshlrev_b32_e32 v6, 4, v6
	v_lshlrev_b32_e32 v7, 4, v7
	v_and_or_b32 v4, v6, s1, v4
	v_and_or_b32 v5, v7, s1, v5
	ds_write2_b32 v92, v4, v5 offset1:8
	v_mad_i64_i32 v[4:5], s[4:5], v102, s8, v[2:3]
	v_add_co_u32_e32 v6, vcc, v4, v50
	v_addc_co_u32_e32 v7, vcc, 0, v5, vcc
	v_add_co_u32_e32 v4, vcc, v4, v52
	v_addc_co_u32_e32 v5, vcc, 0, v5, vcc
	;; [unrolled: 2-line block ×6, first 2 shown]
	v_mad_i64_i32 v[2:3], s[4:5], v114, s8, v[2:3]
	v_add_co_u32_e32 v128, vcc, v2, v50
	v_addc_co_u32_e32 v129, vcc, 0, v3, vcc
	v_add_co_u32_e32 v2, vcc, v2, v52
	v_addc_co_u32_e32 v3, vcc, 0, v3, vcc
	global_load_dword v48, v[6:7], off offset:48
	global_load_dword v49, v[4:5], off offset:16
	;; [unrolled: 1-line block ×6, first 2 shown]
	s_nop 0
	global_load_dword v128, v[128:129], off offset:48
	s_nop 0
	global_load_dword v129, v[2:3], off offset:16
	v_mad_i64_i32 v[4:5], s[4:5], v120, s8, v[0:1]
	v_add_co_u32_e32 v6, vcc, 4, v4
	v_addc_co_u32_e32 v7, vcc, 0, v5, vcc
	v_add_co_u32_e32 v4, vcc, v6, v237
	v_addc_co_u32_e32 v5, vcc, 0, v7, vcc
	v_add_co_u32_e32 v6, vcc, v6, v238
	v_mad_i64_i32 v[2:3], s[4:5], v118, s8, v[0:1]
	v_addc_co_u32_e32 v7, vcc, 0, v7, vcc
	v_mad_i64_i32 v[0:1], s[4:5], v122, s8, v[0:1]
	v_add_co_u32_e32 v8, vcc, 4, v0
	v_addc_co_u32_e32 v9, vcc, 0, v1, vcc
	v_add_co_u32_e32 v0, vcc, v8, v237
	v_addc_co_u32_e32 v1, vcc, 0, v9, vcc
	;; [unrolled: 2-line block ×3, first 2 shown]
	global_load_dword v134, v[2:3], off
	global_load_dword v135, v[4:5], off
	;; [unrolled: 1-line block ×5, first 2 shown]
	v_add_u32_e32 v14, s17, v71
	v_add_u32_e32 v0, v14, v73
	;; [unrolled: 1-line block ×6, first 2 shown]
	v_mad_i64_i32 v[0:1], s[4:5], v0, 36, v[124:125]
	v_mad_i64_i32 v[2:3], s[4:5], v2, 36, v[124:125]
	;; [unrolled: 1-line block ×5, first 2 shown]
	v_add_u32_e32 v10, v14, v101
	v_add_u32_e32 v12, v14, v107
	;; [unrolled: 1-line block ×3, first 2 shown]
	v_mad_i64_i32 v[10:11], s[4:5], v10, 36, v[124:125]
	v_mad_i64_i32 v[12:13], s[4:5], v12, 36, v[124:125]
	;; [unrolled: 1-line block ×3, first 2 shown]
	global_load_dword v139, v[0:1], off offset:4
	s_nop 0
	global_load_dword v2, v[2:3], off offset:4
	s_nop 0
	;; [unrolled: 2-line block ×3, first 2 shown]
	global_load_dword v4, v[6:7], off offset:4
	global_load_dword v5, v[8:9], off offset:4
	s_nop 0
	global_load_dword v6, v[10:11], off offset:4
	global_load_dword v7, v[12:13], off offset:4
	;; [unrolled: 1-line block ×3, first 2 shown]
	v_mad_u64_u32 v[0:1], s[4:5], v157, 36, s[2:3]
	global_load_dword v0, v[0:1], off
	s_waitcnt vmcnt(25)
	v_lshrrev_b32_e32 v9, 4, v66
	s_waitcnt vmcnt(24)
	v_ashrrev_i32_e32 v10, v59, v67
	v_ashrrev_i32_e32 v11, v63, v67
	v_and_b32_e32 v1, 0xf0f0f0f, v66
	v_and_b32_e32 v9, 0xf0f0f0f, v9
	v_lshlrev_b32_e32 v10, 4, v10
	v_lshlrev_b32_e32 v11, 4, v11
	v_and_or_b32 v1, v10, s1, v1
	v_and_or_b32 v9, v11, s1, v9
	ds_write2_b32 v96, v1, v9 offset1:8
	s_waitcnt vmcnt(23)
	v_lshrrev_b32_e32 v9, 4, v130
	s_waitcnt vmcnt(22)
	v_ashrrev_i32_e32 v10, v59, v131
	v_ashrrev_i32_e32 v11, v63, v131
	v_and_b32_e32 v1, 0xf0f0f0f, v130
	v_and_b32_e32 v9, 0xf0f0f0f, v9
	v_lshlrev_b32_e32 v10, 4, v10
	v_lshlrev_b32_e32 v11, 4, v11
	v_and_or_b32 v1, v10, s1, v1
	v_and_or_b32 v9, v11, s1, v9
	ds_write2_b32 v100, v1, v9 offset1:8
	;; [unrolled: 12-line block ×6, first 2 shown]
	s_waitcnt vmcnt(13)
	ds_write_b32 v61, v134
	s_waitcnt vmcnt(12)
	v_ashrrev_i32_e32 v1, v65, v135
	v_and_b32_e32 v1, 0xf0f0f0f, v1
	s_waitcnt vmcnt(11)
	v_ashrrev_i32_e32 v9, v58, v136
	v_and_or_b32 v1, v9, s9, v1
	ds_write_b32 v239, v1
	s_waitcnt vmcnt(10)
	v_ashrrev_i32_e32 v1, v65, v137
	v_and_b32_e32 v1, 0xf0f0f0f, v1
	s_waitcnt vmcnt(9)
	v_ashrrev_i32_e32 v9, v58, v138
	v_and_or_b32 v1, v9, s9, v1
	ds_write_b32 v240, v1
	s_waitcnt vmcnt(8)
	ds_write_b32 v75, v139
	s_waitcnt vmcnt(7)
	;; [unrolled: 2-line block ×9, first 2 shown]
	ds_write_b32 v69, v0
	s_waitcnt lgkmcnt(0)
	s_barrier
	ds_read_b32 v0, v119
	ds_read_b32 v1, v123 offset:128
	ds_read_b32 v2, v145 offset:256
	;; [unrolled: 1-line block ×3, first 2 shown]
	s_mov_b64 s[4:5], -1
	s_waitcnt lgkmcnt(3)
	v_cvt_f32_f16_e32 v128, v0
	v_cvt_f32_f16_sdwa v130, v0 dst_sel:DWORD dst_unused:UNUSED_PAD src0_sel:WORD_1
	s_waitcnt lgkmcnt(2)
	v_cvt_f32_f16_e32 v132, v1
	v_cvt_f32_f16_sdwa v134, v1 dst_sel:DWORD dst_unused:UNUSED_PAD src0_sel:WORD_1
	;; [unrolled: 3-line block ×4, first 2 shown]
	v_mov_b32_e32 v129, v128
	v_mov_b32_e32 v131, v130
	;; [unrolled: 1-line block ×8, first 2 shown]
.LBB174_6:                              ;   Parent Loop BB174_5 Depth=1
                                        ; =>  This Inner Loop Header: Depth=2
	s_lshl_b32 s18, s19, 1
	s_lshr_b32 s20, s19, 2
	v_or_b32_e32 v0, s18, v57
	s_add_i32 s20, s20, 0xa200
	v_lshlrev_b32_e32 v1, 2, v0
	v_lshrrev_b32_e32 v48, 1, v0
	v_lshlrev_b32_e32 v244, 2, v71
	v_lshlrev_b32_e32 v245, 2, v55
	s_lshl_b32 s19, s19, 3
	ds_read_b128 v[12:15], v1 offset:33280
	ds_read_b128 v[8:11], v1 offset:33296
	;; [unrolled: 1-line block ×4, first 2 shown]
	ds_read_b64 v[224:225], v48 offset:43584
	v_add3_u32 v48, s20, v244, v245
	v_add_u32_e32 v49, s19, v217
	ds_read2_b32 v[194:195], v49 offset1:1
	ds_read2_b32 v[202:203], v49 offset0:2 offset1:3
	ds_read2_b32 v[206:207], v49 offset0:4 offset1:5
	;; [unrolled: 1-line block ×3, first 2 shown]
	ds_read_u16 v51, v48
	ds_read_u8 v66, v48 offset:8
	ds_read_u8 v48, v48 offset:9
	v_lshlrev_b32_e32 v246, 2, v121
	ds_read2_b32 v[190:191], v49 offset0:8 offset1:9
	ds_read2_b32 v[218:219], v49 offset0:10 offset1:11
	;; [unrolled: 1-line block ×4, first 2 shown]
	s_waitcnt lgkmcnt(4)
	v_cvt_f32_ubyte0_e32 v216, v48
	v_add3_u32 v48, s20, v246, v241
	v_add_u32_e32 v49, s19, v234
	v_and_b32_e32 v250, 0xff, v51
	v_lshrrev_b16_e32 v253, 8, v51
	ds_read2_b32 v[164:165], v49 offset1:1
	ds_read2_b32 v[172:173], v49 offset0:2 offset1:3
	ds_read2_b32 v[174:175], v49 offset0:4 offset1:5
	;; [unrolled: 1-line block ×3, first 2 shown]
	ds_read_u16 v51, v48
	ds_read_u8 v67, v48 offset:8
	ds_read_u8 v48, v48 offset:9
	v_lshlrev_b32_e32 v247, 2, v127
	ds_read2_b32 v[160:161], v49 offset0:8 offset1:9
	ds_read2_b32 v[198:199], v49 offset0:10 offset1:11
	;; [unrolled: 1-line block ×4, first 2 shown]
	s_waitcnt lgkmcnt(4)
	v_cvt_f32_ubyte0_e32 v192, v48
	v_add3_u32 v48, s20, v247, v242
	v_add_u32_e32 v49, s19, v235
	v_and_b32_e32 v197, 0xff, v51
	v_cvt_f32_ubyte0_e32 v156, v67
	v_lshrrev_b16_e32 v251, 8, v51
	ds_read2_b32 v[168:169], v49 offset1:1
	ds_read2_b32 v[178:179], v49 offset0:2 offset1:3
	ds_read2_b32 v[180:181], v49 offset0:4 offset1:5
	;; [unrolled: 1-line block ×3, first 2 shown]
	ds_read_u16 v51, v48
	ds_read_u8 v67, v48 offset:8
	ds_read_u8 v48, v48 offset:9
	ds_read2_b32 v[162:163], v49 offset0:8 offset1:9
	ds_read2_b32 v[208:209], v49 offset0:10 offset1:11
	;; [unrolled: 1-line block ×4, first 2 shown]
	v_add_u32_e32 v49, s19, v236
	ds_read2_b32 v[170:171], v49 offset1:1
	ds_read2_b32 v[184:185], v49 offset0:2 offset1:3
	ds_read2_b32 v[186:187], v49 offset0:4 offset1:5
	;; [unrolled: 1-line block ×3, first 2 shown]
	v_mov_b32_e32 v53, 0
	v_mov_b32_e32 v254, 0
	;; [unrolled: 1-line block ×3, first 2 shown]
	s_waitcnt lgkmcnt(10)
	v_and_b32_e32 v249, 0xff, v51
	v_lshrrev_b16_e32 v252, 8, v51
	v_mov_b32_e32 v51, 0
	v_dot4c_i32_i8_e32 v53, v194, v12
	v_dot4c_i32_i8_e32 v254, v164, v12
	;; [unrolled: 1-line block ×3, first 2 shown]
	s_waitcnt lgkmcnt(3)
	v_dot4c_i32_i8_e32 v51, v170, v12
	v_dot4c_i32_i8_e32 v53, v195, v13
	;; [unrolled: 1-line block ×8, first 2 shown]
	s_waitcnt lgkmcnt(2)
	v_dot4c_i32_i8_e32 v51, v184, v14
	v_dot4c_i32_i8_e32 v53, v203, v15
	;; [unrolled: 1-line block ×8, first 2 shown]
	v_lshlrev_b32_e32 v248, 2, v147
	s_waitcnt lgkmcnt(1)
	v_dot4c_i32_i8_e32 v51, v186, v8
	v_dot4c_i32_i8_e32 v53, v207, v9
	;; [unrolled: 1-line block ×4, first 2 shown]
	v_cvt_f32_ubyte0_e32 v196, v48
	v_add3_u32 v48, s20, v248, v243
	v_dot4c_i32_i8_e32 v51, v187, v9
	v_dot4c_i32_i8_e32 v53, v210, v10
	;; [unrolled: 1-line block ×4, first 2 shown]
	s_waitcnt lgkmcnt(0)
	v_dot4c_i32_i8_e32 v51, v188, v10
	ds_read_u16 v8, v48
	ds_read_u8 v9, v48 offset:8
	ds_read_u8 v10, v48 offset:9
	ds_read2_b32 v[154:155], v49 offset0:8 offset1:9
	ds_read2_b32 v[148:149], v49 offset0:10 offset1:11
	;; [unrolled: 1-line block ×4, first 2 shown]
	v_cvt_f32_ubyte0_e32 v166, v66
	v_mov_b32_e32 v66, 0
	v_mov_b32_e32 v62, 0
	;; [unrolled: 1-line block ×4, first 2 shown]
	v_dot4c_i32_i8_e32 v66, v190, v4
	v_dot4c_i32_i8_e32 v62, v160, v4
	v_dot4c_i32_i8_e32 v70, v162, v4
	s_waitcnt lgkmcnt(3)
	v_dot4c_i32_i8_e32 v74, v154, v4
	v_dot4c_i32_i8_e32 v66, v191, v5
	v_dot4c_i32_i8_e32 v62, v161, v5
	v_dot4c_i32_i8_e32 v70, v163, v5
	v_dot4c_i32_i8_e32 v74, v155, v5
	v_dot4c_i32_i8_e32 v66, v218, v6
	v_dot4c_i32_i8_e32 v62, v198, v6
	v_dot4c_i32_i8_e32 v70, v208, v6
	s_waitcnt lgkmcnt(2)
	v_dot4c_i32_i8_e32 v74, v148, v6
	v_dot4c_i32_i8_e32 v66, v219, v7
	v_dot4c_i32_i8_e32 v62, v199, v7
	v_dot4c_i32_i8_e32 v70, v209, v7
	v_dot4c_i32_i8_e32 v74, v149, v7
	;; [unrolled: 9-line block ×3, first 2 shown]
	v_or_b32_e32 v0, s18, v79
	v_dot4c_i32_i8_e32 v66, v222, v2
	v_dot4c_i32_i8_e32 v62, v204, v2
	;; [unrolled: 1-line block ×3, first 2 shown]
	s_waitcnt lgkmcnt(0)
	v_dot4c_i32_i8_e32 v74, v152, v2
	v_lshlrev_b32_e32 v1, 2, v0
	v_dot4c_i32_i8_e32 v53, v211, v11
	v_dot4c_i32_i8_e32 v66, v223, v3
	;; [unrolled: 1-line block ×7, first 2 shown]
	v_and_b32_e32 v167, 0xff, v8
	v_cvt_f32_ubyte0_e32 v146, v9
	v_dot4c_i32_i8_e32 v74, v153, v3
	v_lshrrev_b16_e32 v159, 8, v8
	v_cvt_f32_ubyte0_e32 v144, v10
	v_lshrrev_b32_e32 v48, 1, v0
	ds_read_b128 v[12:15], v1 offset:33280
	ds_read_b128 v[8:11], v1 offset:33296
	;; [unrolled: 1-line block ×4, first 2 shown]
	ds_read_b64 v[228:229], v48 offset:43584
	v_mov_b32_e32 v48, 0
	v_cvt_f32_ubyte0_e32 v158, v67
	s_waitcnt lgkmcnt(4)
	v_dot4c_i32_i8_e32 v48, v194, v12
	v_mov_b32_e32 v67, 0
	v_dot4c_i32_i8_e32 v48, v195, v13
	s_waitcnt lgkmcnt(2)
	v_dot4c_i32_i8_e32 v67, v190, v4
	v_dot4c_i32_i8_e32 v48, v202, v14
	;; [unrolled: 1-line block ×8, first 2 shown]
	s_waitcnt lgkmcnt(1)
	v_dot4c_i32_i8_e32 v67, v220, v0
	v_dot4c_i32_i8_e32 v48, v210, v10
	;; [unrolled: 1-line block ×6, first 2 shown]
	s_waitcnt lgkmcnt(0)
	v_cvt_f32_f16_sdwa v233, v228 dst_sel:DWORD dst_unused:UNUSED_PAD src0_sel:WORD_1
	v_cvt_f32_f16_sdwa v232, v224 dst_sel:DWORD dst_unused:UNUSED_PAD src0_sel:WORD_1
	v_mul_lo_u32 v49, v53, v250
	v_mul_lo_u32 v48, v48, v250
	v_cvt_f32_f16_e32 v231, v228
	v_cvt_f32_f16_e32 v230, v224
	;; [unrolled: 1-line block ×4, first 2 shown]
	v_cvt_f32_f16_sdwa v229, v229 dst_sel:DWORD dst_unused:UNUSED_PAD src0_sel:WORD_1
	v_cvt_f32_f16_sdwa v228, v225 dst_sel:DWORD dst_unused:UNUSED_PAD src0_sel:WORD_1
	v_cvt_f32_i32_e32 v225, v48
	v_cvt_f32_i32_e32 v224, v49
	v_mul_lo_u32 v53, v66, v253
	v_mul_lo_u32 v66, v67, v253
	v_cvt_f32_i32_e32 v67, v66
	v_cvt_f32_i32_e32 v66, v53
	v_pk_fma_f32 v[48:49], v[166:167], v[232:233], 0 op_sel_hi:[0,1,0]
	v_pk_fma_f32 v[224:225], v[230:231], v[224:225], 0 op_sel_hi:[1,1,0]
	;; [unrolled: 1-line block ×3, first 2 shown]
	v_pk_fma_f32 v[66:67], v[226:227], v[66:67], v[224:225]
	v_pk_mul_f32 v[48:49], v[48:49], v[130:131]
	v_pk_fma_f32 v[48:49], v[66:67], v[128:129], v[48:49] neg_lo:[0,0,1] neg_hi:[0,0,1]
	v_pk_add_f32 v[46:47], v[46:47], v[48:49]
	v_mov_b32_e32 v48, 0
	v_dot4c_i32_i8_e32 v48, v164, v12
	v_mov_b32_e32 v53, 0
	v_dot4c_i32_i8_e32 v48, v165, v13
	v_dot4c_i32_i8_e32 v53, v160, v4
	;; [unrolled: 1-line block ×15, first 2 shown]
	v_mul_lo_u32 v66, v254, v197
	v_mul_lo_u32 v48, v48, v197
	v_cvt_f32_i32_e32 v49, v48
	v_cvt_f32_i32_e32 v48, v66
	v_mul_lo_u32 v62, v62, v251
	v_mul_lo_u32 v53, v53, v251
	v_cvt_f32_i32_e32 v225, v53
	v_cvt_f32_i32_e32 v224, v62
	v_pk_fma_f32 v[66:67], v[156:157], v[232:233], 0 op_sel_hi:[0,1,0]
	v_pk_fma_f32 v[48:49], v[230:231], v[48:49], 0 op_sel_hi:[1,1,0]
	;; [unrolled: 1-line block ×3, first 2 shown]
	v_pk_fma_f32 v[48:49], v[226:227], v[224:225], v[48:49]
	v_pk_mul_f32 v[66:67], v[66:67], v[134:135]
	v_pk_fma_f32 v[48:49], v[48:49], v[132:133], v[66:67] neg_lo:[0,0,1] neg_hi:[0,0,1]
	v_pk_add_f32 v[44:45], v[44:45], v[48:49]
	v_mov_b32_e32 v48, 0
	v_dot4c_i32_i8_e32 v48, v168, v12
	v_mov_b32_e32 v53, 0
	v_dot4c_i32_i8_e32 v48, v169, v13
	v_dot4c_i32_i8_e32 v53, v162, v4
	;; [unrolled: 1-line block ×15, first 2 shown]
	v_mul_lo_u32 v62, v255, v249
	v_mul_lo_u32 v48, v48, v249
	v_cvt_f32_i32_e32 v49, v48
	v_cvt_f32_i32_e32 v48, v62
	v_mul_lo_u32 v62, v70, v252
	v_mul_lo_u32 v53, v53, v252
	v_cvt_f32_i32_e32 v225, v53
	v_cvt_f32_i32_e32 v224, v62
	v_pk_fma_f32 v[66:67], v[158:159], v[232:233], 0 op_sel_hi:[0,1,0]
	v_pk_fma_f32 v[48:49], v[230:231], v[48:49], 0 op_sel_hi:[1,1,0]
	;; [unrolled: 1-line block ×3, first 2 shown]
	v_pk_fma_f32 v[48:49], v[226:227], v[224:225], v[48:49]
	v_pk_mul_f32 v[66:67], v[66:67], v[138:139]
	v_pk_fma_f32 v[48:49], v[48:49], v[136:137], v[66:67] neg_lo:[0,0,1] neg_hi:[0,0,1]
	v_pk_add_f32 v[42:43], v[42:43], v[48:49]
	v_mov_b32_e32 v48, 0
	v_dot4c_i32_i8_e32 v48, v170, v12
	v_dot4c_i32_i8_e32 v48, v171, v13
	;; [unrolled: 1-line block ×5, first 2 shown]
	v_mov_b32_e32 v8, 0
	v_dot4c_i32_i8_e32 v8, v154, v4
	v_dot4c_i32_i8_e32 v8, v155, v5
	;; [unrolled: 1-line block ×11, first 2 shown]
	v_mul_lo_u32 v0, v51, v167
	v_mul_lo_u32 v1, v48, v167
	v_cvt_f32_i32_e32 v1, v1
	v_cvt_f32_i32_e32 v0, v0
	v_mul_lo_u32 v4, v74, v159
	v_mul_lo_u32 v5, v8, v159
	v_cvt_f32_i32_e32 v5, v5
	v_cvt_f32_i32_e32 v4, v4
	v_pk_fma_f32 v[2:3], v[146:147], v[232:233], 0 op_sel_hi:[0,1,0]
	v_pk_fma_f32 v[0:1], v[230:231], v[0:1], 0 op_sel_hi:[1,1,0]
	v_pk_fma_f32 v[2:3], v[144:145], v[228:229], v[2:3] op_sel_hi:[0,1,1]
	v_pk_fma_f32 v[0:1], v[226:227], v[4:5], v[0:1]
	v_pk_mul_f32 v[2:3], v[2:3], v[142:143]
	v_pk_fma_f32 v[0:1], v[0:1], v[140:141], v[2:3] neg_lo:[0,0,1] neg_hi:[0,0,1]
	v_pk_add_f32 v[40:41], v[40:41], v[0:1]
	v_or_b32_e32 v0, s18, v85
	v_lshlrev_b32_e32 v1, 2, v0
	v_lshrrev_b32_e32 v48, 1, v0
	ds_read_b128 v[12:15], v1 offset:33280
	ds_read_b128 v[8:11], v1 offset:33296
	;; [unrolled: 1-line block ×4, first 2 shown]
	ds_read_b64 v[224:225], v48 offset:43584
	v_mov_b32_e32 v51, 0
	v_mov_b32_e32 v53, 0
	;; [unrolled: 1-line block ×8, first 2 shown]
	s_waitcnt lgkmcnt(4)
	v_dot4c_i32_i8_e32 v51, v194, v12
	s_waitcnt lgkmcnt(2)
	v_dot4c_i32_i8_e32 v53, v190, v4
	v_dot4c_i32_i8_e32 v62, v164, v12
	;; [unrolled: 1-line block ×32, first 2 shown]
	s_waitcnt lgkmcnt(1)
	v_dot4c_i32_i8_e32 v53, v220, v0
	v_dot4c_i32_i8_e32 v62, v174, v8
	;; [unrolled: 1-line block ×15, first 2 shown]
	v_or_b32_e32 v0, s18, v91
	v_dot4c_i32_i8_e32 v51, v210, v10
	v_dot4c_i32_i8_e32 v53, v222, v2
	;; [unrolled: 1-line block ×8, first 2 shown]
	v_lshlrev_b32_e32 v1, 2, v0
	v_lshrrev_b32_e32 v48, 1, v0
	v_dot4c_i32_i8_e32 v51, v211, v11
	v_dot4c_i32_i8_e32 v53, v223, v3
	;; [unrolled: 1-line block ×8, first 2 shown]
	ds_read_b128 v[12:15], v1 offset:33280
	ds_read_b128 v[8:11], v1 offset:33296
	;; [unrolled: 1-line block ×4, first 2 shown]
	ds_read_b64 v[48:49], v48 offset:43584
	v_mov_b32_e32 v66, 0
	s_waitcnt lgkmcnt(4)
	v_dot4c_i32_i8_e32 v66, v194, v12
	v_mov_b32_e32 v82, 0
	v_dot4c_i32_i8_e32 v66, v195, v13
	s_waitcnt lgkmcnt(2)
	v_dot4c_i32_i8_e32 v82, v190, v4
	v_dot4c_i32_i8_e32 v66, v202, v14
	;; [unrolled: 1-line block ×8, first 2 shown]
	s_waitcnt lgkmcnt(1)
	v_dot4c_i32_i8_e32 v82, v220, v0
	v_dot4c_i32_i8_e32 v66, v210, v10
	;; [unrolled: 1-line block ×6, first 2 shown]
	s_waitcnt lgkmcnt(0)
	v_cvt_f32_f16_e32 v231, v48
	v_cvt_f32_f16_sdwa v233, v48 dst_sel:DWORD dst_unused:UNUSED_PAD src0_sel:WORD_1
	v_cvt_f32_f16_sdwa v232, v224 dst_sel:DWORD dst_unused:UNUSED_PAD src0_sel:WORD_1
	v_cvt_f32_f16_e32 v227, v49
	v_cvt_f32_f16_sdwa v229, v49 dst_sel:DWORD dst_unused:UNUSED_PAD src0_sel:WORD_1
	v_mul_lo_u32 v48, v51, v250
	v_mul_lo_u32 v49, v66, v250
	v_cvt_f32_f16_e32 v230, v224
	v_cvt_f32_f16_sdwa v228, v225 dst_sel:DWORD dst_unused:UNUSED_PAD src0_sel:WORD_1
	v_cvt_f32_i32_e32 v49, v49
	v_cvt_f32_i32_e32 v48, v48
	v_mul_lo_u32 v51, v53, v253
	v_mul_lo_u32 v53, v82, v253
	v_cvt_f32_f16_e32 v226, v225
	v_cvt_f32_i32_e32 v225, v53
	v_cvt_f32_i32_e32 v224, v51
	v_pk_fma_f32 v[66:67], v[166:167], v[232:233], 0 op_sel_hi:[0,1,0]
	v_pk_fma_f32 v[48:49], v[48:49], v[230:231], 0 op_sel_hi:[1,1,0]
	;; [unrolled: 1-line block ×3, first 2 shown]
	v_pk_fma_f32 v[48:49], v[224:225], v[226:227], v[48:49]
	v_pk_mul_f32 v[66:67], v[66:67], v[130:131]
	v_pk_fma_f32 v[48:49], v[48:49], v[128:129], v[66:67] neg_lo:[0,0,1] neg_hi:[0,0,1]
	v_pk_add_f32 v[38:39], v[38:39], v[48:49]
	v_mov_b32_e32 v48, 0
	v_dot4c_i32_i8_e32 v48, v164, v12
	v_mov_b32_e32 v51, 0
	v_dot4c_i32_i8_e32 v48, v165, v13
	v_dot4c_i32_i8_e32 v51, v160, v4
	;; [unrolled: 1-line block ×15, first 2 shown]
	v_mul_lo_u32 v53, v62, v197
	v_mul_lo_u32 v48, v48, v197
	v_cvt_f32_i32_e32 v49, v48
	v_cvt_f32_i32_e32 v48, v53
	v_mul_lo_u32 v53, v70, v251
	v_mul_lo_u32 v51, v51, v251
	v_cvt_f32_i32_e32 v225, v51
	v_cvt_f32_i32_e32 v224, v53
	v_pk_fma_f32 v[66:67], v[156:157], v[232:233], 0 op_sel_hi:[0,1,0]
	v_pk_fma_f32 v[48:49], v[48:49], v[230:231], 0 op_sel_hi:[1,1,0]
	;; [unrolled: 1-line block ×3, first 2 shown]
	v_pk_fma_f32 v[48:49], v[224:225], v[226:227], v[48:49]
	v_pk_mul_f32 v[66:67], v[66:67], v[134:135]
	v_pk_fma_f32 v[48:49], v[48:49], v[132:133], v[66:67] neg_lo:[0,0,1] neg_hi:[0,0,1]
	v_pk_add_f32 v[36:37], v[36:37], v[48:49]
	v_mov_b32_e32 v48, 0
	v_dot4c_i32_i8_e32 v48, v168, v12
	v_mov_b32_e32 v51, 0
	v_dot4c_i32_i8_e32 v48, v169, v13
	v_dot4c_i32_i8_e32 v51, v162, v4
	;; [unrolled: 1-line block ×15, first 2 shown]
	v_mul_lo_u32 v53, v74, v249
	v_mul_lo_u32 v48, v48, v249
	v_cvt_f32_i32_e32 v49, v48
	v_cvt_f32_i32_e32 v48, v53
	v_mul_lo_u32 v53, v254, v252
	v_mul_lo_u32 v51, v51, v252
	v_cvt_f32_i32_e32 v225, v51
	v_cvt_f32_i32_e32 v224, v53
	v_pk_fma_f32 v[66:67], v[158:159], v[232:233], 0 op_sel_hi:[0,1,0]
	v_pk_fma_f32 v[48:49], v[48:49], v[230:231], 0 op_sel_hi:[1,1,0]
	;; [unrolled: 1-line block ×3, first 2 shown]
	v_pk_fma_f32 v[48:49], v[224:225], v[226:227], v[48:49]
	v_pk_mul_f32 v[66:67], v[66:67], v[138:139]
	v_pk_fma_f32 v[48:49], v[48:49], v[136:137], v[66:67] neg_lo:[0,0,1] neg_hi:[0,0,1]
	v_pk_add_f32 v[34:35], v[34:35], v[48:49]
	v_mov_b32_e32 v48, 0
	v_dot4c_i32_i8_e32 v48, v170, v12
	v_dot4c_i32_i8_e32 v48, v171, v13
	;; [unrolled: 1-line block ×5, first 2 shown]
	v_mov_b32_e32 v8, 0
	v_dot4c_i32_i8_e32 v8, v154, v4
	v_dot4c_i32_i8_e32 v8, v155, v5
	;; [unrolled: 1-line block ×11, first 2 shown]
	v_mul_lo_u32 v0, v255, v167
	v_mul_lo_u32 v1, v48, v167
	v_cvt_f32_i32_e32 v1, v1
	v_cvt_f32_i32_e32 v0, v0
	v_mul_lo_u32 v4, v78, v159
	v_mul_lo_u32 v5, v8, v159
	v_cvt_f32_i32_e32 v5, v5
	v_cvt_f32_i32_e32 v4, v4
	v_pk_fma_f32 v[2:3], v[146:147], v[232:233], 0 op_sel_hi:[0,1,0]
	v_pk_fma_f32 v[0:1], v[0:1], v[230:231], 0 op_sel_hi:[1,1,0]
	;; [unrolled: 1-line block ×3, first 2 shown]
	v_pk_fma_f32 v[0:1], v[4:5], v[226:227], v[0:1]
	v_pk_mul_f32 v[2:3], v[2:3], v[142:143]
	v_pk_fma_f32 v[0:1], v[0:1], v[140:141], v[2:3] neg_lo:[0,0,1] neg_hi:[0,0,1]
	v_pk_add_f32 v[32:33], v[32:33], v[0:1]
	v_or_b32_e32 v0, s18, v97
	v_lshlrev_b32_e32 v1, 2, v0
	v_lshrrev_b32_e32 v48, 1, v0
	ds_read_b128 v[12:15], v1 offset:33280
	ds_read_b128 v[8:11], v1 offset:33296
	;; [unrolled: 1-line block ×4, first 2 shown]
	ds_read_b64 v[224:225], v48 offset:43584
	v_mov_b32_e32 v51, 0
	v_mov_b32_e32 v53, 0
	;; [unrolled: 1-line block ×8, first 2 shown]
	s_waitcnt lgkmcnt(4)
	v_dot4c_i32_i8_e32 v51, v194, v12
	s_waitcnt lgkmcnt(2)
	v_dot4c_i32_i8_e32 v53, v190, v4
	v_dot4c_i32_i8_e32 v62, v164, v12
	;; [unrolled: 1-line block ×32, first 2 shown]
	s_waitcnt lgkmcnt(1)
	v_dot4c_i32_i8_e32 v53, v220, v0
	v_dot4c_i32_i8_e32 v62, v174, v8
	;; [unrolled: 1-line block ×15, first 2 shown]
	v_or_b32_e32 v0, s18, v103
	v_dot4c_i32_i8_e32 v51, v210, v10
	v_dot4c_i32_i8_e32 v53, v222, v2
	v_dot4c_i32_i8_e32 v62, v176, v10
	v_dot4c_i32_i8_e32 v70, v204, v2
	v_dot4c_i32_i8_e32 v74, v182, v10
	v_dot4c_i32_i8_e32 v78, v214, v2
	v_dot4c_i32_i8_e32 v82, v188, v10
	v_dot4c_i32_i8_e32 v254, v152, v2
	v_lshlrev_b32_e32 v1, 2, v0
	v_lshrrev_b32_e32 v48, 1, v0
	v_dot4c_i32_i8_e32 v51, v211, v11
	v_dot4c_i32_i8_e32 v53, v223, v3
	;; [unrolled: 1-line block ×8, first 2 shown]
	ds_read_b128 v[12:15], v1 offset:33280
	ds_read_b128 v[8:11], v1 offset:33296
	;; [unrolled: 1-line block ×4, first 2 shown]
	ds_read_b64 v[48:49], v48 offset:43584
	v_mov_b32_e32 v66, 0
	s_waitcnt lgkmcnt(4)
	v_dot4c_i32_i8_e32 v66, v194, v12
	v_mov_b32_e32 v255, 0
	v_dot4c_i32_i8_e32 v66, v195, v13
	s_waitcnt lgkmcnt(2)
	v_dot4c_i32_i8_e32 v255, v190, v4
	v_dot4c_i32_i8_e32 v66, v202, v14
	;; [unrolled: 1-line block ×8, first 2 shown]
	s_waitcnt lgkmcnt(1)
	v_dot4c_i32_i8_e32 v255, v220, v0
	v_dot4c_i32_i8_e32 v66, v210, v10
	;; [unrolled: 1-line block ×6, first 2 shown]
	s_waitcnt lgkmcnt(0)
	v_cvt_f32_f16_e32 v231, v48
	v_cvt_f32_f16_sdwa v233, v48 dst_sel:DWORD dst_unused:UNUSED_PAD src0_sel:WORD_1
	v_cvt_f32_f16_sdwa v232, v224 dst_sel:DWORD dst_unused:UNUSED_PAD src0_sel:WORD_1
	v_cvt_f32_f16_e32 v227, v49
	v_cvt_f32_f16_sdwa v229, v49 dst_sel:DWORD dst_unused:UNUSED_PAD src0_sel:WORD_1
	v_mul_lo_u32 v48, v51, v250
	v_mul_lo_u32 v49, v66, v250
	v_cvt_f32_f16_e32 v230, v224
	v_cvt_f32_f16_sdwa v228, v225 dst_sel:DWORD dst_unused:UNUSED_PAD src0_sel:WORD_1
	v_cvt_f32_i32_e32 v49, v49
	v_cvt_f32_i32_e32 v48, v48
	v_mul_lo_u32 v51, v53, v253
	v_mul_lo_u32 v53, v255, v253
	v_cvt_f32_f16_e32 v226, v225
	v_cvt_f32_i32_e32 v225, v53
	v_cvt_f32_i32_e32 v224, v51
	v_pk_fma_f32 v[66:67], v[166:167], v[232:233], 0 op_sel_hi:[0,1,0]
	v_pk_fma_f32 v[48:49], v[48:49], v[230:231], 0 op_sel_hi:[1,1,0]
	;; [unrolled: 1-line block ×3, first 2 shown]
	v_pk_fma_f32 v[48:49], v[224:225], v[226:227], v[48:49]
	v_pk_mul_f32 v[66:67], v[66:67], v[130:131]
	v_pk_fma_f32 v[48:49], v[48:49], v[128:129], v[66:67] neg_lo:[0,0,1] neg_hi:[0,0,1]
	v_pk_add_f32 v[30:31], v[30:31], v[48:49]
	v_mov_b32_e32 v48, 0
	v_dot4c_i32_i8_e32 v48, v164, v12
	v_mov_b32_e32 v51, 0
	v_dot4c_i32_i8_e32 v48, v165, v13
	v_dot4c_i32_i8_e32 v51, v160, v4
	;; [unrolled: 1-line block ×15, first 2 shown]
	v_mul_lo_u32 v53, v62, v197
	v_mul_lo_u32 v48, v48, v197
	v_cvt_f32_i32_e32 v49, v48
	v_cvt_f32_i32_e32 v48, v53
	v_mul_lo_u32 v53, v70, v251
	v_mul_lo_u32 v51, v51, v251
	v_cvt_f32_i32_e32 v225, v51
	v_cvt_f32_i32_e32 v224, v53
	v_pk_fma_f32 v[66:67], v[156:157], v[232:233], 0 op_sel_hi:[0,1,0]
	v_pk_fma_f32 v[48:49], v[48:49], v[230:231], 0 op_sel_hi:[1,1,0]
	;; [unrolled: 1-line block ×3, first 2 shown]
	v_pk_fma_f32 v[48:49], v[224:225], v[226:227], v[48:49]
	v_pk_mul_f32 v[66:67], v[66:67], v[134:135]
	v_pk_fma_f32 v[48:49], v[48:49], v[132:133], v[66:67] neg_lo:[0,0,1] neg_hi:[0,0,1]
	v_pk_add_f32 v[28:29], v[28:29], v[48:49]
	v_mov_b32_e32 v48, 0
	v_dot4c_i32_i8_e32 v48, v168, v12
	v_mov_b32_e32 v51, 0
	v_dot4c_i32_i8_e32 v48, v169, v13
	v_dot4c_i32_i8_e32 v51, v162, v4
	;; [unrolled: 1-line block ×15, first 2 shown]
	v_mul_lo_u32 v53, v74, v249
	v_mul_lo_u32 v48, v48, v249
	v_cvt_f32_i32_e32 v49, v48
	v_cvt_f32_i32_e32 v48, v53
	v_mul_lo_u32 v53, v78, v252
	v_mul_lo_u32 v51, v51, v252
	v_cvt_f32_i32_e32 v225, v51
	v_cvt_f32_i32_e32 v224, v53
	v_pk_fma_f32 v[66:67], v[158:159], v[232:233], 0 op_sel_hi:[0,1,0]
	v_pk_fma_f32 v[48:49], v[48:49], v[230:231], 0 op_sel_hi:[1,1,0]
	;; [unrolled: 1-line block ×3, first 2 shown]
	v_pk_fma_f32 v[48:49], v[224:225], v[226:227], v[48:49]
	v_pk_mul_f32 v[66:67], v[66:67], v[138:139]
	v_pk_fma_f32 v[48:49], v[48:49], v[136:137], v[66:67] neg_lo:[0,0,1] neg_hi:[0,0,1]
	v_pk_add_f32 v[26:27], v[26:27], v[48:49]
	v_mov_b32_e32 v48, 0
	v_dot4c_i32_i8_e32 v48, v170, v12
	v_dot4c_i32_i8_e32 v48, v171, v13
	;; [unrolled: 1-line block ×5, first 2 shown]
	v_mov_b32_e32 v8, 0
	v_dot4c_i32_i8_e32 v8, v154, v4
	v_dot4c_i32_i8_e32 v8, v155, v5
	;; [unrolled: 1-line block ×11, first 2 shown]
	v_mul_lo_u32 v0, v82, v167
	v_mul_lo_u32 v1, v48, v167
	v_cvt_f32_i32_e32 v1, v1
	v_cvt_f32_i32_e32 v0, v0
	v_mul_lo_u32 v4, v254, v159
	v_mul_lo_u32 v5, v8, v159
	v_cvt_f32_i32_e32 v5, v5
	v_cvt_f32_i32_e32 v4, v4
	v_pk_fma_f32 v[2:3], v[146:147], v[232:233], 0 op_sel_hi:[0,1,0]
	v_pk_fma_f32 v[0:1], v[0:1], v[230:231], 0 op_sel_hi:[1,1,0]
	;; [unrolled: 1-line block ×3, first 2 shown]
	v_pk_fma_f32 v[0:1], v[4:5], v[226:227], v[0:1]
	v_pk_mul_f32 v[2:3], v[2:3], v[142:143]
	v_pk_fma_f32 v[0:1], v[0:1], v[140:141], v[2:3] neg_lo:[0,0,1] neg_hi:[0,0,1]
	v_pk_add_f32 v[24:25], v[24:25], v[0:1]
	v_or_b32_e32 v0, s18, v109
	v_lshlrev_b32_e32 v1, 2, v0
	v_lshrrev_b32_e32 v48, 1, v0
	ds_read_b128 v[12:15], v1 offset:33280
	ds_read_b128 v[8:11], v1 offset:33296
	ds_read_b128 v[4:7], v1 offset:33312
	ds_read_b128 v[0:3], v1 offset:33328
	ds_read_b64 v[224:225], v48 offset:43584
	v_mov_b32_e32 v51, 0
	v_mov_b32_e32 v53, 0
	;; [unrolled: 1-line block ×8, first 2 shown]
	s_waitcnt lgkmcnt(4)
	v_dot4c_i32_i8_e32 v51, v194, v12
	s_waitcnt lgkmcnt(2)
	v_dot4c_i32_i8_e32 v53, v190, v4
	v_dot4c_i32_i8_e32 v62, v164, v12
	;; [unrolled: 1-line block ×32, first 2 shown]
	s_waitcnt lgkmcnt(1)
	v_dot4c_i32_i8_e32 v53, v220, v0
	v_dot4c_i32_i8_e32 v62, v174, v8
	v_dot4c_i32_i8_e32 v70, v200, v0
	v_dot4c_i32_i8_e32 v74, v180, v8
	v_dot4c_i32_i8_e32 v78, v212, v0
	v_dot4c_i32_i8_e32 v227, v186, v8
	v_dot4c_i32_i8_e32 v226, v150, v0
	v_dot4c_i32_i8_e32 v51, v207, v9
	v_dot4c_i32_i8_e32 v53, v221, v1
	v_dot4c_i32_i8_e32 v62, v175, v9
	v_dot4c_i32_i8_e32 v70, v201, v1
	v_dot4c_i32_i8_e32 v74, v181, v9
	v_dot4c_i32_i8_e32 v78, v213, v1
	v_dot4c_i32_i8_e32 v227, v187, v9
	v_dot4c_i32_i8_e32 v226, v151, v1
	v_or_b32_e32 v0, s18, v115
	v_dot4c_i32_i8_e32 v51, v210, v10
	v_dot4c_i32_i8_e32 v53, v222, v2
	;; [unrolled: 1-line block ×8, first 2 shown]
	v_lshlrev_b32_e32 v1, 2, v0
	v_lshrrev_b32_e32 v48, 1, v0
	v_dot4c_i32_i8_e32 v51, v211, v11
	v_dot4c_i32_i8_e32 v53, v223, v3
	;; [unrolled: 1-line block ×8, first 2 shown]
	ds_read_b128 v[12:15], v1 offset:33280
	ds_read_b128 v[8:11], v1 offset:33296
	;; [unrolled: 1-line block ×4, first 2 shown]
	ds_read_b64 v[48:49], v48 offset:43584
	v_mov_b32_e32 v66, 0
	s_waitcnt lgkmcnt(4)
	v_dot4c_i32_i8_e32 v66, v194, v12
	v_mov_b32_e32 v82, 0
	v_dot4c_i32_i8_e32 v66, v195, v13
	s_waitcnt lgkmcnt(2)
	v_dot4c_i32_i8_e32 v82, v190, v4
	v_dot4c_i32_i8_e32 v66, v202, v14
	;; [unrolled: 1-line block ×8, first 2 shown]
	s_waitcnt lgkmcnt(1)
	v_dot4c_i32_i8_e32 v82, v220, v0
	v_dot4c_i32_i8_e32 v66, v210, v10
	;; [unrolled: 1-line block ×6, first 2 shown]
	s_waitcnt lgkmcnt(0)
	v_cvt_f32_f16_e32 v207, v48
	v_cvt_f32_f16_sdwa v203, v48 dst_sel:DWORD dst_unused:UNUSED_PAD src0_sel:WORD_1
	v_cvt_f32_f16_sdwa v202, v224 dst_sel:DWORD dst_unused:UNUSED_PAD src0_sel:WORD_1
	v_cvt_f32_f16_e32 v195, v49
	v_cvt_f32_f16_sdwa v191, v49 dst_sel:DWORD dst_unused:UNUSED_PAD src0_sel:WORD_1
	v_mul_lo_u32 v48, v51, v250
	v_mul_lo_u32 v49, v66, v250
	v_cvt_f32_f16_e32 v206, v224
	v_cvt_f32_f16_sdwa v190, v225 dst_sel:DWORD dst_unused:UNUSED_PAD src0_sel:WORD_1
	v_cvt_f32_i32_e32 v49, v49
	v_cvt_f32_i32_e32 v48, v48
	v_mul_lo_u32 v51, v53, v253
	v_mul_lo_u32 v53, v82, v253
	v_cvt_f32_f16_e32 v194, v225
	v_cvt_f32_i32_e32 v211, v53
	v_cvt_f32_i32_e32 v210, v51
	v_pk_fma_f32 v[66:67], v[166:167], v[202:203], 0 op_sel_hi:[0,1,0]
	v_pk_fma_f32 v[48:49], v[48:49], v[206:207], 0 op_sel_hi:[1,1,0]
	;; [unrolled: 1-line block ×3, first 2 shown]
	v_pk_fma_f32 v[48:49], v[210:211], v[194:195], v[48:49]
	v_pk_mul_f32 v[66:67], v[66:67], v[130:131]
	v_pk_fma_f32 v[48:49], v[48:49], v[128:129], v[66:67] neg_lo:[0,0,1] neg_hi:[0,0,1]
	v_pk_add_f32 v[22:23], v[22:23], v[48:49]
	v_mov_b32_e32 v48, 0
	v_dot4c_i32_i8_e32 v48, v164, v12
	v_mov_b32_e32 v51, 0
	v_dot4c_i32_i8_e32 v48, v165, v13
	v_dot4c_i32_i8_e32 v51, v160, v4
	;; [unrolled: 1-line block ×15, first 2 shown]
	v_mul_lo_u32 v53, v62, v197
	v_mul_lo_u32 v48, v48, v197
	v_cvt_f32_i32_e32 v49, v48
	v_cvt_f32_i32_e32 v48, v53
	v_mul_lo_u32 v53, v70, v251
	v_mul_lo_u32 v51, v51, v251
	v_cvt_f32_i32_e32 v161, v51
	v_cvt_f32_i32_e32 v160, v53
	v_pk_fma_f32 v[66:67], v[156:157], v[202:203], 0 op_sel_hi:[0,1,0]
	v_pk_fma_f32 v[48:49], v[48:49], v[206:207], 0 op_sel_hi:[1,1,0]
	v_pk_fma_f32 v[66:67], v[192:193], v[190:191], v[66:67] op_sel_hi:[0,1,1]
	v_pk_fma_f32 v[48:49], v[160:161], v[194:195], v[48:49]
	v_pk_mul_f32 v[66:67], v[66:67], v[134:135]
	v_pk_fma_f32 v[48:49], v[48:49], v[132:133], v[66:67] neg_lo:[0,0,1] neg_hi:[0,0,1]
	v_pk_add_f32 v[20:21], v[20:21], v[48:49]
	v_mov_b32_e32 v48, 0
	v_mov_b32_e32 v156, 0
	v_dot4c_i32_i8_e32 v48, v168, v12
	v_dot4c_i32_i8_e32 v156, v170, v12
	;; [unrolled: 1-line block ×9, first 2 shown]
	v_mov_b32_e32 v51, 0
	v_dot4c_i32_i8_e32 v156, v186, v8
	v_mov_b32_e32 v8, 0
	v_dot4c_i32_i8_e32 v51, v162, v4
	v_dot4c_i32_i8_e32 v8, v154, v4
	;; [unrolled: 1-line block ×21, first 2 shown]
	v_mul_lo_u32 v53, v74, v249
	v_mul_lo_u32 v48, v48, v249
	v_dot4c_i32_i8_e32 v8, v153, v3
	v_mul_lo_u32 v0, v227, v167
	v_mul_lo_u32 v1, v156, v167
	v_cvt_f32_i32_e32 v49, v48
	v_cvt_f32_i32_e32 v48, v53
	v_mul_lo_u32 v53, v78, v252
	v_mul_lo_u32 v51, v51, v252
	v_cvt_f32_i32_e32 v1, v1
	v_cvt_f32_i32_e32 v0, v0
	;; [unrolled: 4-line block ×3, first 2 shown]
	v_cvt_f32_i32_e32 v5, v5
	v_cvt_f32_i32_e32 v4, v4
	v_pk_fma_f32 v[66:67], v[158:159], v[202:203], 0 op_sel_hi:[0,1,0]
	v_pk_fma_f32 v[2:3], v[146:147], v[202:203], 0 op_sel_hi:[0,1,0]
	;; [unrolled: 1-line block ×6, first 2 shown]
	v_pk_fma_f32 v[48:49], v[160:161], v[194:195], v[48:49]
	v_pk_mul_f32 v[66:67], v[66:67], v[138:139]
	v_pk_fma_f32 v[0:1], v[4:5], v[194:195], v[0:1]
	v_pk_mul_f32 v[2:3], v[2:3], v[142:143]
	v_pk_fma_f32 v[48:49], v[48:49], v[136:137], v[66:67] neg_lo:[0,0,1] neg_hi:[0,0,1]
	v_pk_fma_f32 v[0:1], v[0:1], v[140:141], v[2:3] neg_lo:[0,0,1] neg_hi:[0,0,1]
	v_pk_add_f32 v[18:19], v[18:19], v[48:49]
	v_pk_add_f32 v[16:17], v[16:17], v[0:1]
	s_mov_b32 s19, 8
	s_and_b64 vcc, exec, s[4:5]
	s_mov_b64 s[4:5], 0
	s_cbranch_vccnz .LBB174_6
; %bb.7:                                ;   in Loop: Header=BB174_5 Depth=1
	v_add_u32_e32 v14, s17, v121
	v_add_u32_e32 v0, v14, v73
	v_add_u32_e32 v2, v14, v77
	v_add_u32_e32 v4, v14, v83
	v_add_u32_e32 v6, v14, v89
	v_add_u32_e32 v8, v14, v95
	v_mad_i64_i32 v[0:1], s[4:5], v0, 36, v[124:125]
	v_mad_i64_i32 v[2:3], s[4:5], v2, 36, v[124:125]
	;; [unrolled: 1-line block ×5, first 2 shown]
	v_add_u32_e32 v10, v14, v101
	v_add_u32_e32 v12, v14, v107
	v_add_u32_e32 v14, v14, v113
	s_barrier
	v_mad_i64_i32 v[10:11], s[4:5], v10, 36, v[124:125]
	v_mad_i64_i32 v[12:13], s[4:5], v12, 36, v[124:125]
	;; [unrolled: 1-line block ×3, first 2 shown]
	global_load_dword v48, v[0:1], off offset:4
	s_nop 0
	global_load_dword v2, v[2:3], off offset:4
	s_nop 0
	;; [unrolled: 2-line block ×3, first 2 shown]
	global_load_dword v4, v[6:7], off offset:4
	global_load_dword v5, v[8:9], off offset:4
	s_nop 0
	global_load_dword v6, v[10:11], off offset:4
	global_load_dword v7, v[12:13], off offset:4
	;; [unrolled: 1-line block ×3, first 2 shown]
	v_add_u32_e32 v0, 4, v157
	v_mad_u64_u32 v[0:1], s[4:5], v0, 36, s[2:3]
	global_load_dword v0, v[0:1], off
	s_mov_b32 s4, 16
	s_waitcnt vmcnt(8)
	ds_write_b32 v75, v48
	s_waitcnt vmcnt(7)
	ds_write_b32 v81, v2
	;; [unrolled: 2-line block ×9, first 2 shown]
	s_waitcnt lgkmcnt(0)
	s_barrier
	ds_read_b32 v0, v119
	ds_read_b32 v1, v123 offset:128
	ds_read_b32 v2, v145 offset:256
	;; [unrolled: 1-line block ×3, first 2 shown]
	s_waitcnt lgkmcnt(2)
	v_cvt_f32_f16_e32 v132, v1
	v_cvt_f32_f16_e32 v128, v0
	v_cvt_f32_f16_sdwa v130, v0 dst_sel:DWORD dst_unused:UNUSED_PAD src0_sel:WORD_1
	v_cvt_f32_f16_sdwa v134, v1 dst_sel:DWORD dst_unused:UNUSED_PAD src0_sel:WORD_1
	s_waitcnt lgkmcnt(1)
	v_cvt_f32_f16_e32 v136, v2
	v_cvt_f32_f16_sdwa v138, v2 dst_sel:DWORD dst_unused:UNUSED_PAD src0_sel:WORD_1
	s_waitcnt lgkmcnt(0)
	v_cvt_f32_f16_e32 v140, v3
	v_cvt_f32_f16_sdwa v142, v3 dst_sel:DWORD dst_unused:UNUSED_PAD src0_sel:WORD_1
	v_mov_b32_e32 v129, v128
	v_mov_b32_e32 v131, v130
	v_mov_b32_e32 v133, v132
	v_mov_b32_e32 v135, v134
	v_mov_b32_e32 v137, v136
	v_mov_b32_e32 v139, v138
	v_mov_b32_e32 v141, v140
	v_mov_b32_e32 v143, v142
.LBB174_8:                              ;   Parent Loop BB174_5 Depth=1
                                        ; =>  This Inner Loop Header: Depth=2
	s_lshr_b32 s5, s4, 2
	s_and_b32 s17, s5, 0x3ffffffe
	s_lshl_b32 s5, s4, 1
	s_and_b32 s5, s5, 16
	v_or_b32_e32 v0, s5, v57
	v_lshlrev_b32_e32 v1, 2, v0
	v_lshrrev_b32_e32 v48, 1, v0
	s_add_i32 s17, s17, 0xa200
	s_lshl_b32 s18, s4, 3
	ds_read_b128 v[12:15], v1 offset:33280
	ds_read_b128 v[8:11], v1 offset:33296
	;; [unrolled: 1-line block ×4, first 2 shown]
	ds_read_b64 v[224:225], v48 offset:43584
	v_add3_u32 v48, s17, v244, v245
	v_add_u32_e32 v49, s18, v217
	ds_read2_b32 v[208:209], v49 offset1:1
	ds_read2_b32 v[210:211], v49 offset0:2 offset1:3
	ds_read2_b32 v[212:213], v49 offset0:4 offset1:5
	;; [unrolled: 1-line block ×3, first 2 shown]
	ds_read_u16 v51, v48
	ds_read_u16 v48, v48 offset:8
	ds_read2_b32 v[190:191], v49 offset0:8 offset1:9
	ds_read2_b32 v[218:219], v49 offset0:10 offset1:11
	;; [unrolled: 1-line block ×4, first 2 shown]
	s_waitcnt lgkmcnt(4)
	v_cvt_f32_ubyte0_e32 v170, v48
	v_cvt_f32_ubyte1_e32 v216, v48
	v_add3_u32 v48, s17, v246, v241
	v_add_u32_e32 v49, s18, v234
	v_and_b32_e32 v249, 0xff, v51
	v_lshrrev_b16_e32 v252, 8, v51
	ds_read2_b32 v[160:161], v49 offset1:1
	ds_read2_b32 v[178:179], v49 offset0:2 offset1:3
	ds_read2_b32 v[184:185], v49 offset0:4 offset1:5
	;; [unrolled: 1-line block ×3, first 2 shown]
	ds_read_u16 v51, v48
	ds_read_u16 v48, v48 offset:8
	ds_read2_b32 v[168:169], v49 offset0:8 offset1:9
	ds_read2_b32 v[198:199], v49 offset0:10 offset1:11
	ds_read2_b32 v[202:203], v49 offset0:12 offset1:13
	ds_read2_b32 v[206:207], v49 offset0:14 offset1:15
	s_waitcnt lgkmcnt(4)
	v_cvt_f32_ubyte0_e32 v164, v48
	v_cvt_f32_ubyte1_e32 v194, v48
	v_add3_u32 v48, s17, v247, v242
	v_add_u32_e32 v49, s18, v235
	v_and_b32_e32 v195, 0xff, v51
	v_lshrrev_b16_e32 v251, 8, v51
	ds_read2_b32 v[158:159], v49 offset1:1
	ds_read2_b32 v[174:175], v49 offset0:2 offset1:3
	ds_read2_b32 v[180:181], v49 offset0:4 offset1:5
	;; [unrolled: 1-line block ×3, first 2 shown]
	ds_read_u16 v51, v48
	ds_read_u16 v48, v48 offset:8
	ds_read2_b32 v[166:167], v49 offset0:8 offset1:9
	ds_read2_b32 v[196:197], v49 offset0:10 offset1:11
	;; [unrolled: 1-line block ×4, first 2 shown]
	v_add_u32_e32 v49, s18, v236
	ds_read2_b32 v[156:157], v49 offset1:1
	ds_read2_b32 v[172:173], v49 offset0:2 offset1:3
	ds_read2_b32 v[176:177], v49 offset0:4 offset1:5
	;; [unrolled: 1-line block ×3, first 2 shown]
	v_mov_b32_e32 v53, 0
	v_mov_b32_e32 v254, 0
	;; [unrolled: 1-line block ×3, first 2 shown]
	s_waitcnt lgkmcnt(9)
	v_and_b32_e32 v171, 0xff, v51
	v_lshrrev_b16_e32 v250, 8, v51
	v_mov_b32_e32 v51, 0
	v_dot4c_i32_i8_e32 v53, v208, v12
	v_dot4c_i32_i8_e32 v254, v160, v12
	;; [unrolled: 1-line block ×3, first 2 shown]
	s_waitcnt lgkmcnt(3)
	v_dot4c_i32_i8_e32 v51, v156, v12
	v_dot4c_i32_i8_e32 v53, v209, v13
	;; [unrolled: 1-line block ×8, first 2 shown]
	s_waitcnt lgkmcnt(2)
	v_dot4c_i32_i8_e32 v51, v172, v14
	v_dot4c_i32_i8_e32 v53, v211, v15
	;; [unrolled: 1-line block ×8, first 2 shown]
	v_cvt_f32_ubyte0_e32 v162, v48
	v_cvt_f32_ubyte1_e32 v192, v48
	v_add3_u32 v48, s17, v248, v243
	s_waitcnt lgkmcnt(1)
	v_dot4c_i32_i8_e32 v51, v176, v8
	v_dot4c_i32_i8_e32 v53, v213, v9
	;; [unrolled: 1-line block ×5, first 2 shown]
	ds_read_u16 v8, v48
	ds_read_u16 v9, v48 offset:8
	ds_read2_b32 v[154:155], v49 offset0:8 offset1:9
	ds_read2_b32 v[148:149], v49 offset0:10 offset1:11
	;; [unrolled: 1-line block ×4, first 2 shown]
	v_mov_b32_e32 v62, 0
	v_mov_b32_e32 v70, 0
	;; [unrolled: 1-line block ×4, first 2 shown]
	v_dot4c_i32_i8_e32 v62, v190, v4
	v_dot4c_i32_i8_e32 v70, v168, v4
	v_dot4c_i32_i8_e32 v74, v166, v4
	s_waitcnt lgkmcnt(3)
	v_dot4c_i32_i8_e32 v78, v154, v4
	v_dot4c_i32_i8_e32 v62, v191, v5
	v_dot4c_i32_i8_e32 v70, v169, v5
	v_dot4c_i32_i8_e32 v74, v167, v5
	v_dot4c_i32_i8_e32 v78, v155, v5
	v_dot4c_i32_i8_e32 v62, v218, v6
	v_dot4c_i32_i8_e32 v70, v198, v6
	v_dot4c_i32_i8_e32 v74, v196, v6
	s_waitcnt lgkmcnt(2)
	v_dot4c_i32_i8_e32 v78, v148, v6
	v_dot4c_i32_i8_e32 v62, v219, v7
	v_dot4c_i32_i8_e32 v70, v199, v7
	v_dot4c_i32_i8_e32 v74, v197, v7
	v_dot4c_i32_i8_e32 v78, v149, v7
	;; [unrolled: 9-line block ×3, first 2 shown]
	v_or_b32_e32 v0, s5, v79
	v_dot4c_i32_i8_e32 v53, v214, v10
	v_dot4c_i32_i8_e32 v62, v222, v2
	v_dot4c_i32_i8_e32 v254, v188, v10
	v_dot4c_i32_i8_e32 v70, v206, v2
	v_dot4c_i32_i8_e32 v253, v186, v10
	v_dot4c_i32_i8_e32 v74, v204, v2
	v_dot4c_i32_i8_e32 v51, v182, v10
	s_waitcnt lgkmcnt(0)
	v_dot4c_i32_i8_e32 v78, v152, v2
	v_lshlrev_b32_e32 v1, 2, v0
	v_lshrrev_b32_e32 v48, 1, v0
	v_dot4c_i32_i8_e32 v53, v215, v11
	v_dot4c_i32_i8_e32 v62, v223, v3
	;; [unrolled: 1-line block ×7, first 2 shown]
	v_and_b32_e32 v165, 0xff, v8
	v_cvt_f32_ubyte0_e32 v146, v9
	v_dot4c_i32_i8_e32 v78, v153, v3
	v_lshrrev_b16_e32 v163, 8, v8
	v_cvt_f32_ubyte1_e32 v144, v9
	ds_read_b128 v[12:15], v1 offset:33280
	ds_read_b128 v[8:11], v1 offset:33296
	;; [unrolled: 1-line block ×4, first 2 shown]
	ds_read_b64 v[48:49], v48 offset:43584
	v_mov_b32_e32 v66, 0
	s_waitcnt lgkmcnt(4)
	v_dot4c_i32_i8_e32 v66, v208, v12
	v_mov_b32_e32 v82, 0
	v_dot4c_i32_i8_e32 v66, v209, v13
	s_waitcnt lgkmcnt(2)
	v_dot4c_i32_i8_e32 v82, v190, v4
	v_dot4c_i32_i8_e32 v66, v210, v14
	;; [unrolled: 1-line block ×8, first 2 shown]
	s_waitcnt lgkmcnt(1)
	v_dot4c_i32_i8_e32 v82, v220, v0
	v_dot4c_i32_i8_e32 v66, v214, v10
	;; [unrolled: 1-line block ×6, first 2 shown]
	s_waitcnt lgkmcnt(0)
	v_cvt_f32_f16_e32 v231, v48
	v_cvt_f32_f16_sdwa v233, v48 dst_sel:DWORD dst_unused:UNUSED_PAD src0_sel:WORD_1
	v_cvt_f32_f16_sdwa v232, v224 dst_sel:DWORD dst_unused:UNUSED_PAD src0_sel:WORD_1
	v_cvt_f32_f16_e32 v227, v49
	v_cvt_f32_f16_sdwa v229, v49 dst_sel:DWORD dst_unused:UNUSED_PAD src0_sel:WORD_1
	v_mul_lo_u32 v48, v53, v249
	v_mul_lo_u32 v49, v66, v249
	v_cvt_f32_f16_e32 v230, v224
	v_cvt_f32_f16_sdwa v228, v225 dst_sel:DWORD dst_unused:UNUSED_PAD src0_sel:WORD_1
	v_cvt_f32_i32_e32 v49, v49
	v_cvt_f32_i32_e32 v48, v48
	v_mul_lo_u32 v53, v62, v252
	v_mul_lo_u32 v62, v82, v252
	v_cvt_f32_f16_e32 v226, v225
	v_cvt_f32_i32_e32 v225, v62
	v_cvt_f32_i32_e32 v224, v53
	v_pk_fma_f32 v[66:67], v[170:171], v[232:233], 0 op_sel_hi:[0,1,0]
	v_pk_fma_f32 v[48:49], v[230:231], v[48:49], 0 op_sel_hi:[1,1,0]
	;; [unrolled: 1-line block ×3, first 2 shown]
	v_pk_fma_f32 v[48:49], v[226:227], v[224:225], v[48:49]
	v_pk_mul_f32 v[66:67], v[66:67], v[130:131]
	v_pk_fma_f32 v[48:49], v[48:49], v[128:129], v[66:67] neg_lo:[0,0,1] neg_hi:[0,0,1]
	v_pk_add_f32 v[46:47], v[46:47], v[48:49]
	v_mov_b32_e32 v48, 0
	v_dot4c_i32_i8_e32 v48, v160, v12
	v_mov_b32_e32 v53, 0
	v_dot4c_i32_i8_e32 v48, v161, v13
	v_dot4c_i32_i8_e32 v53, v168, v4
	;; [unrolled: 1-line block ×15, first 2 shown]
	v_mul_lo_u32 v62, v254, v195
	v_mul_lo_u32 v48, v48, v195
	v_cvt_f32_i32_e32 v49, v48
	v_cvt_f32_i32_e32 v48, v62
	v_mul_lo_u32 v62, v70, v251
	v_mul_lo_u32 v53, v53, v251
	v_cvt_f32_i32_e32 v225, v53
	v_cvt_f32_i32_e32 v224, v62
	v_pk_fma_f32 v[66:67], v[164:165], v[232:233], 0 op_sel_hi:[0,1,0]
	v_pk_fma_f32 v[48:49], v[230:231], v[48:49], 0 op_sel_hi:[1,1,0]
	;; [unrolled: 1-line block ×3, first 2 shown]
	v_pk_fma_f32 v[48:49], v[226:227], v[224:225], v[48:49]
	v_pk_mul_f32 v[66:67], v[66:67], v[134:135]
	v_pk_fma_f32 v[48:49], v[48:49], v[132:133], v[66:67] neg_lo:[0,0,1] neg_hi:[0,0,1]
	v_pk_add_f32 v[44:45], v[44:45], v[48:49]
	v_mov_b32_e32 v48, 0
	v_dot4c_i32_i8_e32 v48, v158, v12
	v_mov_b32_e32 v53, 0
	v_dot4c_i32_i8_e32 v48, v159, v13
	v_dot4c_i32_i8_e32 v53, v166, v4
	;; [unrolled: 1-line block ×15, first 2 shown]
	v_mul_lo_u32 v62, v253, v171
	v_mul_lo_u32 v48, v48, v171
	v_cvt_f32_i32_e32 v49, v48
	v_cvt_f32_i32_e32 v48, v62
	v_mul_lo_u32 v62, v74, v250
	v_mul_lo_u32 v53, v53, v250
	v_cvt_f32_i32_e32 v225, v53
	v_cvt_f32_i32_e32 v224, v62
	v_pk_fma_f32 v[66:67], v[162:163], v[232:233], 0 op_sel_hi:[0,1,0]
	v_pk_fma_f32 v[48:49], v[230:231], v[48:49], 0 op_sel_hi:[1,1,0]
	;; [unrolled: 1-line block ×3, first 2 shown]
	v_pk_fma_f32 v[48:49], v[226:227], v[224:225], v[48:49]
	v_pk_mul_f32 v[66:67], v[66:67], v[138:139]
	v_pk_fma_f32 v[48:49], v[48:49], v[136:137], v[66:67] neg_lo:[0,0,1] neg_hi:[0,0,1]
	v_pk_add_f32 v[42:43], v[42:43], v[48:49]
	v_mov_b32_e32 v48, 0
	v_dot4c_i32_i8_e32 v48, v156, v12
	v_dot4c_i32_i8_e32 v48, v157, v13
	;; [unrolled: 1-line block ×5, first 2 shown]
	v_mov_b32_e32 v8, 0
	v_dot4c_i32_i8_e32 v8, v154, v4
	v_dot4c_i32_i8_e32 v8, v155, v5
	;; [unrolled: 1-line block ×11, first 2 shown]
	v_mul_lo_u32 v0, v51, v165
	v_mul_lo_u32 v1, v48, v165
	v_cvt_f32_i32_e32 v1, v1
	v_cvt_f32_i32_e32 v0, v0
	v_mul_lo_u32 v4, v78, v163
	v_mul_lo_u32 v5, v8, v163
	v_cvt_f32_i32_e32 v5, v5
	v_cvt_f32_i32_e32 v4, v4
	v_pk_fma_f32 v[2:3], v[146:147], v[232:233], 0 op_sel_hi:[0,1,0]
	v_pk_fma_f32 v[0:1], v[230:231], v[0:1], 0 op_sel_hi:[1,1,0]
	;; [unrolled: 1-line block ×3, first 2 shown]
	v_pk_fma_f32 v[0:1], v[226:227], v[4:5], v[0:1]
	v_pk_mul_f32 v[2:3], v[2:3], v[142:143]
	v_pk_fma_f32 v[0:1], v[0:1], v[140:141], v[2:3] neg_lo:[0,0,1] neg_hi:[0,0,1]
	v_pk_add_f32 v[40:41], v[40:41], v[0:1]
	v_or_b32_e32 v0, s5, v85
	v_lshlrev_b32_e32 v1, 2, v0
	v_lshrrev_b32_e32 v48, 1, v0
	ds_read_b128 v[12:15], v1 offset:33280
	ds_read_b128 v[8:11], v1 offset:33296
	;; [unrolled: 1-line block ×4, first 2 shown]
	ds_read_b64 v[224:225], v48 offset:43584
	v_mov_b32_e32 v51, 0
	v_mov_b32_e32 v53, 0
	;; [unrolled: 1-line block ×8, first 2 shown]
	s_waitcnt lgkmcnt(4)
	v_dot4c_i32_i8_e32 v51, v208, v12
	s_waitcnt lgkmcnt(2)
	v_dot4c_i32_i8_e32 v53, v190, v4
	v_dot4c_i32_i8_e32 v62, v160, v12
	;; [unrolled: 1-line block ×32, first 2 shown]
	s_waitcnt lgkmcnt(1)
	v_dot4c_i32_i8_e32 v53, v220, v0
	v_dot4c_i32_i8_e32 v62, v184, v8
	;; [unrolled: 1-line block ×15, first 2 shown]
	v_or_b32_e32 v0, s5, v91
	v_dot4c_i32_i8_e32 v51, v214, v10
	v_dot4c_i32_i8_e32 v53, v222, v2
	;; [unrolled: 1-line block ×8, first 2 shown]
	v_lshlrev_b32_e32 v1, 2, v0
	v_lshrrev_b32_e32 v48, 1, v0
	v_dot4c_i32_i8_e32 v51, v215, v11
	v_dot4c_i32_i8_e32 v53, v223, v3
	;; [unrolled: 1-line block ×8, first 2 shown]
	ds_read_b128 v[12:15], v1 offset:33280
	ds_read_b128 v[8:11], v1 offset:33296
	;; [unrolled: 1-line block ×4, first 2 shown]
	ds_read_b64 v[48:49], v48 offset:43584
	v_mov_b32_e32 v66, 0
	s_waitcnt lgkmcnt(4)
	v_dot4c_i32_i8_e32 v66, v208, v12
	v_mov_b32_e32 v254, 0
	v_dot4c_i32_i8_e32 v66, v209, v13
	s_waitcnt lgkmcnt(2)
	v_dot4c_i32_i8_e32 v254, v190, v4
	v_dot4c_i32_i8_e32 v66, v210, v14
	;; [unrolled: 1-line block ×8, first 2 shown]
	s_waitcnt lgkmcnt(1)
	v_dot4c_i32_i8_e32 v254, v220, v0
	v_dot4c_i32_i8_e32 v66, v214, v10
	;; [unrolled: 1-line block ×6, first 2 shown]
	s_waitcnt lgkmcnt(0)
	v_cvt_f32_f16_e32 v231, v48
	v_cvt_f32_f16_sdwa v233, v48 dst_sel:DWORD dst_unused:UNUSED_PAD src0_sel:WORD_1
	v_cvt_f32_f16_sdwa v232, v224 dst_sel:DWORD dst_unused:UNUSED_PAD src0_sel:WORD_1
	v_cvt_f32_f16_e32 v227, v49
	v_cvt_f32_f16_sdwa v229, v49 dst_sel:DWORD dst_unused:UNUSED_PAD src0_sel:WORD_1
	v_mul_lo_u32 v48, v51, v249
	v_mul_lo_u32 v49, v66, v249
	v_cvt_f32_f16_e32 v230, v224
	v_cvt_f32_f16_sdwa v228, v225 dst_sel:DWORD dst_unused:UNUSED_PAD src0_sel:WORD_1
	v_cvt_f32_i32_e32 v49, v49
	v_cvt_f32_i32_e32 v48, v48
	v_mul_lo_u32 v51, v53, v252
	v_mul_lo_u32 v53, v254, v252
	v_cvt_f32_f16_e32 v226, v225
	v_cvt_f32_i32_e32 v225, v53
	v_cvt_f32_i32_e32 v224, v51
	v_pk_fma_f32 v[66:67], v[170:171], v[232:233], 0 op_sel_hi:[0,1,0]
	v_pk_fma_f32 v[48:49], v[48:49], v[230:231], 0 op_sel_hi:[1,1,0]
	;; [unrolled: 1-line block ×3, first 2 shown]
	v_pk_fma_f32 v[48:49], v[224:225], v[226:227], v[48:49]
	v_pk_mul_f32 v[66:67], v[66:67], v[130:131]
	v_pk_fma_f32 v[48:49], v[48:49], v[128:129], v[66:67] neg_lo:[0,0,1] neg_hi:[0,0,1]
	v_pk_add_f32 v[38:39], v[38:39], v[48:49]
	v_mov_b32_e32 v48, 0
	v_dot4c_i32_i8_e32 v48, v160, v12
	v_mov_b32_e32 v51, 0
	v_dot4c_i32_i8_e32 v48, v161, v13
	v_dot4c_i32_i8_e32 v51, v168, v4
	;; [unrolled: 1-line block ×15, first 2 shown]
	v_mul_lo_u32 v53, v62, v195
	v_mul_lo_u32 v48, v48, v195
	v_cvt_f32_i32_e32 v49, v48
	v_cvt_f32_i32_e32 v48, v53
	v_mul_lo_u32 v53, v70, v251
	v_mul_lo_u32 v51, v51, v251
	v_cvt_f32_i32_e32 v225, v51
	v_cvt_f32_i32_e32 v224, v53
	v_pk_fma_f32 v[66:67], v[164:165], v[232:233], 0 op_sel_hi:[0,1,0]
	v_pk_fma_f32 v[48:49], v[48:49], v[230:231], 0 op_sel_hi:[1,1,0]
	;; [unrolled: 1-line block ×3, first 2 shown]
	v_pk_fma_f32 v[48:49], v[224:225], v[226:227], v[48:49]
	v_pk_mul_f32 v[66:67], v[66:67], v[134:135]
	v_pk_fma_f32 v[48:49], v[48:49], v[132:133], v[66:67] neg_lo:[0,0,1] neg_hi:[0,0,1]
	v_pk_add_f32 v[36:37], v[36:37], v[48:49]
	v_mov_b32_e32 v48, 0
	v_dot4c_i32_i8_e32 v48, v158, v12
	v_mov_b32_e32 v51, 0
	v_dot4c_i32_i8_e32 v48, v159, v13
	v_dot4c_i32_i8_e32 v51, v166, v4
	;; [unrolled: 1-line block ×15, first 2 shown]
	v_mul_lo_u32 v53, v74, v171
	v_mul_lo_u32 v48, v48, v171
	v_cvt_f32_i32_e32 v49, v48
	v_cvt_f32_i32_e32 v48, v53
	v_mul_lo_u32 v53, v78, v250
	v_mul_lo_u32 v51, v51, v250
	v_cvt_f32_i32_e32 v225, v51
	v_cvt_f32_i32_e32 v224, v53
	v_pk_fma_f32 v[66:67], v[162:163], v[232:233], 0 op_sel_hi:[0,1,0]
	v_pk_fma_f32 v[48:49], v[48:49], v[230:231], 0 op_sel_hi:[1,1,0]
	;; [unrolled: 1-line block ×3, first 2 shown]
	v_pk_fma_f32 v[48:49], v[224:225], v[226:227], v[48:49]
	v_pk_mul_f32 v[66:67], v[66:67], v[138:139]
	v_pk_fma_f32 v[48:49], v[48:49], v[136:137], v[66:67] neg_lo:[0,0,1] neg_hi:[0,0,1]
	v_pk_add_f32 v[34:35], v[34:35], v[48:49]
	v_mov_b32_e32 v48, 0
	v_dot4c_i32_i8_e32 v48, v156, v12
	v_dot4c_i32_i8_e32 v48, v157, v13
	;; [unrolled: 1-line block ×5, first 2 shown]
	v_mov_b32_e32 v8, 0
	v_dot4c_i32_i8_e32 v8, v154, v4
	v_dot4c_i32_i8_e32 v8, v155, v5
	;; [unrolled: 1-line block ×11, first 2 shown]
	v_mul_lo_u32 v0, v82, v165
	v_mul_lo_u32 v1, v48, v165
	v_cvt_f32_i32_e32 v1, v1
	v_cvt_f32_i32_e32 v0, v0
	v_mul_lo_u32 v4, v253, v163
	v_mul_lo_u32 v5, v8, v163
	v_cvt_f32_i32_e32 v5, v5
	v_cvt_f32_i32_e32 v4, v4
	v_pk_fma_f32 v[2:3], v[146:147], v[232:233], 0 op_sel_hi:[0,1,0]
	v_pk_fma_f32 v[0:1], v[0:1], v[230:231], 0 op_sel_hi:[1,1,0]
	;; [unrolled: 1-line block ×3, first 2 shown]
	v_pk_fma_f32 v[0:1], v[4:5], v[226:227], v[0:1]
	v_pk_mul_f32 v[2:3], v[2:3], v[142:143]
	v_pk_fma_f32 v[0:1], v[0:1], v[140:141], v[2:3] neg_lo:[0,0,1] neg_hi:[0,0,1]
	v_pk_add_f32 v[32:33], v[32:33], v[0:1]
	v_or_b32_e32 v0, s5, v97
	v_lshlrev_b32_e32 v1, 2, v0
	v_lshrrev_b32_e32 v48, 1, v0
	ds_read_b128 v[12:15], v1 offset:33280
	ds_read_b128 v[8:11], v1 offset:33296
	;; [unrolled: 1-line block ×4, first 2 shown]
	ds_read_b64 v[224:225], v48 offset:43584
	v_mov_b32_e32 v51, 0
	v_mov_b32_e32 v53, 0
	v_mov_b32_e32 v62, 0
	v_mov_b32_e32 v70, 0
	v_mov_b32_e32 v74, 0
	v_mov_b32_e32 v78, 0
	v_mov_b32_e32 v82, 0
	v_mov_b32_e32 v253, 0
	s_waitcnt lgkmcnt(4)
	v_dot4c_i32_i8_e32 v51, v208, v12
	s_waitcnt lgkmcnt(2)
	v_dot4c_i32_i8_e32 v53, v190, v4
	v_dot4c_i32_i8_e32 v62, v160, v12
	;; [unrolled: 1-line block ×32, first 2 shown]
	s_waitcnt lgkmcnt(1)
	v_dot4c_i32_i8_e32 v53, v220, v0
	v_dot4c_i32_i8_e32 v62, v184, v8
	;; [unrolled: 1-line block ×15, first 2 shown]
	v_or_b32_e32 v0, s5, v103
	v_dot4c_i32_i8_e32 v51, v214, v10
	v_dot4c_i32_i8_e32 v53, v222, v2
	;; [unrolled: 1-line block ×8, first 2 shown]
	v_lshlrev_b32_e32 v1, 2, v0
	v_lshrrev_b32_e32 v48, 1, v0
	v_dot4c_i32_i8_e32 v51, v215, v11
	v_dot4c_i32_i8_e32 v53, v223, v3
	;; [unrolled: 1-line block ×8, first 2 shown]
	ds_read_b128 v[12:15], v1 offset:33280
	ds_read_b128 v[8:11], v1 offset:33296
	;; [unrolled: 1-line block ×4, first 2 shown]
	ds_read_b64 v[48:49], v48 offset:43584
	v_mov_b32_e32 v66, 0
	s_waitcnt lgkmcnt(4)
	v_dot4c_i32_i8_e32 v66, v208, v12
	v_mov_b32_e32 v254, 0
	v_dot4c_i32_i8_e32 v66, v209, v13
	s_waitcnt lgkmcnt(2)
	v_dot4c_i32_i8_e32 v254, v190, v4
	v_dot4c_i32_i8_e32 v66, v210, v14
	;; [unrolled: 1-line block ×8, first 2 shown]
	s_waitcnt lgkmcnt(1)
	v_dot4c_i32_i8_e32 v254, v220, v0
	v_dot4c_i32_i8_e32 v66, v214, v10
	;; [unrolled: 1-line block ×6, first 2 shown]
	s_waitcnt lgkmcnt(0)
	v_cvt_f32_f16_e32 v231, v48
	v_cvt_f32_f16_sdwa v233, v48 dst_sel:DWORD dst_unused:UNUSED_PAD src0_sel:WORD_1
	v_cvt_f32_f16_sdwa v232, v224 dst_sel:DWORD dst_unused:UNUSED_PAD src0_sel:WORD_1
	v_cvt_f32_f16_e32 v227, v49
	v_cvt_f32_f16_sdwa v229, v49 dst_sel:DWORD dst_unused:UNUSED_PAD src0_sel:WORD_1
	v_mul_lo_u32 v48, v51, v249
	v_mul_lo_u32 v49, v66, v249
	v_cvt_f32_f16_e32 v230, v224
	v_cvt_f32_f16_sdwa v228, v225 dst_sel:DWORD dst_unused:UNUSED_PAD src0_sel:WORD_1
	v_cvt_f32_i32_e32 v49, v49
	v_cvt_f32_i32_e32 v48, v48
	v_mul_lo_u32 v51, v53, v252
	v_mul_lo_u32 v53, v254, v252
	v_cvt_f32_f16_e32 v226, v225
	v_cvt_f32_i32_e32 v225, v53
	v_cvt_f32_i32_e32 v224, v51
	v_pk_fma_f32 v[66:67], v[170:171], v[232:233], 0 op_sel_hi:[0,1,0]
	v_pk_fma_f32 v[48:49], v[48:49], v[230:231], 0 op_sel_hi:[1,1,0]
	;; [unrolled: 1-line block ×3, first 2 shown]
	v_pk_fma_f32 v[48:49], v[224:225], v[226:227], v[48:49]
	v_pk_mul_f32 v[66:67], v[66:67], v[130:131]
	v_pk_fma_f32 v[48:49], v[48:49], v[128:129], v[66:67] neg_lo:[0,0,1] neg_hi:[0,0,1]
	v_pk_add_f32 v[30:31], v[30:31], v[48:49]
	v_mov_b32_e32 v48, 0
	v_dot4c_i32_i8_e32 v48, v160, v12
	v_mov_b32_e32 v51, 0
	v_dot4c_i32_i8_e32 v48, v161, v13
	v_dot4c_i32_i8_e32 v51, v168, v4
	;; [unrolled: 1-line block ×15, first 2 shown]
	v_mul_lo_u32 v53, v62, v195
	v_mul_lo_u32 v48, v48, v195
	v_cvt_f32_i32_e32 v49, v48
	v_cvt_f32_i32_e32 v48, v53
	v_mul_lo_u32 v53, v70, v251
	v_mul_lo_u32 v51, v51, v251
	v_cvt_f32_i32_e32 v225, v51
	v_cvt_f32_i32_e32 v224, v53
	v_pk_fma_f32 v[66:67], v[164:165], v[232:233], 0 op_sel_hi:[0,1,0]
	v_pk_fma_f32 v[48:49], v[48:49], v[230:231], 0 op_sel_hi:[1,1,0]
	v_pk_fma_f32 v[66:67], v[194:195], v[228:229], v[66:67] op_sel_hi:[0,1,1]
	v_pk_fma_f32 v[48:49], v[224:225], v[226:227], v[48:49]
	v_pk_mul_f32 v[66:67], v[66:67], v[134:135]
	v_pk_fma_f32 v[48:49], v[48:49], v[132:133], v[66:67] neg_lo:[0,0,1] neg_hi:[0,0,1]
	v_pk_add_f32 v[28:29], v[28:29], v[48:49]
	v_mov_b32_e32 v48, 0
	v_dot4c_i32_i8_e32 v48, v158, v12
	v_mov_b32_e32 v51, 0
	v_dot4c_i32_i8_e32 v48, v159, v13
	v_dot4c_i32_i8_e32 v51, v166, v4
	;; [unrolled: 1-line block ×15, first 2 shown]
	v_mul_lo_u32 v53, v74, v171
	v_mul_lo_u32 v48, v48, v171
	v_cvt_f32_i32_e32 v49, v48
	v_cvt_f32_i32_e32 v48, v53
	v_mul_lo_u32 v53, v78, v250
	v_mul_lo_u32 v51, v51, v250
	v_cvt_f32_i32_e32 v225, v51
	v_cvt_f32_i32_e32 v224, v53
	v_pk_fma_f32 v[66:67], v[162:163], v[232:233], 0 op_sel_hi:[0,1,0]
	v_pk_fma_f32 v[48:49], v[48:49], v[230:231], 0 op_sel_hi:[1,1,0]
	;; [unrolled: 1-line block ×3, first 2 shown]
	v_pk_fma_f32 v[48:49], v[224:225], v[226:227], v[48:49]
	v_pk_mul_f32 v[66:67], v[66:67], v[138:139]
	v_pk_fma_f32 v[48:49], v[48:49], v[136:137], v[66:67] neg_lo:[0,0,1] neg_hi:[0,0,1]
	v_pk_add_f32 v[26:27], v[26:27], v[48:49]
	v_mov_b32_e32 v48, 0
	v_dot4c_i32_i8_e32 v48, v156, v12
	v_dot4c_i32_i8_e32 v48, v157, v13
	;; [unrolled: 1-line block ×5, first 2 shown]
	v_mov_b32_e32 v8, 0
	v_dot4c_i32_i8_e32 v8, v154, v4
	v_dot4c_i32_i8_e32 v8, v155, v5
	;; [unrolled: 1-line block ×11, first 2 shown]
	v_mul_lo_u32 v0, v82, v165
	v_mul_lo_u32 v1, v48, v165
	v_cvt_f32_i32_e32 v1, v1
	v_cvt_f32_i32_e32 v0, v0
	v_mul_lo_u32 v4, v253, v163
	v_mul_lo_u32 v5, v8, v163
	v_cvt_f32_i32_e32 v5, v5
	v_cvt_f32_i32_e32 v4, v4
	v_pk_fma_f32 v[2:3], v[146:147], v[232:233], 0 op_sel_hi:[0,1,0]
	v_pk_fma_f32 v[0:1], v[0:1], v[230:231], 0 op_sel_hi:[1,1,0]
	;; [unrolled: 1-line block ×3, first 2 shown]
	v_pk_fma_f32 v[0:1], v[4:5], v[226:227], v[0:1]
	v_pk_mul_f32 v[2:3], v[2:3], v[142:143]
	v_pk_fma_f32 v[0:1], v[0:1], v[140:141], v[2:3] neg_lo:[0,0,1] neg_hi:[0,0,1]
	v_pk_add_f32 v[24:25], v[24:25], v[0:1]
	v_or_b32_e32 v0, s5, v109
	v_lshlrev_b32_e32 v1, 2, v0
	v_lshrrev_b32_e32 v48, 1, v0
	ds_read_b128 v[12:15], v1 offset:33280
	ds_read_b128 v[8:11], v1 offset:33296
	;; [unrolled: 1-line block ×4, first 2 shown]
	ds_read_b64 v[224:225], v48 offset:43584
	v_mov_b32_e32 v51, 0
	v_mov_b32_e32 v53, 0
	;; [unrolled: 1-line block ×8, first 2 shown]
	s_waitcnt lgkmcnt(4)
	v_dot4c_i32_i8_e32 v51, v208, v12
	s_waitcnt lgkmcnt(2)
	v_dot4c_i32_i8_e32 v53, v190, v4
	v_dot4c_i32_i8_e32 v62, v160, v12
	;; [unrolled: 1-line block ×32, first 2 shown]
	s_waitcnt lgkmcnt(1)
	v_dot4c_i32_i8_e32 v53, v220, v0
	v_dot4c_i32_i8_e32 v62, v184, v8
	;; [unrolled: 1-line block ×15, first 2 shown]
	v_or_b32_e32 v0, s5, v115
	v_dot4c_i32_i8_e32 v51, v214, v10
	v_dot4c_i32_i8_e32 v53, v222, v2
	;; [unrolled: 1-line block ×8, first 2 shown]
	v_lshlrev_b32_e32 v1, 2, v0
	v_lshrrev_b32_e32 v48, 1, v0
	v_dot4c_i32_i8_e32 v51, v215, v11
	v_dot4c_i32_i8_e32 v53, v223, v3
	;; [unrolled: 1-line block ×8, first 2 shown]
	ds_read_b128 v[12:15], v1 offset:33280
	ds_read_b128 v[8:11], v1 offset:33296
	;; [unrolled: 1-line block ×4, first 2 shown]
	ds_read_b64 v[48:49], v48 offset:43584
	v_mov_b32_e32 v66, 0
	s_waitcnt lgkmcnt(4)
	v_dot4c_i32_i8_e32 v66, v208, v12
	v_mov_b32_e32 v82, 0
	v_dot4c_i32_i8_e32 v66, v209, v13
	s_waitcnt lgkmcnt(2)
	v_dot4c_i32_i8_e32 v82, v190, v4
	v_dot4c_i32_i8_e32 v66, v210, v14
	;; [unrolled: 1-line block ×8, first 2 shown]
	s_waitcnt lgkmcnt(1)
	v_dot4c_i32_i8_e32 v82, v220, v0
	v_dot4c_i32_i8_e32 v66, v214, v10
	;; [unrolled: 1-line block ×6, first 2 shown]
	s_waitcnt lgkmcnt(0)
	v_cvt_f32_f16_e32 v213, v48
	v_cvt_f32_f16_sdwa v211, v48 dst_sel:DWORD dst_unused:UNUSED_PAD src0_sel:WORD_1
	v_cvt_f32_f16_sdwa v210, v224 dst_sel:DWORD dst_unused:UNUSED_PAD src0_sel:WORD_1
	v_cvt_f32_f16_e32 v209, v49
	v_cvt_f32_f16_sdwa v191, v49 dst_sel:DWORD dst_unused:UNUSED_PAD src0_sel:WORD_1
	v_mul_lo_u32 v48, v51, v249
	v_mul_lo_u32 v49, v66, v249
	v_cvt_f32_f16_e32 v212, v224
	v_cvt_f32_f16_sdwa v190, v225 dst_sel:DWORD dst_unused:UNUSED_PAD src0_sel:WORD_1
	v_cvt_f32_i32_e32 v49, v49
	v_cvt_f32_i32_e32 v48, v48
	v_mul_lo_u32 v51, v53, v252
	v_mul_lo_u32 v53, v82, v252
	v_cvt_f32_f16_e32 v208, v225
	v_cvt_f32_i32_e32 v215, v53
	v_cvt_f32_i32_e32 v214, v51
	v_pk_fma_f32 v[66:67], v[170:171], v[210:211], 0 op_sel_hi:[0,1,0]
	v_pk_fma_f32 v[48:49], v[48:49], v[212:213], 0 op_sel_hi:[1,1,0]
	;; [unrolled: 1-line block ×3, first 2 shown]
	v_pk_fma_f32 v[48:49], v[214:215], v[208:209], v[48:49]
	v_pk_mul_f32 v[66:67], v[66:67], v[130:131]
	v_pk_fma_f32 v[48:49], v[48:49], v[128:129], v[66:67] neg_lo:[0,0,1] neg_hi:[0,0,1]
	v_pk_add_f32 v[22:23], v[22:23], v[48:49]
	v_mov_b32_e32 v48, 0
	v_dot4c_i32_i8_e32 v48, v160, v12
	v_mov_b32_e32 v51, 0
	v_dot4c_i32_i8_e32 v48, v161, v13
	v_dot4c_i32_i8_e32 v51, v168, v4
	;; [unrolled: 1-line block ×15, first 2 shown]
	v_mul_lo_u32 v53, v62, v195
	v_mul_lo_u32 v48, v48, v195
	v_cvt_f32_i32_e32 v49, v48
	v_cvt_f32_i32_e32 v48, v53
	v_mul_lo_u32 v53, v70, v251
	v_mul_lo_u32 v51, v51, v251
	v_cvt_f32_i32_e32 v161, v51
	v_cvt_f32_i32_e32 v160, v53
	v_pk_fma_f32 v[66:67], v[164:165], v[210:211], 0 op_sel_hi:[0,1,0]
	v_pk_fma_f32 v[48:49], v[48:49], v[212:213], 0 op_sel_hi:[1,1,0]
	;; [unrolled: 1-line block ×3, first 2 shown]
	v_pk_fma_f32 v[48:49], v[160:161], v[208:209], v[48:49]
	v_pk_mul_f32 v[66:67], v[66:67], v[134:135]
	v_pk_fma_f32 v[48:49], v[48:49], v[132:133], v[66:67] neg_lo:[0,0,1] neg_hi:[0,0,1]
	v_pk_add_f32 v[20:21], v[20:21], v[48:49]
	v_mov_b32_e32 v48, 0
	v_dot4c_i32_i8_e32 v48, v158, v12
	v_mov_b32_e32 v51, 0
	v_dot4c_i32_i8_e32 v48, v159, v13
	v_dot4c_i32_i8_e32 v51, v166, v4
	;; [unrolled: 1-line block ×15, first 2 shown]
	v_mul_lo_u32 v53, v74, v171
	v_mul_lo_u32 v48, v48, v171
	v_cvt_f32_i32_e32 v49, v48
	v_cvt_f32_i32_e32 v48, v53
	v_mul_lo_u32 v53, v78, v250
	v_mul_lo_u32 v51, v51, v250
	v_cvt_f32_i32_e32 v159, v51
	v_cvt_f32_i32_e32 v158, v53
	v_pk_fma_f32 v[48:49], v[48:49], v[212:213], 0 op_sel_hi:[1,1,0]
	v_pk_fma_f32 v[66:67], v[162:163], v[210:211], 0 op_sel_hi:[0,1,0]
	;; [unrolled: 1-line block ×3, first 2 shown]
	v_pk_fma_f32 v[48:49], v[158:159], v[208:209], v[48:49]
	v_mov_b32_e32 v158, 0
	v_dot4c_i32_i8_e32 v158, v156, v12
	v_dot4c_i32_i8_e32 v158, v157, v13
	;; [unrolled: 1-line block ×5, first 2 shown]
	v_mov_b32_e32 v8, 0
	v_dot4c_i32_i8_e32 v8, v154, v4
	v_dot4c_i32_i8_e32 v8, v155, v5
	;; [unrolled: 1-line block ×11, first 2 shown]
	v_mul_lo_u32 v0, v227, v165
	v_mul_lo_u32 v1, v158, v165
	v_cvt_f32_i32_e32 v1, v1
	v_cvt_f32_i32_e32 v0, v0
	v_mul_lo_u32 v4, v226, v163
	v_mul_lo_u32 v5, v8, v163
	v_cvt_f32_i32_e32 v5, v5
	v_cvt_f32_i32_e32 v4, v4
	v_pk_fma_f32 v[2:3], v[146:147], v[210:211], 0 op_sel_hi:[0,1,0]
	v_pk_fma_f32 v[0:1], v[0:1], v[212:213], 0 op_sel_hi:[1,1,0]
	;; [unrolled: 1-line block ×3, first 2 shown]
	v_pk_mul_f32 v[66:67], v[66:67], v[138:139]
	v_pk_fma_f32 v[0:1], v[4:5], v[208:209], v[0:1]
	v_pk_mul_f32 v[2:3], v[2:3], v[142:143]
	v_pk_fma_f32 v[48:49], v[48:49], v[136:137], v[66:67] neg_lo:[0,0,1] neg_hi:[0,0,1]
	v_pk_fma_f32 v[0:1], v[0:1], v[140:141], v[2:3] neg_lo:[0,0,1] neg_hi:[0,0,1]
	s_add_i32 s5, s4, 8
	v_pk_add_f32 v[18:19], v[18:19], v[48:49]
	v_pk_add_f32 v[16:17], v[16:17], v[0:1]
	s_cmp_lt_u32 s4, 24
	s_mov_b32 s4, s5
	s_cbranch_scc1 .LBB174_8
; %bb.9:                                ;   in Loop: Header=BB174_5 Depth=1
	s_add_i32 s0, s0, 1
	s_cmp_eq_u32 s0, s7
	s_barrier
	s_cbranch_scc0 .LBB174_5
; %bb.10:
	buffer_load_dword v1, off, s[24:27], 0 offset:72 ; 4-byte Folded Reload
	buffer_load_dword v2, off, s[24:27], 0 offset:76 ; 4-byte Folded Reload
.LBB174_11:
	s_waitcnt vmcnt(0)
	v_cmp_gt_u32_e32 vcc, s10, v2
	s_and_saveexec_b64 s[0:1], vcc
	s_cbranch_execz .LBB174_62
; %bb.12:
	v_add_u32_e32 v0, s6, v54
	v_mul_lo_u32 v5, v2, s14
	v_cmp_gt_u32_e32 vcc, s14, v0
	s_and_saveexec_b64 s[2:3], vcc
	s_cbranch_execz .LBB174_14
; %bb.13:
	v_bfe_u32 v2, v46, 16, 1
	s_movk_i32 s0, 0x7fff
	v_add3_u32 v2, v46, v2, s0
	v_lshrrev_b32_e32 v2, 16, v2
	v_mov_b32_e32 v3, 0x7fc0
	v_cmp_o_f32_e64 s[0:1], v46, v46
	v_cndmask_b32_e64 v4, v3, v2, s[0:1]
	v_add_u32_e32 v2, v0, v5
	v_mov_b32_e32 v3, 0
	v_lshlrev_b64 v[2:3], 1, v[2:3]
	s_waitcnt lgkmcnt(0)
	v_mov_b32_e32 v6, s13
	v_add_co_u32_e64 v2, s[0:1], s12, v2
	v_addc_co_u32_e64 v3, s[0:1], v6, v3, s[0:1]
	global_store_short v[2:3], v4, off
.LBB174_14:
	s_or_b64 exec, exec, s[2:3]
	v_add_u32_e32 v2, 32, v0
	v_cmp_gt_u32_e64 s[0:1], s14, v2
	s_and_saveexec_b64 s[4:5], s[0:1]
	s_cbranch_execz .LBB174_16
; %bb.15:
	v_bfe_u32 v3, v44, 16, 1
	s_movk_i32 s2, 0x7fff
	v_add3_u32 v3, v44, v3, s2
	v_add_u32_e32 v6, v2, v5
	v_mov_b32_e32 v7, 0
	v_lshrrev_b32_e32 v3, 16, v3
	v_mov_b32_e32 v4, 0x7fc0
	v_cmp_o_f32_e64 s[2:3], v44, v44
	v_lshlrev_b64 v[6:7], 1, v[6:7]
	v_cndmask_b32_e64 v3, v4, v3, s[2:3]
	s_waitcnt lgkmcnt(0)
	v_mov_b32_e32 v4, s13
	v_add_co_u32_e64 v6, s[2:3], s12, v6
	v_addc_co_u32_e64 v7, s[2:3], v4, v7, s[2:3]
	global_store_short v[6:7], v3, off
.LBB174_16:
	s_or_b64 exec, exec, s[4:5]
	v_add_u32_e32 v3, 64, v0
	v_cmp_gt_u32_e64 s[2:3], s14, v3
	s_and_saveexec_b64 s[6:7], s[2:3]
	s_cbranch_execz .LBB174_18
; %bb.17:
	v_bfe_u32 v4, v42, 16, 1
	s_movk_i32 s4, 0x7fff
	v_add3_u32 v4, v42, v4, s4
	v_lshrrev_b32_e32 v4, 16, v4
	v_mov_b32_e32 v6, 0x7fc0
	v_cmp_o_f32_e64 s[4:5], v42, v42
	v_cndmask_b32_e64 v4, v6, v4, s[4:5]
	v_add_u32_e32 v6, v3, v5
	v_mov_b32_e32 v7, 0
	v_lshlrev_b64 v[6:7], 1, v[6:7]
	s_waitcnt lgkmcnt(0)
	v_mov_b32_e32 v8, s13
	v_add_co_u32_e64 v6, s[4:5], s12, v6
	v_addc_co_u32_e64 v7, s[4:5], v8, v7, s[4:5]
	global_store_short v[6:7], v4, off
.LBB174_18:
	s_or_b64 exec, exec, s[6:7]
	v_add_u32_e32 v4, 0x60, v0
	v_cmp_gt_u32_e64 s[4:5], s14, v4
	s_and_saveexec_b64 s[8:9], s[4:5]
	s_cbranch_execz .LBB174_20
; %bb.19:
	v_bfe_u32 v6, v40, 16, 1
	s_movk_i32 s6, 0x7fff
	v_add3_u32 v6, v40, v6, s6
	v_lshrrev_b32_e32 v6, 16, v6
	v_mov_b32_e32 v7, 0x7fc0
	v_cmp_o_f32_e64 s[6:7], v40, v40
	v_cndmask_b32_e64 v8, v7, v6, s[6:7]
	v_add_u32_e32 v6, v4, v5
	v_mov_b32_e32 v7, 0
	v_lshlrev_b64 v[6:7], 1, v[6:7]
	s_waitcnt lgkmcnt(0)
	v_mov_b32_e32 v5, s13
	v_add_co_u32_e64 v6, s[6:7], s12, v6
	v_addc_co_u32_e64 v7, s[6:7], v5, v7, s[6:7]
	global_store_short v[6:7], v8, off
.LBB174_20:
	s_or_b64 exec, exec, s[8:9]
	v_add3_u32 v5, v1, s15, 8
	v_cmp_gt_u32_e64 s[6:7], s10, v5
	s_and_b64 exec, exec, s[6:7]
	s_cbranch_execz .LBB174_62
; %bb.21:
	v_mul_lo_u32 v5, v5, s14
	s_and_saveexec_b64 s[8:9], vcc
	s_cbranch_execnz .LBB174_63
; %bb.22:
	s_or_b64 exec, exec, s[8:9]
	s_and_saveexec_b64 s[8:9], s[0:1]
	s_cbranch_execnz .LBB174_64
.LBB174_23:
	s_or_b64 exec, exec, s[8:9]
	s_and_saveexec_b64 s[8:9], s[2:3]
	s_cbranch_execnz .LBB174_65
.LBB174_24:
	s_or_b64 exec, exec, s[8:9]
	s_and_saveexec_b64 s[8:9], s[4:5]
	s_cbranch_execz .LBB174_26
.LBB174_25:
	v_bfe_u32 v6, v41, 16, 1
	s_movk_i32 s6, 0x7fff
	v_add3_u32 v6, v41, v6, s6
	v_lshrrev_b32_e32 v6, 16, v6
	v_mov_b32_e32 v7, 0x7fc0
	v_cmp_o_f32_e64 s[6:7], v41, v41
	v_cndmask_b32_e64 v8, v7, v6, s[6:7]
	v_add_u32_e32 v6, v5, v4
	v_mov_b32_e32 v7, 0
	v_lshlrev_b64 v[6:7], 1, v[6:7]
	s_waitcnt lgkmcnt(0)
	v_mov_b32_e32 v5, s13
	v_add_co_u32_e64 v6, s[6:7], s12, v6
	v_addc_co_u32_e64 v7, s[6:7], v5, v7, s[6:7]
	global_store_short v[6:7], v8, off
.LBB174_26:
	s_or_b64 exec, exec, s[8:9]
	v_add3_u32 v5, v1, s15, 16
	v_cmp_gt_u32_e64 s[6:7], s10, v5
	s_and_b64 exec, exec, s[6:7]
	s_cbranch_execz .LBB174_62
; %bb.27:
	v_mul_lo_u32 v5, v5, s14
	s_and_saveexec_b64 s[8:9], vcc
	s_cbranch_execnz .LBB174_66
; %bb.28:
	s_or_b64 exec, exec, s[8:9]
	s_and_saveexec_b64 s[8:9], s[0:1]
	s_cbranch_execnz .LBB174_67
.LBB174_29:
	s_or_b64 exec, exec, s[8:9]
	s_and_saveexec_b64 s[8:9], s[2:3]
	s_cbranch_execnz .LBB174_68
.LBB174_30:
	s_or_b64 exec, exec, s[8:9]
	s_and_saveexec_b64 s[8:9], s[4:5]
	s_cbranch_execz .LBB174_32
.LBB174_31:
	v_bfe_u32 v6, v32, 16, 1
	s_movk_i32 s6, 0x7fff
	v_add3_u32 v6, v32, v6, s6
	v_lshrrev_b32_e32 v6, 16, v6
	v_mov_b32_e32 v7, 0x7fc0
	v_cmp_o_f32_e64 s[6:7], v32, v32
	v_cndmask_b32_e64 v8, v7, v6, s[6:7]
	v_add_u32_e32 v6, v5, v4
	v_mov_b32_e32 v7, 0
	v_lshlrev_b64 v[6:7], 1, v[6:7]
	s_waitcnt lgkmcnt(0)
	v_mov_b32_e32 v5, s13
	v_add_co_u32_e64 v6, s[6:7], s12, v6
	v_addc_co_u32_e64 v7, s[6:7], v5, v7, s[6:7]
	global_store_short v[6:7], v8, off
.LBB174_32:
	s_or_b64 exec, exec, s[8:9]
	v_add3_u32 v5, v1, s15, 24
	v_cmp_gt_u32_e64 s[6:7], s10, v5
	s_and_b64 exec, exec, s[6:7]
	s_cbranch_execz .LBB174_62
; %bb.33:
	v_mul_lo_u32 v5, v5, s14
	s_and_saveexec_b64 s[8:9], vcc
	s_cbranch_execnz .LBB174_69
; %bb.34:
	s_or_b64 exec, exec, s[8:9]
	s_and_saveexec_b64 s[8:9], s[0:1]
	s_cbranch_execnz .LBB174_70
.LBB174_35:
	s_or_b64 exec, exec, s[8:9]
	s_and_saveexec_b64 s[8:9], s[2:3]
	s_cbranch_execnz .LBB174_71
.LBB174_36:
	s_or_b64 exec, exec, s[8:9]
	s_and_saveexec_b64 s[8:9], s[4:5]
	s_cbranch_execz .LBB174_38
.LBB174_37:
	v_bfe_u32 v6, v33, 16, 1
	s_movk_i32 s6, 0x7fff
	v_add3_u32 v6, v33, v6, s6
	v_lshrrev_b32_e32 v6, 16, v6
	v_mov_b32_e32 v7, 0x7fc0
	v_cmp_o_f32_e64 s[6:7], v33, v33
	v_cndmask_b32_e64 v8, v7, v6, s[6:7]
	v_add_u32_e32 v6, v5, v4
	v_mov_b32_e32 v7, 0
	v_lshlrev_b64 v[6:7], 1, v[6:7]
	s_waitcnt lgkmcnt(0)
	v_mov_b32_e32 v5, s13
	v_add_co_u32_e64 v6, s[6:7], s12, v6
	v_addc_co_u32_e64 v7, s[6:7], v5, v7, s[6:7]
	global_store_short v[6:7], v8, off
.LBB174_38:
	s_or_b64 exec, exec, s[8:9]
	v_add3_u32 v5, v1, s15, 32
	v_cmp_gt_u32_e64 s[6:7], s10, v5
	s_and_b64 exec, exec, s[6:7]
	s_cbranch_execz .LBB174_62
; %bb.39:
	v_mul_lo_u32 v5, v5, s14
	s_and_saveexec_b64 s[8:9], vcc
	s_cbranch_execnz .LBB174_72
; %bb.40:
	s_or_b64 exec, exec, s[8:9]
	s_and_saveexec_b64 s[8:9], s[0:1]
	s_cbranch_execnz .LBB174_73
.LBB174_41:
	s_or_b64 exec, exec, s[8:9]
	s_and_saveexec_b64 s[8:9], s[2:3]
	s_cbranch_execnz .LBB174_74
.LBB174_42:
	s_or_b64 exec, exec, s[8:9]
	s_and_saveexec_b64 s[8:9], s[4:5]
	s_cbranch_execz .LBB174_44
.LBB174_43:
	v_bfe_u32 v6, v24, 16, 1
	s_movk_i32 s6, 0x7fff
	v_add3_u32 v6, v24, v6, s6
	v_lshrrev_b32_e32 v6, 16, v6
	v_mov_b32_e32 v7, 0x7fc0
	v_cmp_o_f32_e64 s[6:7], v24, v24
	v_cndmask_b32_e64 v8, v7, v6, s[6:7]
	v_add_u32_e32 v6, v5, v4
	v_mov_b32_e32 v7, 0
	v_lshlrev_b64 v[6:7], 1, v[6:7]
	s_waitcnt lgkmcnt(0)
	v_mov_b32_e32 v5, s13
	v_add_co_u32_e64 v6, s[6:7], s12, v6
	v_addc_co_u32_e64 v7, s[6:7], v5, v7, s[6:7]
	global_store_short v[6:7], v8, off
.LBB174_44:
	s_or_b64 exec, exec, s[8:9]
	v_add3_u32 v5, v1, s15, 40
	v_cmp_gt_u32_e64 s[6:7], s10, v5
	s_and_b64 exec, exec, s[6:7]
	s_cbranch_execz .LBB174_62
; %bb.45:
	v_mul_lo_u32 v5, v5, s14
	s_and_saveexec_b64 s[8:9], vcc
	s_cbranch_execnz .LBB174_75
; %bb.46:
	s_or_b64 exec, exec, s[8:9]
	s_and_saveexec_b64 s[8:9], s[0:1]
	s_cbranch_execnz .LBB174_76
.LBB174_47:
	s_or_b64 exec, exec, s[8:9]
	s_and_saveexec_b64 s[8:9], s[2:3]
	s_cbranch_execnz .LBB174_77
.LBB174_48:
	s_or_b64 exec, exec, s[8:9]
	s_and_saveexec_b64 s[8:9], s[4:5]
	s_cbranch_execz .LBB174_50
.LBB174_49:
	v_bfe_u32 v6, v25, 16, 1
	s_movk_i32 s6, 0x7fff
	v_add3_u32 v6, v25, v6, s6
	v_lshrrev_b32_e32 v6, 16, v6
	v_mov_b32_e32 v7, 0x7fc0
	v_cmp_o_f32_e64 s[6:7], v25, v25
	v_cndmask_b32_e64 v8, v7, v6, s[6:7]
	v_add_u32_e32 v6, v5, v4
	v_mov_b32_e32 v7, 0
	v_lshlrev_b64 v[6:7], 1, v[6:7]
	s_waitcnt lgkmcnt(0)
	v_mov_b32_e32 v5, s13
	v_add_co_u32_e64 v6, s[6:7], s12, v6
	v_addc_co_u32_e64 v7, s[6:7], v5, v7, s[6:7]
	global_store_short v[6:7], v8, off
.LBB174_50:
	s_or_b64 exec, exec, s[8:9]
	v_add3_u32 v5, v1, s15, 48
	v_cmp_gt_u32_e64 s[6:7], s10, v5
	s_and_b64 exec, exec, s[6:7]
	s_cbranch_execz .LBB174_62
; %bb.51:
	v_mul_lo_u32 v5, v5, s14
	s_and_saveexec_b64 s[8:9], vcc
	s_cbranch_execnz .LBB174_78
; %bb.52:
	s_or_b64 exec, exec, s[8:9]
	s_and_saveexec_b64 s[8:9], s[0:1]
	s_cbranch_execnz .LBB174_79
.LBB174_53:
	s_or_b64 exec, exec, s[8:9]
	s_and_saveexec_b64 s[8:9], s[2:3]
	s_cbranch_execnz .LBB174_80
.LBB174_54:
	s_or_b64 exec, exec, s[8:9]
	s_and_saveexec_b64 s[8:9], s[4:5]
	s_cbranch_execz .LBB174_56
.LBB174_55:
	v_bfe_u32 v6, v16, 16, 1
	s_movk_i32 s6, 0x7fff
	v_add3_u32 v6, v16, v6, s6
	v_lshrrev_b32_e32 v6, 16, v6
	v_mov_b32_e32 v7, 0x7fc0
	v_cmp_o_f32_e64 s[6:7], v16, v16
	v_cndmask_b32_e64 v8, v7, v6, s[6:7]
	v_add_u32_e32 v6, v5, v4
	v_mov_b32_e32 v7, 0
	v_lshlrev_b64 v[6:7], 1, v[6:7]
	s_waitcnt lgkmcnt(0)
	v_mov_b32_e32 v5, s13
	v_add_co_u32_e64 v6, s[6:7], s12, v6
	v_addc_co_u32_e64 v7, s[6:7], v5, v7, s[6:7]
	global_store_short v[6:7], v8, off
.LBB174_56:
	s_or_b64 exec, exec, s[8:9]
	v_add3_u32 v1, v1, s15, 56
	v_cmp_gt_u32_e64 s[6:7], s10, v1
	s_and_b64 exec, exec, s[6:7]
	s_cbranch_execz .LBB174_62
; %bb.57:
	v_mul_lo_u32 v1, v1, s14
	s_and_saveexec_b64 s[6:7], vcc
	s_cbranch_execnz .LBB174_81
; %bb.58:
	s_or_b64 exec, exec, s[6:7]
	s_and_saveexec_b64 s[6:7], s[0:1]
	s_cbranch_execnz .LBB174_82
.LBB174_59:
	s_or_b64 exec, exec, s[6:7]
	s_and_saveexec_b64 s[0:1], s[2:3]
	s_cbranch_execnz .LBB174_83
.LBB174_60:
	s_or_b64 exec, exec, s[0:1]
	s_and_b64 exec, exec, s[4:5]
	s_cbranch_execz .LBB174_62
.LBB174_61:
	v_bfe_u32 v0, v17, 16, 1
	s_movk_i32 s0, 0x7fff
	v_add3_u32 v0, v17, v0, s0
	v_lshrrev_b32_e32 v0, 16, v0
	v_mov_b32_e32 v2, 0x7fc0
	v_cmp_o_f32_e32 vcc, v17, v17
	v_cndmask_b32_e32 v2, v2, v0, vcc
	v_add_u32_e32 v0, v1, v4
	v_mov_b32_e32 v1, 0
	v_lshlrev_b64 v[0:1], 1, v[0:1]
	s_waitcnt lgkmcnt(0)
	v_mov_b32_e32 v3, s13
	v_add_co_u32_e32 v0, vcc, s12, v0
	v_addc_co_u32_e32 v1, vcc, v3, v1, vcc
	global_store_short v[0:1], v2, off
.LBB174_62:
	s_endpgm
.LBB174_63:
	v_bfe_u32 v6, v47, 16, 1
	s_movk_i32 s6, 0x7fff
	v_add3_u32 v6, v47, v6, s6
	v_lshrrev_b32_e32 v6, 16, v6
	v_mov_b32_e32 v7, 0x7fc0
	v_cmp_o_f32_e64 s[6:7], v47, v47
	v_cndmask_b32_e64 v8, v7, v6, s[6:7]
	v_add_u32_e32 v6, v5, v0
	v_mov_b32_e32 v7, 0
	v_lshlrev_b64 v[6:7], 1, v[6:7]
	s_waitcnt lgkmcnt(0)
	v_mov_b32_e32 v9, s13
	v_add_co_u32_e64 v6, s[6:7], s12, v6
	v_addc_co_u32_e64 v7, s[6:7], v9, v7, s[6:7]
	global_store_short v[6:7], v8, off
	s_or_b64 exec, exec, s[8:9]
	s_and_saveexec_b64 s[8:9], s[0:1]
	s_cbranch_execz .LBB174_23
.LBB174_64:
	v_bfe_u32 v6, v45, 16, 1
	s_movk_i32 s6, 0x7fff
	v_add3_u32 v6, v45, v6, s6
	v_lshrrev_b32_e32 v6, 16, v6
	v_mov_b32_e32 v7, 0x7fc0
	v_cmp_o_f32_e64 s[6:7], v45, v45
	v_cndmask_b32_e64 v8, v7, v6, s[6:7]
	v_add_u32_e32 v6, v5, v2
	v_mov_b32_e32 v7, 0
	v_lshlrev_b64 v[6:7], 1, v[6:7]
	s_waitcnt lgkmcnt(0)
	v_mov_b32_e32 v9, s13
	v_add_co_u32_e64 v6, s[6:7], s12, v6
	v_addc_co_u32_e64 v7, s[6:7], v9, v7, s[6:7]
	global_store_short v[6:7], v8, off
	s_or_b64 exec, exec, s[8:9]
	s_and_saveexec_b64 s[8:9], s[2:3]
	s_cbranch_execz .LBB174_24
.LBB174_65:
	v_bfe_u32 v6, v43, 16, 1
	s_movk_i32 s6, 0x7fff
	v_add3_u32 v6, v43, v6, s6
	v_lshrrev_b32_e32 v6, 16, v6
	v_mov_b32_e32 v7, 0x7fc0
	v_cmp_o_f32_e64 s[6:7], v43, v43
	v_cndmask_b32_e64 v8, v7, v6, s[6:7]
	v_add_u32_e32 v6, v5, v3
	v_mov_b32_e32 v7, 0
	v_lshlrev_b64 v[6:7], 1, v[6:7]
	s_waitcnt lgkmcnt(0)
	v_mov_b32_e32 v9, s13
	v_add_co_u32_e64 v6, s[6:7], s12, v6
	v_addc_co_u32_e64 v7, s[6:7], v9, v7, s[6:7]
	global_store_short v[6:7], v8, off
	s_or_b64 exec, exec, s[8:9]
	s_and_saveexec_b64 s[8:9], s[4:5]
	s_cbranch_execnz .LBB174_25
	s_branch .LBB174_26
.LBB174_66:
	v_bfe_u32 v6, v38, 16, 1
	s_movk_i32 s6, 0x7fff
	v_add3_u32 v6, v38, v6, s6
	v_lshrrev_b32_e32 v6, 16, v6
	v_mov_b32_e32 v7, 0x7fc0
	v_cmp_o_f32_e64 s[6:7], v38, v38
	v_cndmask_b32_e64 v8, v7, v6, s[6:7]
	v_add_u32_e32 v6, v5, v0
	v_mov_b32_e32 v7, 0
	v_lshlrev_b64 v[6:7], 1, v[6:7]
	s_waitcnt lgkmcnt(0)
	v_mov_b32_e32 v9, s13
	v_add_co_u32_e64 v6, s[6:7], s12, v6
	v_addc_co_u32_e64 v7, s[6:7], v9, v7, s[6:7]
	global_store_short v[6:7], v8, off
	s_or_b64 exec, exec, s[8:9]
	s_and_saveexec_b64 s[8:9], s[0:1]
	s_cbranch_execz .LBB174_29
.LBB174_67:
	v_bfe_u32 v6, v36, 16, 1
	s_movk_i32 s6, 0x7fff
	v_add3_u32 v6, v36, v6, s6
	v_lshrrev_b32_e32 v6, 16, v6
	v_mov_b32_e32 v7, 0x7fc0
	v_cmp_o_f32_e64 s[6:7], v36, v36
	v_cndmask_b32_e64 v8, v7, v6, s[6:7]
	v_add_u32_e32 v6, v5, v2
	v_mov_b32_e32 v7, 0
	v_lshlrev_b64 v[6:7], 1, v[6:7]
	s_waitcnt lgkmcnt(0)
	v_mov_b32_e32 v9, s13
	v_add_co_u32_e64 v6, s[6:7], s12, v6
	v_addc_co_u32_e64 v7, s[6:7], v9, v7, s[6:7]
	global_store_short v[6:7], v8, off
	s_or_b64 exec, exec, s[8:9]
	s_and_saveexec_b64 s[8:9], s[2:3]
	s_cbranch_execz .LBB174_30
.LBB174_68:
	v_bfe_u32 v6, v34, 16, 1
	s_movk_i32 s6, 0x7fff
	v_add3_u32 v6, v34, v6, s6
	v_lshrrev_b32_e32 v6, 16, v6
	v_mov_b32_e32 v7, 0x7fc0
	v_cmp_o_f32_e64 s[6:7], v34, v34
	v_cndmask_b32_e64 v8, v7, v6, s[6:7]
	v_add_u32_e32 v6, v5, v3
	v_mov_b32_e32 v7, 0
	v_lshlrev_b64 v[6:7], 1, v[6:7]
	s_waitcnt lgkmcnt(0)
	v_mov_b32_e32 v9, s13
	v_add_co_u32_e64 v6, s[6:7], s12, v6
	v_addc_co_u32_e64 v7, s[6:7], v9, v7, s[6:7]
	global_store_short v[6:7], v8, off
	s_or_b64 exec, exec, s[8:9]
	s_and_saveexec_b64 s[8:9], s[4:5]
	s_cbranch_execnz .LBB174_31
	s_branch .LBB174_32
.LBB174_69:
	v_bfe_u32 v6, v39, 16, 1
	s_movk_i32 s6, 0x7fff
	v_add3_u32 v6, v39, v6, s6
	v_lshrrev_b32_e32 v6, 16, v6
	v_mov_b32_e32 v7, 0x7fc0
	v_cmp_o_f32_e64 s[6:7], v39, v39
	v_cndmask_b32_e64 v8, v7, v6, s[6:7]
	v_add_u32_e32 v6, v5, v0
	v_mov_b32_e32 v7, 0
	v_lshlrev_b64 v[6:7], 1, v[6:7]
	s_waitcnt lgkmcnt(0)
	v_mov_b32_e32 v9, s13
	v_add_co_u32_e64 v6, s[6:7], s12, v6
	v_addc_co_u32_e64 v7, s[6:7], v9, v7, s[6:7]
	global_store_short v[6:7], v8, off
	s_or_b64 exec, exec, s[8:9]
	s_and_saveexec_b64 s[8:9], s[0:1]
	s_cbranch_execz .LBB174_35
.LBB174_70:
	v_bfe_u32 v6, v37, 16, 1
	s_movk_i32 s6, 0x7fff
	v_add3_u32 v6, v37, v6, s6
	v_lshrrev_b32_e32 v6, 16, v6
	v_mov_b32_e32 v7, 0x7fc0
	v_cmp_o_f32_e64 s[6:7], v37, v37
	v_cndmask_b32_e64 v8, v7, v6, s[6:7]
	v_add_u32_e32 v6, v5, v2
	v_mov_b32_e32 v7, 0
	v_lshlrev_b64 v[6:7], 1, v[6:7]
	s_waitcnt lgkmcnt(0)
	v_mov_b32_e32 v9, s13
	v_add_co_u32_e64 v6, s[6:7], s12, v6
	v_addc_co_u32_e64 v7, s[6:7], v9, v7, s[6:7]
	global_store_short v[6:7], v8, off
	s_or_b64 exec, exec, s[8:9]
	s_and_saveexec_b64 s[8:9], s[2:3]
	s_cbranch_execz .LBB174_36
.LBB174_71:
	v_bfe_u32 v6, v35, 16, 1
	s_movk_i32 s6, 0x7fff
	v_add3_u32 v6, v35, v6, s6
	v_lshrrev_b32_e32 v6, 16, v6
	v_mov_b32_e32 v7, 0x7fc0
	v_cmp_o_f32_e64 s[6:7], v35, v35
	v_cndmask_b32_e64 v8, v7, v6, s[6:7]
	v_add_u32_e32 v6, v5, v3
	v_mov_b32_e32 v7, 0
	v_lshlrev_b64 v[6:7], 1, v[6:7]
	s_waitcnt lgkmcnt(0)
	v_mov_b32_e32 v9, s13
	v_add_co_u32_e64 v6, s[6:7], s12, v6
	v_addc_co_u32_e64 v7, s[6:7], v9, v7, s[6:7]
	global_store_short v[6:7], v8, off
	s_or_b64 exec, exec, s[8:9]
	s_and_saveexec_b64 s[8:9], s[4:5]
	s_cbranch_execnz .LBB174_37
	s_branch .LBB174_38
.LBB174_72:
	v_bfe_u32 v6, v30, 16, 1
	s_movk_i32 s6, 0x7fff
	v_add3_u32 v6, v30, v6, s6
	v_lshrrev_b32_e32 v6, 16, v6
	v_mov_b32_e32 v7, 0x7fc0
	v_cmp_o_f32_e64 s[6:7], v30, v30
	v_cndmask_b32_e64 v8, v7, v6, s[6:7]
	v_add_u32_e32 v6, v5, v0
	v_mov_b32_e32 v7, 0
	v_lshlrev_b64 v[6:7], 1, v[6:7]
	s_waitcnt lgkmcnt(0)
	v_mov_b32_e32 v9, s13
	v_add_co_u32_e64 v6, s[6:7], s12, v6
	v_addc_co_u32_e64 v7, s[6:7], v9, v7, s[6:7]
	global_store_short v[6:7], v8, off
	s_or_b64 exec, exec, s[8:9]
	s_and_saveexec_b64 s[8:9], s[0:1]
	s_cbranch_execz .LBB174_41
.LBB174_73:
	v_bfe_u32 v6, v28, 16, 1
	s_movk_i32 s6, 0x7fff
	v_add3_u32 v6, v28, v6, s6
	v_lshrrev_b32_e32 v6, 16, v6
	v_mov_b32_e32 v7, 0x7fc0
	v_cmp_o_f32_e64 s[6:7], v28, v28
	v_cndmask_b32_e64 v8, v7, v6, s[6:7]
	v_add_u32_e32 v6, v5, v2
	v_mov_b32_e32 v7, 0
	v_lshlrev_b64 v[6:7], 1, v[6:7]
	s_waitcnt lgkmcnt(0)
	v_mov_b32_e32 v9, s13
	v_add_co_u32_e64 v6, s[6:7], s12, v6
	v_addc_co_u32_e64 v7, s[6:7], v9, v7, s[6:7]
	global_store_short v[6:7], v8, off
	s_or_b64 exec, exec, s[8:9]
	s_and_saveexec_b64 s[8:9], s[2:3]
	s_cbranch_execz .LBB174_42
.LBB174_74:
	v_bfe_u32 v6, v26, 16, 1
	s_movk_i32 s6, 0x7fff
	v_add3_u32 v6, v26, v6, s6
	v_lshrrev_b32_e32 v6, 16, v6
	v_mov_b32_e32 v7, 0x7fc0
	v_cmp_o_f32_e64 s[6:7], v26, v26
	v_cndmask_b32_e64 v8, v7, v6, s[6:7]
	v_add_u32_e32 v6, v5, v3
	v_mov_b32_e32 v7, 0
	v_lshlrev_b64 v[6:7], 1, v[6:7]
	s_waitcnt lgkmcnt(0)
	v_mov_b32_e32 v9, s13
	v_add_co_u32_e64 v6, s[6:7], s12, v6
	v_addc_co_u32_e64 v7, s[6:7], v9, v7, s[6:7]
	global_store_short v[6:7], v8, off
	s_or_b64 exec, exec, s[8:9]
	s_and_saveexec_b64 s[8:9], s[4:5]
	s_cbranch_execnz .LBB174_43
	s_branch .LBB174_44
.LBB174_75:
	v_bfe_u32 v6, v31, 16, 1
	s_movk_i32 s6, 0x7fff
	v_add3_u32 v6, v31, v6, s6
	v_lshrrev_b32_e32 v6, 16, v6
	v_mov_b32_e32 v7, 0x7fc0
	v_cmp_o_f32_e64 s[6:7], v31, v31
	v_cndmask_b32_e64 v8, v7, v6, s[6:7]
	v_add_u32_e32 v6, v5, v0
	v_mov_b32_e32 v7, 0
	v_lshlrev_b64 v[6:7], 1, v[6:7]
	s_waitcnt lgkmcnt(0)
	v_mov_b32_e32 v9, s13
	v_add_co_u32_e64 v6, s[6:7], s12, v6
	v_addc_co_u32_e64 v7, s[6:7], v9, v7, s[6:7]
	global_store_short v[6:7], v8, off
	s_or_b64 exec, exec, s[8:9]
	s_and_saveexec_b64 s[8:9], s[0:1]
	s_cbranch_execz .LBB174_47
.LBB174_76:
	v_bfe_u32 v6, v29, 16, 1
	s_movk_i32 s6, 0x7fff
	v_add3_u32 v6, v29, v6, s6
	v_lshrrev_b32_e32 v6, 16, v6
	v_mov_b32_e32 v7, 0x7fc0
	v_cmp_o_f32_e64 s[6:7], v29, v29
	v_cndmask_b32_e64 v8, v7, v6, s[6:7]
	v_add_u32_e32 v6, v5, v2
	v_mov_b32_e32 v7, 0
	v_lshlrev_b64 v[6:7], 1, v[6:7]
	s_waitcnt lgkmcnt(0)
	v_mov_b32_e32 v9, s13
	v_add_co_u32_e64 v6, s[6:7], s12, v6
	v_addc_co_u32_e64 v7, s[6:7], v9, v7, s[6:7]
	global_store_short v[6:7], v8, off
	s_or_b64 exec, exec, s[8:9]
	s_and_saveexec_b64 s[8:9], s[2:3]
	s_cbranch_execz .LBB174_48
.LBB174_77:
	v_bfe_u32 v6, v27, 16, 1
	s_movk_i32 s6, 0x7fff
	v_add3_u32 v6, v27, v6, s6
	v_lshrrev_b32_e32 v6, 16, v6
	v_mov_b32_e32 v7, 0x7fc0
	v_cmp_o_f32_e64 s[6:7], v27, v27
	v_cndmask_b32_e64 v8, v7, v6, s[6:7]
	v_add_u32_e32 v6, v5, v3
	v_mov_b32_e32 v7, 0
	v_lshlrev_b64 v[6:7], 1, v[6:7]
	s_waitcnt lgkmcnt(0)
	v_mov_b32_e32 v9, s13
	v_add_co_u32_e64 v6, s[6:7], s12, v6
	v_addc_co_u32_e64 v7, s[6:7], v9, v7, s[6:7]
	global_store_short v[6:7], v8, off
	s_or_b64 exec, exec, s[8:9]
	s_and_saveexec_b64 s[8:9], s[4:5]
	s_cbranch_execnz .LBB174_49
	s_branch .LBB174_50
.LBB174_78:
	v_bfe_u32 v6, v22, 16, 1
	s_movk_i32 s6, 0x7fff
	v_add3_u32 v6, v22, v6, s6
	v_lshrrev_b32_e32 v6, 16, v6
	v_mov_b32_e32 v7, 0x7fc0
	v_cmp_o_f32_e64 s[6:7], v22, v22
	v_cndmask_b32_e64 v8, v7, v6, s[6:7]
	v_add_u32_e32 v6, v5, v0
	v_mov_b32_e32 v7, 0
	v_lshlrev_b64 v[6:7], 1, v[6:7]
	s_waitcnt lgkmcnt(0)
	v_mov_b32_e32 v9, s13
	v_add_co_u32_e64 v6, s[6:7], s12, v6
	v_addc_co_u32_e64 v7, s[6:7], v9, v7, s[6:7]
	global_store_short v[6:7], v8, off
	s_or_b64 exec, exec, s[8:9]
	s_and_saveexec_b64 s[8:9], s[0:1]
	s_cbranch_execz .LBB174_53
.LBB174_79:
	v_bfe_u32 v6, v20, 16, 1
	s_movk_i32 s6, 0x7fff
	v_add3_u32 v6, v20, v6, s6
	v_lshrrev_b32_e32 v6, 16, v6
	v_mov_b32_e32 v7, 0x7fc0
	v_cmp_o_f32_e64 s[6:7], v20, v20
	v_cndmask_b32_e64 v8, v7, v6, s[6:7]
	v_add_u32_e32 v6, v5, v2
	v_mov_b32_e32 v7, 0
	v_lshlrev_b64 v[6:7], 1, v[6:7]
	s_waitcnt lgkmcnt(0)
	v_mov_b32_e32 v9, s13
	v_add_co_u32_e64 v6, s[6:7], s12, v6
	v_addc_co_u32_e64 v7, s[6:7], v9, v7, s[6:7]
	global_store_short v[6:7], v8, off
	s_or_b64 exec, exec, s[8:9]
	s_and_saveexec_b64 s[8:9], s[2:3]
	s_cbranch_execz .LBB174_54
.LBB174_80:
	v_bfe_u32 v6, v18, 16, 1
	s_movk_i32 s6, 0x7fff
	v_add3_u32 v6, v18, v6, s6
	v_lshrrev_b32_e32 v6, 16, v6
	v_mov_b32_e32 v7, 0x7fc0
	v_cmp_o_f32_e64 s[6:7], v18, v18
	v_cndmask_b32_e64 v8, v7, v6, s[6:7]
	v_add_u32_e32 v6, v5, v3
	v_mov_b32_e32 v7, 0
	v_lshlrev_b64 v[6:7], 1, v[6:7]
	s_waitcnt lgkmcnt(0)
	v_mov_b32_e32 v9, s13
	v_add_co_u32_e64 v6, s[6:7], s12, v6
	v_addc_co_u32_e64 v7, s[6:7], v9, v7, s[6:7]
	global_store_short v[6:7], v8, off
	s_or_b64 exec, exec, s[8:9]
	s_and_saveexec_b64 s[8:9], s[4:5]
	s_cbranch_execnz .LBB174_55
	s_branch .LBB174_56
.LBB174_81:
	v_bfe_u32 v5, v23, 16, 1
	s_movk_i32 s8, 0x7fff
	v_add3_u32 v5, v23, v5, s8
	v_lshrrev_b32_e32 v5, 16, v5
	v_mov_b32_e32 v6, 0x7fc0
	v_cmp_o_f32_e32 vcc, v23, v23
	v_cndmask_b32_e32 v5, v6, v5, vcc
	v_add_u32_e32 v6, v1, v0
	v_mov_b32_e32 v7, 0
	v_lshlrev_b64 v[6:7], 1, v[6:7]
	s_waitcnt lgkmcnt(0)
	v_mov_b32_e32 v0, s13
	v_add_co_u32_e32 v6, vcc, s12, v6
	v_addc_co_u32_e32 v7, vcc, v0, v7, vcc
	global_store_short v[6:7], v5, off
	s_or_b64 exec, exec, s[6:7]
	s_and_saveexec_b64 s[6:7], s[0:1]
	s_cbranch_execz .LBB174_59
.LBB174_82:
	v_bfe_u32 v0, v21, 16, 1
	s_movk_i32 s0, 0x7fff
	v_add3_u32 v0, v21, v0, s0
	v_add_u32_e32 v6, v1, v2
	v_mov_b32_e32 v7, 0
	v_lshrrev_b32_e32 v0, 16, v0
	v_mov_b32_e32 v5, 0x7fc0
	v_cmp_o_f32_e32 vcc, v21, v21
	v_lshlrev_b64 v[6:7], 1, v[6:7]
	v_cndmask_b32_e32 v0, v5, v0, vcc
	s_waitcnt lgkmcnt(0)
	v_mov_b32_e32 v2, s13
	v_add_co_u32_e32 v6, vcc, s12, v6
	v_addc_co_u32_e32 v7, vcc, v2, v7, vcc
	global_store_short v[6:7], v0, off
	s_or_b64 exec, exec, s[6:7]
	s_and_saveexec_b64 s[0:1], s[2:3]
	s_cbranch_execz .LBB174_60
.LBB174_83:
	v_bfe_u32 v0, v19, 16, 1
	s_movk_i32 s2, 0x7fff
	v_add3_u32 v0, v19, v0, s2
	v_lshrrev_b32_e32 v0, 16, v0
	v_mov_b32_e32 v2, 0x7fc0
	v_cmp_o_f32_e32 vcc, v19, v19
	v_cndmask_b32_e32 v0, v2, v0, vcc
	v_add_u32_e32 v2, v1, v3
	v_mov_b32_e32 v3, 0
	v_lshlrev_b64 v[2:3], 1, v[2:3]
	s_waitcnt lgkmcnt(0)
	v_mov_b32_e32 v5, s13
	v_add_co_u32_e32 v2, vcc, s12, v2
	v_addc_co_u32_e32 v3, vcc, v5, v3, vcc
	global_store_short v[2:3], v0, off
	s_or_b64 exec, exec, s[0:1]
	s_and_b64 exec, exec, s[4:5]
	s_cbranch_execnz .LBB174_61
	s_branch .LBB174_62
	.section	.rodata,"a",@progbits
	.p2align	6, 0x0
	.amdhsa_kernel _ZL12mul_mat_q5_KIN3c108BFloat16ELb1EEvPKvS3_PT_iiiii
		.amdhsa_group_segment_fixed_size 45136
		.amdhsa_private_segment_fixed_size 84
		.amdhsa_kernarg_size 44
		.amdhsa_user_sgpr_count 6
		.amdhsa_user_sgpr_private_segment_buffer 1
		.amdhsa_user_sgpr_dispatch_ptr 0
		.amdhsa_user_sgpr_queue_ptr 0
		.amdhsa_user_sgpr_kernarg_segment_ptr 1
		.amdhsa_user_sgpr_dispatch_id 0
		.amdhsa_user_sgpr_flat_scratch_init 0
		.amdhsa_user_sgpr_kernarg_preload_length 0
		.amdhsa_user_sgpr_kernarg_preload_offset 0
		.amdhsa_user_sgpr_private_segment_size 0
		.amdhsa_uses_dynamic_stack 0
		.amdhsa_system_sgpr_private_segment_wavefront_offset 1
		.amdhsa_system_sgpr_workgroup_id_x 1
		.amdhsa_system_sgpr_workgroup_id_y 1
		.amdhsa_system_sgpr_workgroup_id_z 0
		.amdhsa_system_sgpr_workgroup_info 0
		.amdhsa_system_vgpr_workitem_id 1
		.amdhsa_next_free_vgpr 256
		.amdhsa_next_free_sgpr 28
		.amdhsa_accum_offset 256
		.amdhsa_reserve_vcc 1
		.amdhsa_reserve_flat_scratch 0
		.amdhsa_float_round_mode_32 0
		.amdhsa_float_round_mode_16_64 0
		.amdhsa_float_denorm_mode_32 3
		.amdhsa_float_denorm_mode_16_64 3
		.amdhsa_dx10_clamp 1
		.amdhsa_ieee_mode 1
		.amdhsa_fp16_overflow 0
		.amdhsa_tg_split 0
		.amdhsa_exception_fp_ieee_invalid_op 0
		.amdhsa_exception_fp_denorm_src 0
		.amdhsa_exception_fp_ieee_div_zero 0
		.amdhsa_exception_fp_ieee_overflow 0
		.amdhsa_exception_fp_ieee_underflow 0
		.amdhsa_exception_fp_ieee_inexact 0
		.amdhsa_exception_int_div_zero 0
	.end_amdhsa_kernel
	.section	.text._ZL12mul_mat_q5_KIN3c108BFloat16ELb1EEvPKvS3_PT_iiiii,"axG",@progbits,_ZL12mul_mat_q5_KIN3c108BFloat16ELb1EEvPKvS3_PT_iiiii,comdat
.Lfunc_end174:
	.size	_ZL12mul_mat_q5_KIN3c108BFloat16ELb1EEvPKvS3_PT_iiiii, .Lfunc_end174-_ZL12mul_mat_q5_KIN3c108BFloat16ELb1EEvPKvS3_PT_iiiii
                                        ; -- End function
	.section	.AMDGPU.csdata,"",@progbits
; Kernel info:
; codeLenInByte = 19480
; NumSgprs: 32
; NumVgprs: 256
; NumAgprs: 0
; TotalNumVgprs: 256
; ScratchSize: 84
; MemoryBound: 0
; FloatMode: 240
; IeeeMode: 1
; LDSByteSize: 45136 bytes/workgroup (compile time only)
; SGPRBlocks: 3
; VGPRBlocks: 31
; NumSGPRsForWavesPerEU: 32
; NumVGPRsForWavesPerEU: 256
; AccumOffset: 256
; Occupancy: 1
; WaveLimiterHint : 0
; COMPUTE_PGM_RSRC2:SCRATCH_EN: 1
; COMPUTE_PGM_RSRC2:USER_SGPR: 6
; COMPUTE_PGM_RSRC2:TRAP_HANDLER: 0
; COMPUTE_PGM_RSRC2:TGID_X_EN: 1
; COMPUTE_PGM_RSRC2:TGID_Y_EN: 1
; COMPUTE_PGM_RSRC2:TGID_Z_EN: 0
; COMPUTE_PGM_RSRC2:TIDIG_COMP_CNT: 1
; COMPUTE_PGM_RSRC3_GFX90A:ACCUM_OFFSET: 63
; COMPUTE_PGM_RSRC3_GFX90A:TG_SPLIT: 0
	.section	.text._ZL12mul_mat_q6_KIN3c108BFloat16ELb0EEvPKvS3_PT_iiiii,"axG",@progbits,_ZL12mul_mat_q6_KIN3c108BFloat16ELb0EEvPKvS3_PT_iiiii,comdat
	.globl	_ZL12mul_mat_q6_KIN3c108BFloat16ELb0EEvPKvS3_PT_iiiii ; -- Begin function _ZL12mul_mat_q6_KIN3c108BFloat16ELb0EEvPKvS3_PT_iiiii
	.p2align	8
	.type	_ZL12mul_mat_q6_KIN3c108BFloat16ELb0EEvPKvS3_PT_iiiii,@function
_ZL12mul_mat_q6_KIN3c108BFloat16ELb0EEvPKvS3_PT_iiiii: ; @_ZL12mul_mat_q6_KIN3c108BFloat16ELb0EEvPKvS3_PT_iiiii
; %bb.0:
	s_load_dword s14, s[4:5], 0x18
	s_load_dwordx4 s[8:11], s[4:5], 0x20
	s_waitcnt lgkmcnt(0)
	s_lshl_b32 s11, s7, 6
	v_bfe_u32 v133, v0, 10, 10
	s_cmpk_gt_i32 s14, 0xff
	s_cbranch_scc1 .LBB175_2
; %bb.1:
	v_bfe_u32 v1, v0, 10, 10
	v_and_b32_e32 v132, 0x3ff, v0
	v_add_u32_e32 v136, s11, v1
	s_mov_b64 s[0:1], 0
	s_mov_b32 s2, 0
	s_branch .LBB175_3
.LBB175_2:
	s_mov_b64 s[0:1], -1
                                        ; implicit-def: $sgpr2
                                        ; implicit-def: $vgpr1
                                        ; implicit-def: $vgpr132
                                        ; implicit-def: $vgpr136
.LBB175_3:
	s_load_dwordx2 s[12:13], s[4:5], 0x10
	s_lshl_b32 s6, s6, 7
	s_andn2_b64 vcc, exec, s[0:1]
	v_mov_b32_e32 v17, s2
	v_mov_b32_e32 v25, s2
	;; [unrolled: 1-line block ×32, first 2 shown]
	s_cbranch_vccnz .LBB175_11
; %bb.4:
	v_and_b32_e32 v132, 0x3ff, v0
	v_and_b32_e32 v4, 31, v132
	s_load_dwordx4 s[0:3], s[4:5], 0x0
	s_ashr_i32 s4, s14, 31
	v_cmp_lt_u32_e32 vcc, 15, v4
	s_lshr_b32 s4, s4, 24
	v_cndmask_b32_e64 v1, 0, 1, vcc
	s_add_i32 s14, s14, s4
	s_ashr_i32 s5, s9, 31
	v_and_b32_e32 v0, 7, v132
	v_lshlrev_b32_e32 v1, 5, v1
	s_ashr_i32 s4, s14, 8
	s_lshr_b32 s5, s5, 27
	v_lshl_or_b32 v20, v0, 2, v1
	v_add_u16_e32 v0, -16, v4
	v_cmp_gt_u32_e32 vcc, 16, v4
	s_add_i32 s5, s9, s5
	s_mul_i32 s7, s4, s6
	v_cndmask_b32_e32 v0, v0, v4, vcc
	s_ashr_i32 s15, s5, 5
	s_mul_hi_i32 s9, s7, 0xd2
	s_mulk_i32 s7, 0xd2
	v_cmp_lt_u16_e32 vcc, 7, v0
	s_waitcnt lgkmcnt(0)
	s_add_u32 s7, s0, s7
	v_cndmask_b32_e64 v0, 0, 1, vcc
	s_addc_u32 s9, s1, s9
	v_lshlrev_b32_e32 v139, 1, v0
	v_and_or_b32 v0, v132, 15, v1
	v_mul_u32_u24_e32 v1, 0x41, v133
	s_lshl_b32 s0, s4, 3
	v_add_lshl_u32 v140, v0, v1, 2
	v_mov_b32_e32 v0, s0
	v_mad_i32_i24 v24, s4, v133, v0
	v_add_u32_e32 v26, s0, v24
	v_lshlrev_b32_e32 v158, 5, v133
	v_add_u32_e32 v28, s0, v26
	v_add_u32_e32 v0, v158, v132
	;; [unrolled: 1-line block ×3, first 2 shown]
	v_and_b32_e32 v1, 0x7f, v0
	v_lshrrev_b32_e32 v0, 3, v0
	v_add_u32_e32 v32, s0, v30
	v_mul_i32_i24_e32 v54, s4, v1
	v_and_b32_e32 v0, 12, v0
	v_lshlrev_b32_e32 v1, 2, v1
	s_mov_b32 s16, 0xae40
	v_add_u32_e32 v34, s0, v32
	v_add3_u32 v159, v1, v0, s16
	v_lshlrev_b32_e32 v1, 3, v133
	v_lshrrev_b32_e32 v2, 2, v132
	v_add_u32_e32 v36, s0, v34
	v_add_u32_e32 v5, v2, v1
	v_and_b32_e32 v0, 3, v132
	v_add_u16_e32 v1, v2, v1
	v_add_u32_e32 v38, s0, v36
	v_lshlrev_b32_e32 v56, 2, v0
	v_and_b32_e32 v3, 0x7f, v5
	v_lshrrev_b16_e32 v1, 1, v1
	v_add_u32_e32 v40, s0, v38
	v_lshl_or_b32 v6, v3, 4, v56
	v_and_b32_e32 v1, 60, v1
	s_mov_b32 s17, 0xa200
	v_add_u32_e32 v42, s0, v40
	v_add3_u32 v161, v6, v1, s17
	v_xor_b32_e32 v1, 64, v3
	v_add_u32_e32 v44, s0, v42
	v_mul_i32_i24_e32 v60, s4, v1
	v_lshl_or_b32 v2, v1, 4, v56
	v_lshrrev_b32_e32 v1, 1, v1
	v_add_u32_e32 v46, s0, v44
	v_and_b32_e32 v1, 60, v1
	v_lshlrev_b32_e32 v6, 2, v132
	v_add_u32_e32 v48, s0, v46
	v_add3_u32 v162, v2, v1, s17
	v_and_b32_e32 v1, 28, v6
	v_add_u32_e32 v50, s0, v48
	v_add_co_u32_e32 v62, vcc, s2, v1
	v_and_b32_e32 v1, 63, v5
	v_add_u32_e32 v52, s0, v50
	s_add_i32 s0, s8, -1
	v_or_b32_e32 v5, s11, v1
	v_min_i32_e32 v5, s0, v5
	v_mul_i32_i24_e32 v58, s4, v3
	v_add_u32_e32 v136, s11, v133
	v_cvt_f64_i32_e32 v[2:3], s0
	v_mad_u64_u32 v[64:65], s[0:1], v5, s15, v[0:1]
	v_lshl_or_b32 v0, v1, 4, v56
	v_add_u32_e32 v163, 0xaa40, v0
	v_cvt_f64_u32_e32 v[0:1], v136
	v_min_f64 v[0:1], v[0:1], v[2:3]
	v_cvt_i32_f64_e32 v0, v[0:1]
	v_mul_lo_u32 v166, s15, v0
	v_or_b32_e32 v0, v158, v4
	v_mov_b32_e32 v5, 0x8200
	v_lshl_add_u32 v167, v0, 2, v5
	v_add_u32_e32 v0, 8, v136
	v_cvt_f64_u32_e32 v[0:1], v0
	v_min_f64 v[0:1], v[0:1], v[2:3]
	v_cvt_i32_f64_e32 v0, v[0:1]
	v_add_u32_e32 v169, 0x100, v158
	v_mul_lo_u32 v168, s15, v0
	v_or_b32_e32 v0, v169, v4
	v_lshl_add_u32 v170, v0, 2, v5
	v_add_u32_e32 v0, 16, v136
	v_cvt_f64_u32_e32 v[0:1], v0
	v_min_f64 v[0:1], v[0:1], v[2:3]
	v_cvt_i32_f64_e32 v0, v[0:1]
	v_add_u32_e32 v172, 0x200, v158
	v_mul_lo_u32 v171, s15, v0
	v_or_b32_e32 v0, v172, v4
	;; [unrolled: 8-line block ×6, first 2 shown]
	v_lshl_add_u32 v185, v0, 2, v5
	v_add_u32_e32 v0, 56, v136
	v_cvt_f64_u32_e32 v[0:1], v0
	v_min_f64 v[0:1], v[0:1], v[2:3]
	v_cvt_i32_f64_e32 v0, v[0:1]
	v_add_u32_e32 v187, 0x700, v158
	v_lshrrev_b32_e32 v16, 5, v132
	v_mul_lo_u32 v186, s15, v0
	v_or_b32_e32 v0, v187, v4
	v_lshl_add_u32 v188, v0, 2, v5
	v_lshlrev_b32_e32 v0, 2, v16
	v_add3_u32 v189, v0, v6, s16
	v_add_u32_e32 v0, 32, v132
	v_lshrrev_b32_e32 v190, 3, v0
	v_and_b32_e32 v1, 60, v190
	v_add3_u32 v191, v6, v1, s16
	v_add_u32_e32 v1, 64, v132
	v_lshrrev_b32_e32 v2, 3, v1
	v_and_b32_e32 v2, 60, v2
	v_add3_u32 v192, v6, v2, s16
	v_add_u32_e32 v2, 0x60, v132
	v_lshrrev_b32_e32 v3, 3, v2
	v_lshrrev_b32_e32 v164, 3, v132
	v_and_b32_e32 v3, 60, v3
	v_lshlrev_b32_e32 v18, 2, v4
	v_add3_u32 v193, v6, v3, s16
	v_lshlrev_b32_e32 v3, 2, v164
	v_lshlrev_b32_e32 v4, 4, v132
	v_add3_u32 v194, v4, v3, s17
	v_lshlrev_b32_e32 v3, 2, v190
	v_lshlrev_b32_e32 v0, 4, v0
	s_movk_i32 s0, 0x104
	v_add3_u32 v196, v3, v0, s17
	v_mov_b32_e32 v0, 0x2080
	v_mad_u32_u24 v197, v132, s0, v0
	v_lshrrev_b32_e32 v0, 1, v1
	v_and_b32_e32 v0, 0xfc, v0
	v_lshlrev_b32_e32 v1, 4, v1
	v_add3_u32 v198, v1, v0, s17
	v_mov_b32_e32 v0, 0x4100
	v_mad_u32_u24 v199, v132, s0, v0
	v_lshrrev_b32_e32 v0, 1, v2
	v_and_b32_e32 v0, 0xfc, v0
	v_lshlrev_b32_e32 v1, 4, v2
	v_mov_b32_e32 v7, s3
	v_add3_u32 v200, v1, v0, s17
	v_mov_b32_e32 v0, 0x6180
	s_movk_i32 s5, 0xd2
	s_mov_b32 s14, 0
	v_mul_i32_i24_e32 v22, s4, v133
	v_add_u32_e32 v141, 0x820, v140
	v_add_u32_e32 v142, 0x1040, v140
	;; [unrolled: 1-line block ×15, first 2 shown]
	v_addc_co_u32_e32 v63, vcc, 0, v7, vcc
	v_mul_u32_u24_e32 v195, 0x104, v132
	v_mad_u32_u24 v201, v132, s0, v0
	s_mov_b32 s15, 0xf0f0f0f
	s_mov_b32 s16, 0x30303030
	s_movk_i32 s17, 0x3f00
	s_movk_i32 s18, 0xe000
	v_mov_b32_e32 v202, 8
	v_mov_b32_e32 v165, 0
	;; [unrolled: 1-line block ×33, first 2 shown]
.LBB175_5:                              ; =>This Loop Header: Depth=1
                                        ;     Child Loop BB175_6 Depth 2
                                        ;     Child Loop BB175_8 Depth 2
	s_mul_i32 s0, s14, 0xd2
	s_mul_hi_u32 s1, s14, 0xd2
	s_add_u32 s0, s7, s0
	s_addc_u32 s1, s9, s1
	v_pk_mov_b32 v[0:1], s[0:1], s[0:1] op_sel:[0,1]
	v_mad_u64_u32 v[2:3], s[20:21], v16, s5, v[0:1]
	v_mad_u64_u32 v[4:5], s[20:21], v22, s5, v[2:3]
	v_add_co_u32_e32 v6, vcc, v4, v18
	v_addc_co_u32_e32 v7, vcc, 0, v5, vcc
	v_add_co_u32_e32 v4, vcc, v4, v20
	v_addc_co_u32_e32 v5, vcc, 0, v5, vcc
	v_mad_u64_u32 v[8:9], s[20:21], v24, s5, v[2:3]
	v_add_co_u32_e32 v10, vcc, v8, v18
	v_addc_co_u32_e32 v11, vcc, 0, v9, vcc
	global_load_dword v12, v[6:7], off
	global_load_dword v13, v[4:5], off offset:128
	s_nop 0
	global_load_dword v10, v[10:11], off
	v_add_co_u32_e32 v4, vcc, v8, v20
	v_addc_co_u32_e32 v5, vcc, 0, v9, vcc
	global_load_dword v8, v[4:5], off offset:128
	v_mad_u64_u32 v[4:5], s[20:21], v26, s5, v[2:3]
	v_add_co_u32_e32 v6, vcc, v4, v18
	v_addc_co_u32_e32 v7, vcc, 0, v5, vcc
	v_add_co_u32_e32 v4, vcc, v4, v20
	v_addc_co_u32_e32 v5, vcc, 0, v5, vcc
	global_load_dword v9, v[6:7], off
	global_load_dword v11, v[4:5], off offset:128
	v_mad_u64_u32 v[4:5], s[20:21], v28, s5, v[2:3]
	v_add_co_u32_e32 v6, vcc, v4, v18
	v_addc_co_u32_e32 v7, vcc, 0, v5, vcc
	v_add_co_u32_e32 v4, vcc, v4, v20
	v_addc_co_u32_e32 v5, vcc, 0, v5, vcc
	global_load_dword v14, v[6:7], off
	global_load_dword v15, v[4:5], off offset:128
	s_lshl_b32 s19, s14, 3
	v_mad_u64_u32 v[0:1], s[20:21], v54, s5, v[0:1]
	v_add_u32_e32 v203, s19, v64
	s_waitcnt vmcnt(7)
	v_and_b32_e32 v4, 0xf0f0f0f, v12
	s_waitcnt vmcnt(6)
	v_ashrrev_i32_e32 v6, v139, v13
	v_lshrrev_b32_e32 v5, 4, v12
	v_lshlrev_b32_e32 v12, 4, v6
	v_and_b32_e32 v6, 0x30303030, v6
	s_waitcnt vmcnt(5)
	v_and_b32_e32 v7, 0xf0f0f0f, v10
	v_and_or_b32 v4, v12, s16, v4
	s_waitcnt vmcnt(4)
	v_ashrrev_i32_e32 v8, v139, v8
	v_lshlrev_b32_e32 v13, 4, v8
	v_and_or_b32 v5, v5, s15, v6
	v_and_or_b32 v6, v13, s16, v7
	v_and_b32_e32 v7, 0x3f00, v4
	v_lshlrev_b16_e32 v12, 8, v4
	v_and_b32_sdwa v13, v4, s17 dst_sel:DWORD dst_unused:UNUSED_PAD src0_sel:WORD_1 src1_sel:DWORD
	v_lshlrev_b16_sdwa v4, v202, v4 dst_sel:DWORD dst_unused:UNUSED_PAD src0_sel:DWORD src1_sel:WORD_1
	v_and_b32_e32 v66, 0x3f00, v5
	v_lshlrev_b16_e32 v67, 8, v5
	v_and_b32_sdwa v68, v5, s17 dst_sel:DWORD dst_unused:UNUSED_PAD src0_sel:WORD_1 src1_sel:DWORD
	v_lshlrev_b16_sdwa v5, v202, v5 dst_sel:DWORD dst_unused:UNUSED_PAD src0_sel:DWORD src1_sel:WORD_1
	v_add_u16_e32 v12, 0xe000, v12
	v_add_u16_e32 v4, 0xe000, v4
	v_add_u16_e32 v67, 0xe000, v67
	v_add_u16_e32 v5, 0xe000, v5
	v_or_b32_sdwa v7, v7, v12 dst_sel:DWORD dst_unused:UNUSED_PAD src0_sel:DWORD src1_sel:BYTE_1
	v_or_b32_sdwa v4, v13, v4 dst_sel:DWORD dst_unused:UNUSED_PAD src0_sel:DWORD src1_sel:BYTE_1
	;; [unrolled: 1-line block ×4, first 2 shown]
	v_add_u16_e32 v7, 0xe000, v7
	v_add_u16_sdwa v4, v4, s18 dst_sel:WORD_1 dst_unused:UNUSED_PAD src0_sel:DWORD src1_sel:DWORD
	v_add_u16_e32 v12, 0xe000, v12
	v_add_u16_sdwa v5, v5, s18 dst_sel:WORD_1 dst_unused:UNUSED_PAD src0_sel:DWORD src1_sel:DWORD
	v_or_b32_e32 v4, v7, v4
	v_or_b32_e32 v5, v12, v5
	ds_write2_b32 v140, v4, v5 offset1:16
	v_lshlrev_b16_sdwa v5, v202, v6 dst_sel:DWORD dst_unused:UNUSED_PAD src0_sel:DWORD src1_sel:WORD_1
	v_lshrrev_b32_e32 v10, 4, v10
	v_and_b32_e32 v8, 0x30303030, v8
	v_and_b32_sdwa v4, v6, s17 dst_sel:DWORD dst_unused:UNUSED_PAD src0_sel:WORD_1 src1_sel:DWORD
	v_add_u16_e32 v5, 0xe000, v5
	v_or_b32_sdwa v4, v4, v5 dst_sel:DWORD dst_unused:UNUSED_PAD src0_sel:DWORD src1_sel:BYTE_1
	v_and_or_b32 v5, v10, s15, v8
	v_lshlrev_b16_e32 v7, 8, v5
	v_and_b32_e32 v69, 0x3f00, v6
	v_lshlrev_b16_e32 v70, 8, v6
	v_and_b32_e32 v6, 0x3f00, v5
	v_add_u16_e32 v7, 0xe000, v7
	v_or_b32_sdwa v6, v6, v7 dst_sel:DWORD dst_unused:UNUSED_PAD src0_sel:DWORD src1_sel:BYTE_1
	v_and_b32_sdwa v7, v5, s17 dst_sel:DWORD dst_unused:UNUSED_PAD src0_sel:WORD_1 src1_sel:DWORD
	v_lshlrev_b16_sdwa v5, v202, v5 dst_sel:DWORD dst_unused:UNUSED_PAD src0_sel:DWORD src1_sel:WORD_1
	v_add_u16_e32 v70, 0xe000, v70
	v_add_u16_e32 v5, 0xe000, v5
	v_or_b32_sdwa v13, v69, v70 dst_sel:DWORD dst_unused:UNUSED_PAD src0_sel:DWORD src1_sel:BYTE_1
	v_or_b32_sdwa v5, v7, v5 dst_sel:DWORD dst_unused:UNUSED_PAD src0_sel:DWORD src1_sel:BYTE_1
	v_add_u16_e32 v13, 0xe000, v13
	v_add_u16_sdwa v4, v4, s18 dst_sel:WORD_1 dst_unused:UNUSED_PAD src0_sel:DWORD src1_sel:DWORD
	v_add_u16_e32 v6, 0xe000, v6
	v_add_u16_sdwa v5, v5, s18 dst_sel:WORD_1 dst_unused:UNUSED_PAD src0_sel:DWORD src1_sel:DWORD
	v_or_b32_e32 v4, v13, v4
	v_or_b32_e32 v5, v6, v5
	s_waitcnt vmcnt(2)
	v_ashrrev_i32_e32 v6, v139, v11
	ds_write2_b32 v141, v4, v5 offset1:16
	v_and_b32_e32 v4, 0xf0f0f0f, v9
	v_lshlrev_b32_e32 v7, 4, v6
	v_and_or_b32 v4, v7, s16, v4
	v_lshlrev_b16_e32 v8, 8, v4
	v_and_b32_e32 v7, 0x3f00, v4
	v_add_u16_e32 v8, 0xe000, v8
	v_or_b32_sdwa v7, v7, v8 dst_sel:DWORD dst_unused:UNUSED_PAD src0_sel:DWORD src1_sel:BYTE_1
	v_and_b32_sdwa v8, v4, s17 dst_sel:DWORD dst_unused:UNUSED_PAD src0_sel:WORD_1 src1_sel:DWORD
	v_lshlrev_b16_sdwa v4, v202, v4 dst_sel:DWORD dst_unused:UNUSED_PAD src0_sel:DWORD src1_sel:WORD_1
	v_add_u16_e32 v4, 0xe000, v4
	v_or_b32_sdwa v4, v8, v4 dst_sel:DWORD dst_unused:UNUSED_PAD src0_sel:DWORD src1_sel:BYTE_1
	v_lshrrev_b32_e32 v5, 4, v9
	v_and_b32_e32 v6, 0x30303030, v6
	v_add_u16_e32 v7, 0xe000, v7
	v_add_u16_sdwa v4, v4, s18 dst_sel:WORD_1 dst_unused:UNUSED_PAD src0_sel:DWORD src1_sel:DWORD
	v_or_b32_e32 v8, v7, v4
	v_and_or_b32 v9, v5, s15, v6
	v_mad_u64_u32 v[4:5], s[20:21], v30, s5, v[2:3]
	v_add_co_u32_e32 v6, vcc, v4, v18
	v_addc_co_u32_e32 v7, vcc, 0, v5, vcc
	v_add_co_u32_e32 v4, vcc, v4, v20
	v_addc_co_u32_e32 v5, vcc, 0, v5, vcc
	global_load_dword v11, v[6:7], off
	global_load_dword v12, v[4:5], off offset:128
	v_lshlrev_b16_e32 v4, 8, v9
	v_lshlrev_b16_sdwa v6, v202, v9 dst_sel:DWORD dst_unused:UNUSED_PAD src0_sel:DWORD src1_sel:WORD_1
	v_and_b32_e32 v10, 0x3f00, v9
	v_add_u16_e32 v4, 0xe000, v4
	v_and_b32_sdwa v5, v9, s17 dst_sel:DWORD dst_unused:UNUSED_PAD src0_sel:WORD_1 src1_sel:DWORD
	v_add_u16_e32 v6, 0xe000, v6
	v_or_b32_sdwa v4, v10, v4 dst_sel:DWORD dst_unused:UNUSED_PAD src0_sel:DWORD src1_sel:BYTE_1
	v_or_b32_sdwa v5, v5, v6 dst_sel:DWORD dst_unused:UNUSED_PAD src0_sel:DWORD src1_sel:BYTE_1
	v_add_u16_e32 v4, 0xe000, v4
	v_add_u16_sdwa v5, v5, s18 dst_sel:WORD_1 dst_unused:UNUSED_PAD src0_sel:DWORD src1_sel:DWORD
	v_or_b32_e32 v4, v4, v5
	s_waitcnt vmcnt(2)
	v_ashrrev_i32_e32 v5, v139, v15
	ds_write2_b32 v142, v8, v4 offset1:16
	v_and_b32_e32 v4, 0xf0f0f0f, v14
	v_lshlrev_b32_e32 v6, 4, v5
	v_and_b32_e32 v9, 0x30303030, v5
	v_and_or_b32 v10, v6, s16, v4
	v_mad_u64_u32 v[4:5], s[20:21], v32, s5, v[2:3]
	v_add_co_u32_e32 v6, vcc, v4, v18
	v_addc_co_u32_e32 v7, vcc, 0, v5, vcc
	v_add_co_u32_e32 v4, vcc, v4, v20
	v_addc_co_u32_e32 v5, vcc, 0, v5, vcc
	v_lshrrev_b32_e32 v8, 4, v14
	global_load_dword v14, v[6:7], off
	global_load_dword v15, v[4:5], off offset:128
	v_lshlrev_b16_e32 v4, 8, v10
	v_lshlrev_b16_sdwa v6, v202, v10 dst_sel:DWORD dst_unused:UNUSED_PAD src0_sel:DWORD src1_sel:WORD_1
	v_and_b32_e32 v13, 0x3f00, v10
	v_add_u16_e32 v4, 0xe000, v4
	v_and_b32_sdwa v5, v10, s17 dst_sel:DWORD dst_unused:UNUSED_PAD src0_sel:WORD_1 src1_sel:DWORD
	v_add_u16_e32 v6, 0xe000, v6
	v_or_b32_sdwa v4, v13, v4 dst_sel:DWORD dst_unused:UNUSED_PAD src0_sel:DWORD src1_sel:BYTE_1
	v_or_b32_sdwa v5, v5, v6 dst_sel:DWORD dst_unused:UNUSED_PAD src0_sel:DWORD src1_sel:BYTE_1
	v_add_u16_e32 v4, 0xe000, v4
	v_add_u16_sdwa v5, v5, s18 dst_sel:WORD_1 dst_unused:UNUSED_PAD src0_sel:DWORD src1_sel:DWORD
	v_or_b32_e32 v10, v4, v5
	v_and_or_b32 v4, v8, s15, v9
	v_lshlrev_b16_e32 v6, 8, v4
	v_and_b32_e32 v5, 0x3f00, v4
	v_add_u16_e32 v6, 0xe000, v6
	v_or_b32_sdwa v5, v5, v6 dst_sel:DWORD dst_unused:UNUSED_PAD src0_sel:DWORD src1_sel:BYTE_1
	v_add_u16_e32 v8, 0xe000, v5
	v_and_b32_sdwa v9, v4, s17 dst_sel:DWORD dst_unused:UNUSED_PAD src0_sel:WORD_1 src1_sel:DWORD
	v_lshlrev_b16_sdwa v13, v202, v4 dst_sel:DWORD dst_unused:UNUSED_PAD src0_sel:DWORD src1_sel:WORD_1
	v_mad_u64_u32 v[4:5], s[20:21], v34, s5, v[2:3]
	v_add_co_u32_e32 v6, vcc, v4, v18
	v_addc_co_u32_e32 v7, vcc, 0, v5, vcc
	v_add_co_u32_e32 v4, vcc, v4, v20
	v_addc_co_u32_e32 v5, vcc, 0, v5, vcc
	global_load_dword v66, v[6:7], off
	global_load_dword v67, v[4:5], off offset:128
	v_add_u16_e32 v4, 0xe000, v13
	v_or_b32_sdwa v4, v9, v4 dst_sel:DWORD dst_unused:UNUSED_PAD src0_sel:DWORD src1_sel:BYTE_1
	v_add_u16_sdwa v4, v4, s18 dst_sel:WORD_1 dst_unused:UNUSED_PAD src0_sel:DWORD src1_sel:DWORD
	v_or_b32_e32 v4, v8, v4
	ds_write2_b32 v144, v10, v4 offset1:16
	v_mad_u64_u32 v[4:5], s[20:21], v36, s5, v[2:3]
	v_add_co_u32_e32 v6, vcc, v4, v18
	v_addc_co_u32_e32 v7, vcc, 0, v5, vcc
	v_add_co_u32_e32 v4, vcc, v4, v20
	v_addc_co_u32_e32 v5, vcc, 0, v5, vcc
	global_load_dword v8, v[6:7], off
	global_load_dword v9, v[4:5], off offset:128
	s_waitcnt vmcnt(7)
	v_and_b32_e32 v4, 0xf0f0f0f, v11
	s_waitcnt vmcnt(6)
	v_ashrrev_i32_e32 v6, v139, v12
	v_lshlrev_b32_e32 v7, 4, v6
	v_and_or_b32 v4, v7, s16, v4
	v_lshlrev_b16_e32 v10, 8, v4
	v_and_b32_e32 v7, 0x3f00, v4
	v_add_u16_e32 v10, 0xe000, v10
	v_or_b32_sdwa v7, v7, v10 dst_sel:DWORD dst_unused:UNUSED_PAD src0_sel:DWORD src1_sel:BYTE_1
	v_and_b32_sdwa v10, v4, s17 dst_sel:DWORD dst_unused:UNUSED_PAD src0_sel:WORD_1 src1_sel:DWORD
	v_lshlrev_b16_sdwa v4, v202, v4 dst_sel:DWORD dst_unused:UNUSED_PAD src0_sel:DWORD src1_sel:WORD_1
	v_add_u16_e32 v4, 0xe000, v4
	v_lshrrev_b32_e32 v5, 4, v11
	v_and_b32_e32 v6, 0x30303030, v6
	v_or_b32_sdwa v4, v10, v4 dst_sel:DWORD dst_unused:UNUSED_PAD src0_sel:DWORD src1_sel:BYTE_1
	v_add_u16_e32 v7, 0xe000, v7
	v_add_u16_sdwa v4, v4, s18 dst_sel:WORD_1 dst_unused:UNUSED_PAD src0_sel:DWORD src1_sel:DWORD
	v_and_or_b32 v5, v5, s15, v6
	v_or_b32_e32 v4, v7, v4
	v_lshlrev_b16_e32 v7, 8, v5
	v_and_b32_e32 v6, 0x3f00, v5
	v_add_u16_e32 v7, 0xe000, v7
	v_or_b32_sdwa v6, v6, v7 dst_sel:DWORD dst_unused:UNUSED_PAD src0_sel:DWORD src1_sel:BYTE_1
	v_and_b32_sdwa v7, v5, s17 dst_sel:DWORD dst_unused:UNUSED_PAD src0_sel:WORD_1 src1_sel:DWORD
	v_lshlrev_b16_sdwa v5, v202, v5 dst_sel:DWORD dst_unused:UNUSED_PAD src0_sel:DWORD src1_sel:WORD_1
	v_add_u16_e32 v5, 0xe000, v5
	v_or_b32_sdwa v5, v7, v5 dst_sel:DWORD dst_unused:UNUSED_PAD src0_sel:DWORD src1_sel:BYTE_1
	v_add_u16_e32 v6, 0xe000, v6
	v_add_u16_sdwa v5, v5, s18 dst_sel:WORD_1 dst_unused:UNUSED_PAD src0_sel:DWORD src1_sel:DWORD
	v_or_b32_e32 v5, v6, v5
	ds_write2_b32 v145, v4, v5 offset1:16
	s_waitcnt vmcnt(5)
	v_and_b32_e32 v4, 0xf0f0f0f, v14
	s_waitcnt vmcnt(4)
	v_ashrrev_i32_e32 v6, v139, v15
	v_lshlrev_b32_e32 v7, 4, v6
	v_and_or_b32 v4, v7, s16, v4
	v_lshlrev_b16_e32 v10, 8, v4
	v_and_b32_e32 v7, 0x3f00, v4
	v_add_u16_e32 v10, 0xe000, v10
	v_or_b32_sdwa v7, v7, v10 dst_sel:DWORD dst_unused:UNUSED_PAD src0_sel:DWORD src1_sel:BYTE_1
	v_and_b32_sdwa v10, v4, s17 dst_sel:DWORD dst_unused:UNUSED_PAD src0_sel:WORD_1 src1_sel:DWORD
	v_lshlrev_b16_sdwa v4, v202, v4 dst_sel:DWORD dst_unused:UNUSED_PAD src0_sel:DWORD src1_sel:WORD_1
	v_add_u16_e32 v4, 0xe000, v4
	v_lshrrev_b32_e32 v5, 4, v14
	v_and_b32_e32 v6, 0x30303030, v6
	v_or_b32_sdwa v4, v10, v4 dst_sel:DWORD dst_unused:UNUSED_PAD src0_sel:DWORD src1_sel:BYTE_1
	v_add_u16_e32 v7, 0xe000, v7
	v_add_u16_sdwa v4, v4, s18 dst_sel:WORD_1 dst_unused:UNUSED_PAD src0_sel:DWORD src1_sel:DWORD
	v_and_or_b32 v5, v5, s15, v6
	v_or_b32_e32 v4, v7, v4
	v_lshlrev_b16_e32 v7, 8, v5
	v_and_b32_e32 v6, 0x3f00, v5
	v_add_u16_e32 v7, 0xe000, v7
	v_or_b32_sdwa v6, v6, v7 dst_sel:DWORD dst_unused:UNUSED_PAD src0_sel:DWORD src1_sel:BYTE_1
	v_and_b32_sdwa v7, v5, s17 dst_sel:DWORD dst_unused:UNUSED_PAD src0_sel:WORD_1 src1_sel:DWORD
	v_lshlrev_b16_sdwa v5, v202, v5 dst_sel:DWORD dst_unused:UNUSED_PAD src0_sel:DWORD src1_sel:WORD_1
	v_add_u16_e32 v5, 0xe000, v5
	v_or_b32_sdwa v5, v7, v5 dst_sel:DWORD dst_unused:UNUSED_PAD src0_sel:DWORD src1_sel:BYTE_1
	v_add_u16_e32 v6, 0xe000, v6
	v_add_u16_sdwa v5, v5, s18 dst_sel:WORD_1 dst_unused:UNUSED_PAD src0_sel:DWORD src1_sel:DWORD
	v_or_b32_e32 v5, v6, v5
	ds_write2_b32 v146, v4, v5 offset1:16
	s_waitcnt vmcnt(3)
	v_and_b32_e32 v4, 0xf0f0f0f, v66
	s_waitcnt vmcnt(2)
	v_ashrrev_i32_e32 v6, v139, v67
	v_lshlrev_b32_e32 v7, 4, v6
	v_and_or_b32 v4, v7, s16, v4
	v_lshlrev_b16_e32 v10, 8, v4
	v_and_b32_e32 v7, 0x3f00, v4
	v_add_u16_e32 v10, 0xe000, v10
	v_or_b32_sdwa v7, v7, v10 dst_sel:DWORD dst_unused:UNUSED_PAD src0_sel:DWORD src1_sel:BYTE_1
	v_and_b32_sdwa v10, v4, s17 dst_sel:DWORD dst_unused:UNUSED_PAD src0_sel:WORD_1 src1_sel:DWORD
	v_lshlrev_b16_sdwa v4, v202, v4 dst_sel:DWORD dst_unused:UNUSED_PAD src0_sel:DWORD src1_sel:WORD_1
	v_add_u16_e32 v4, 0xe000, v4
	v_or_b32_sdwa v4, v10, v4 dst_sel:DWORD dst_unused:UNUSED_PAD src0_sel:DWORD src1_sel:BYTE_1
	v_lshrrev_b32_e32 v5, 4, v66
	v_and_b32_e32 v6, 0x30303030, v6
	v_add_u16_e32 v7, 0xe000, v7
	v_add_u16_sdwa v4, v4, s18 dst_sel:WORD_1 dst_unused:UNUSED_PAD src0_sel:DWORD src1_sel:DWORD
	v_or_b32_e32 v10, v7, v4
	v_and_or_b32 v11, v5, s15, v6
	v_mad_u64_u32 v[4:5], s[20:21], v38, s5, v[2:3]
	v_add_co_u32_e32 v6, vcc, v4, v18
	v_addc_co_u32_e32 v7, vcc, 0, v5, vcc
	v_add_co_u32_e32 v4, vcc, v4, v20
	v_addc_co_u32_e32 v5, vcc, 0, v5, vcc
	global_load_dword v13, v[6:7], off
	global_load_dword v14, v[4:5], off offset:128
	v_lshlrev_b16_e32 v4, 8, v11
	v_lshlrev_b16_sdwa v6, v202, v11 dst_sel:DWORD dst_unused:UNUSED_PAD src0_sel:DWORD src1_sel:WORD_1
	v_and_b32_e32 v12, 0x3f00, v11
	v_add_u16_e32 v4, 0xe000, v4
	v_and_b32_sdwa v5, v11, s17 dst_sel:DWORD dst_unused:UNUSED_PAD src0_sel:WORD_1 src1_sel:DWORD
	v_add_u16_e32 v6, 0xe000, v6
	v_or_b32_sdwa v4, v12, v4 dst_sel:DWORD dst_unused:UNUSED_PAD src0_sel:DWORD src1_sel:BYTE_1
	v_or_b32_sdwa v5, v5, v6 dst_sel:DWORD dst_unused:UNUSED_PAD src0_sel:DWORD src1_sel:BYTE_1
	v_add_u16_e32 v4, 0xe000, v4
	v_add_u16_sdwa v5, v5, s18 dst_sel:WORD_1 dst_unused:UNUSED_PAD src0_sel:DWORD src1_sel:DWORD
	v_or_b32_e32 v4, v4, v5
	s_waitcnt vmcnt(2)
	v_ashrrev_i32_e32 v5, v139, v9
	ds_write2_b32 v147, v10, v4 offset1:16
	v_and_b32_e32 v4, 0xf0f0f0f, v8
	v_lshlrev_b32_e32 v6, 4, v5
	v_and_b32_e32 v9, 0x30303030, v5
	v_and_or_b32 v10, v6, s16, v4
	v_mad_u64_u32 v[4:5], s[20:21], v40, s5, v[2:3]
	v_add_co_u32_e32 v6, vcc, v4, v18
	v_addc_co_u32_e32 v7, vcc, 0, v5, vcc
	v_add_co_u32_e32 v4, vcc, v4, v20
	v_addc_co_u32_e32 v5, vcc, 0, v5, vcc
	global_load_dword v12, v[6:7], off
	global_load_dword v15, v[4:5], off offset:128
	v_lshlrev_b16_e32 v4, 8, v10
	v_lshlrev_b16_sdwa v6, v202, v10 dst_sel:DWORD dst_unused:UNUSED_PAD src0_sel:DWORD src1_sel:WORD_1
	v_and_b32_e32 v11, 0x3f00, v10
	v_add_u16_e32 v4, 0xe000, v4
	v_and_b32_sdwa v5, v10, s17 dst_sel:DWORD dst_unused:UNUSED_PAD src0_sel:WORD_1 src1_sel:DWORD
	v_add_u16_e32 v6, 0xe000, v6
	v_or_b32_sdwa v4, v11, v4 dst_sel:DWORD dst_unused:UNUSED_PAD src0_sel:DWORD src1_sel:BYTE_1
	v_or_b32_sdwa v5, v5, v6 dst_sel:DWORD dst_unused:UNUSED_PAD src0_sel:DWORD src1_sel:BYTE_1
	v_lshrrev_b32_e32 v8, 4, v8
	v_add_u16_e32 v4, 0xe000, v4
	v_add_u16_sdwa v5, v5, s18 dst_sel:WORD_1 dst_unused:UNUSED_PAD src0_sel:DWORD src1_sel:DWORD
	v_or_b32_e32 v10, v4, v5
	v_and_or_b32 v4, v8, s15, v9
	v_lshlrev_b16_e32 v6, 8, v4
	v_and_b32_e32 v5, 0x3f00, v4
	v_add_u16_e32 v6, 0xe000, v6
	v_or_b32_sdwa v5, v5, v6 dst_sel:DWORD dst_unused:UNUSED_PAD src0_sel:DWORD src1_sel:BYTE_1
	v_add_u16_e32 v8, 0xe000, v5
	v_and_b32_sdwa v9, v4, s17 dst_sel:DWORD dst_unused:UNUSED_PAD src0_sel:WORD_1 src1_sel:DWORD
	v_lshlrev_b16_sdwa v11, v202, v4 dst_sel:DWORD dst_unused:UNUSED_PAD src0_sel:DWORD src1_sel:WORD_1
	v_mad_u64_u32 v[4:5], s[20:21], v42, s5, v[2:3]
	v_add_co_u32_e32 v6, vcc, v4, v18
	v_addc_co_u32_e32 v7, vcc, 0, v5, vcc
	v_add_co_u32_e32 v4, vcc, v4, v20
	v_addc_co_u32_e32 v5, vcc, 0, v5, vcc
	global_load_dword v66, v[6:7], off
	global_load_dword v67, v[4:5], off offset:128
	v_add_u16_e32 v4, 0xe000, v11
	v_or_b32_sdwa v4, v9, v4 dst_sel:DWORD dst_unused:UNUSED_PAD src0_sel:DWORD src1_sel:BYTE_1
	v_add_u16_sdwa v4, v4, s18 dst_sel:WORD_1 dst_unused:UNUSED_PAD src0_sel:DWORD src1_sel:DWORD
	v_or_b32_e32 v4, v8, v4
	ds_write2_b32 v148, v10, v4 offset1:16
	v_mad_u64_u32 v[4:5], s[20:21], v44, s5, v[2:3]
	v_add_co_u32_e32 v6, vcc, v4, v18
	v_addc_co_u32_e32 v7, vcc, 0, v5, vcc
	v_add_co_u32_e32 v4, vcc, v4, v20
	v_addc_co_u32_e32 v5, vcc, 0, v5, vcc
	global_load_dword v8, v[6:7], off
	global_load_dword v9, v[4:5], off offset:128
	s_waitcnt vmcnt(7)
	v_and_b32_e32 v4, 0xf0f0f0f, v13
	s_waitcnt vmcnt(6)
	v_ashrrev_i32_e32 v6, v139, v14
	v_lshlrev_b32_e32 v7, 4, v6
	v_and_or_b32 v4, v7, s16, v4
	v_lshlrev_b16_e32 v10, 8, v4
	v_and_b32_e32 v7, 0x3f00, v4
	v_add_u16_e32 v10, 0xe000, v10
	v_or_b32_sdwa v7, v7, v10 dst_sel:DWORD dst_unused:UNUSED_PAD src0_sel:DWORD src1_sel:BYTE_1
	v_and_b32_sdwa v10, v4, s17 dst_sel:DWORD dst_unused:UNUSED_PAD src0_sel:WORD_1 src1_sel:DWORD
	v_lshlrev_b16_sdwa v4, v202, v4 dst_sel:DWORD dst_unused:UNUSED_PAD src0_sel:DWORD src1_sel:WORD_1
	v_add_u16_e32 v4, 0xe000, v4
	v_lshrrev_b32_e32 v5, 4, v13
	v_and_b32_e32 v6, 0x30303030, v6
	v_or_b32_sdwa v4, v10, v4 dst_sel:DWORD dst_unused:UNUSED_PAD src0_sel:DWORD src1_sel:BYTE_1
	v_add_u16_e32 v7, 0xe000, v7
	v_add_u16_sdwa v4, v4, s18 dst_sel:WORD_1 dst_unused:UNUSED_PAD src0_sel:DWORD src1_sel:DWORD
	v_and_or_b32 v5, v5, s15, v6
	v_or_b32_e32 v4, v7, v4
	v_lshlrev_b16_e32 v7, 8, v5
	v_and_b32_e32 v6, 0x3f00, v5
	v_add_u16_e32 v7, 0xe000, v7
	v_or_b32_sdwa v6, v6, v7 dst_sel:DWORD dst_unused:UNUSED_PAD src0_sel:DWORD src1_sel:BYTE_1
	v_and_b32_sdwa v7, v5, s17 dst_sel:DWORD dst_unused:UNUSED_PAD src0_sel:WORD_1 src1_sel:DWORD
	v_lshlrev_b16_sdwa v5, v202, v5 dst_sel:DWORD dst_unused:UNUSED_PAD src0_sel:DWORD src1_sel:WORD_1
	v_add_u16_e32 v5, 0xe000, v5
	v_or_b32_sdwa v5, v7, v5 dst_sel:DWORD dst_unused:UNUSED_PAD src0_sel:DWORD src1_sel:BYTE_1
	v_add_u16_e32 v6, 0xe000, v6
	v_add_u16_sdwa v5, v5, s18 dst_sel:WORD_1 dst_unused:UNUSED_PAD src0_sel:DWORD src1_sel:DWORD
	v_or_b32_e32 v5, v6, v5
	ds_write2_b32 v149, v4, v5 offset1:16
	s_waitcnt vmcnt(4)
	v_ashrrev_i32_e32 v6, v139, v15
	v_and_b32_e32 v4, 0xf0f0f0f, v12
	v_lshlrev_b32_e32 v7, 4, v6
	v_and_or_b32 v4, v7, s16, v4
	v_lshlrev_b16_e32 v10, 8, v4
	v_and_b32_e32 v7, 0x3f00, v4
	v_add_u16_e32 v10, 0xe000, v10
	v_or_b32_sdwa v7, v7, v10 dst_sel:DWORD dst_unused:UNUSED_PAD src0_sel:DWORD src1_sel:BYTE_1
	v_and_b32_sdwa v10, v4, s17 dst_sel:DWORD dst_unused:UNUSED_PAD src0_sel:WORD_1 src1_sel:DWORD
	v_lshlrev_b16_sdwa v4, v202, v4 dst_sel:DWORD dst_unused:UNUSED_PAD src0_sel:DWORD src1_sel:WORD_1
	v_add_u16_e32 v4, 0xe000, v4
	v_lshrrev_b32_e32 v5, 4, v12
	v_and_b32_e32 v6, 0x30303030, v6
	v_or_b32_sdwa v4, v10, v4 dst_sel:DWORD dst_unused:UNUSED_PAD src0_sel:DWORD src1_sel:BYTE_1
	v_add_u16_e32 v7, 0xe000, v7
	v_add_u16_sdwa v4, v4, s18 dst_sel:WORD_1 dst_unused:UNUSED_PAD src0_sel:DWORD src1_sel:DWORD
	v_and_or_b32 v5, v5, s15, v6
	v_or_b32_e32 v4, v7, v4
	v_lshlrev_b16_e32 v7, 8, v5
	v_and_b32_e32 v6, 0x3f00, v5
	v_add_u16_e32 v7, 0xe000, v7
	v_or_b32_sdwa v6, v6, v7 dst_sel:DWORD dst_unused:UNUSED_PAD src0_sel:DWORD src1_sel:BYTE_1
	v_and_b32_sdwa v7, v5, s17 dst_sel:DWORD dst_unused:UNUSED_PAD src0_sel:WORD_1 src1_sel:DWORD
	v_lshlrev_b16_sdwa v5, v202, v5 dst_sel:DWORD dst_unused:UNUSED_PAD src0_sel:DWORD src1_sel:WORD_1
	v_add_u16_e32 v5, 0xe000, v5
	v_or_b32_sdwa v5, v7, v5 dst_sel:DWORD dst_unused:UNUSED_PAD src0_sel:DWORD src1_sel:BYTE_1
	v_add_u16_e32 v6, 0xe000, v6
	v_add_u16_sdwa v5, v5, s18 dst_sel:WORD_1 dst_unused:UNUSED_PAD src0_sel:DWORD src1_sel:DWORD
	v_or_b32_e32 v5, v6, v5
	ds_write2_b32 v150, v4, v5 offset1:16
	s_waitcnt vmcnt(3)
	v_and_b32_e32 v4, 0xf0f0f0f, v66
	s_waitcnt vmcnt(2)
	v_ashrrev_i32_e32 v6, v139, v67
	v_lshlrev_b32_e32 v7, 4, v6
	v_and_or_b32 v4, v7, s16, v4
	v_lshlrev_b16_e32 v10, 8, v4
	v_and_b32_e32 v7, 0x3f00, v4
	v_add_u16_e32 v10, 0xe000, v10
	v_or_b32_sdwa v7, v7, v10 dst_sel:DWORD dst_unused:UNUSED_PAD src0_sel:DWORD src1_sel:BYTE_1
	v_and_b32_sdwa v10, v4, s17 dst_sel:DWORD dst_unused:UNUSED_PAD src0_sel:WORD_1 src1_sel:DWORD
	v_lshlrev_b16_sdwa v4, v202, v4 dst_sel:DWORD dst_unused:UNUSED_PAD src0_sel:DWORD src1_sel:WORD_1
	v_add_u16_e32 v4, 0xe000, v4
	v_or_b32_sdwa v4, v10, v4 dst_sel:DWORD dst_unused:UNUSED_PAD src0_sel:DWORD src1_sel:BYTE_1
	v_lshrrev_b32_e32 v5, 4, v66
	v_and_b32_e32 v6, 0x30303030, v6
	v_add_u16_e32 v7, 0xe000, v7
	v_add_u16_sdwa v4, v4, s18 dst_sel:WORD_1 dst_unused:UNUSED_PAD src0_sel:DWORD src1_sel:DWORD
	v_or_b32_e32 v10, v7, v4
	v_and_or_b32 v11, v5, s15, v6
	v_mad_u64_u32 v[4:5], s[20:21], v46, s5, v[2:3]
	v_add_co_u32_e32 v6, vcc, v4, v18
	v_addc_co_u32_e32 v7, vcc, 0, v5, vcc
	v_add_co_u32_e32 v4, vcc, v4, v20
	v_addc_co_u32_e32 v5, vcc, 0, v5, vcc
	global_load_dword v13, v[6:7], off
	global_load_dword v14, v[4:5], off offset:128
	v_lshlrev_b16_e32 v4, 8, v11
	v_lshlrev_b16_sdwa v6, v202, v11 dst_sel:DWORD dst_unused:UNUSED_PAD src0_sel:DWORD src1_sel:WORD_1
	v_and_b32_e32 v12, 0x3f00, v11
	v_add_u16_e32 v4, 0xe000, v4
	v_and_b32_sdwa v5, v11, s17 dst_sel:DWORD dst_unused:UNUSED_PAD src0_sel:WORD_1 src1_sel:DWORD
	v_add_u16_e32 v6, 0xe000, v6
	v_or_b32_sdwa v4, v12, v4 dst_sel:DWORD dst_unused:UNUSED_PAD src0_sel:DWORD src1_sel:BYTE_1
	v_or_b32_sdwa v5, v5, v6 dst_sel:DWORD dst_unused:UNUSED_PAD src0_sel:DWORD src1_sel:BYTE_1
	v_add_u16_e32 v4, 0xe000, v4
	v_add_u16_sdwa v5, v5, s18 dst_sel:WORD_1 dst_unused:UNUSED_PAD src0_sel:DWORD src1_sel:DWORD
	v_or_b32_e32 v4, v4, v5
	s_waitcnt vmcnt(2)
	v_ashrrev_i32_e32 v5, v139, v9
	ds_write2_b32 v151, v10, v4 offset1:16
	v_and_b32_e32 v4, 0xf0f0f0f, v8
	v_lshlrev_b32_e32 v6, 4, v5
	v_and_b32_e32 v9, 0x30303030, v5
	v_and_or_b32 v10, v6, s16, v4
	v_mad_u64_u32 v[4:5], s[20:21], v48, s5, v[2:3]
	v_add_co_u32_e32 v6, vcc, v4, v18
	v_addc_co_u32_e32 v7, vcc, 0, v5, vcc
	v_add_co_u32_e32 v4, vcc, v4, v20
	v_addc_co_u32_e32 v5, vcc, 0, v5, vcc
	global_load_dword v12, v[6:7], off
	global_load_dword v15, v[4:5], off offset:128
	v_lshlrev_b16_e32 v4, 8, v10
	v_lshlrev_b16_sdwa v6, v202, v10 dst_sel:DWORD dst_unused:UNUSED_PAD src0_sel:DWORD src1_sel:WORD_1
	v_and_b32_e32 v11, 0x3f00, v10
	v_add_u16_e32 v4, 0xe000, v4
	v_and_b32_sdwa v5, v10, s17 dst_sel:DWORD dst_unused:UNUSED_PAD src0_sel:WORD_1 src1_sel:DWORD
	v_add_u16_e32 v6, 0xe000, v6
	v_or_b32_sdwa v4, v11, v4 dst_sel:DWORD dst_unused:UNUSED_PAD src0_sel:DWORD src1_sel:BYTE_1
	v_or_b32_sdwa v5, v5, v6 dst_sel:DWORD dst_unused:UNUSED_PAD src0_sel:DWORD src1_sel:BYTE_1
	v_lshrrev_b32_e32 v8, 4, v8
	v_add_u16_e32 v4, 0xe000, v4
	v_add_u16_sdwa v5, v5, s18 dst_sel:WORD_1 dst_unused:UNUSED_PAD src0_sel:DWORD src1_sel:DWORD
	v_or_b32_e32 v4, v4, v5
	v_and_or_b32 v5, v8, s15, v9
	v_lshlrev_b16_e32 v7, 8, v5
	v_and_b32_e32 v6, 0x3f00, v5
	v_add_u16_e32 v7, 0xe000, v7
	v_or_b32_sdwa v6, v6, v7 dst_sel:DWORD dst_unused:UNUSED_PAD src0_sel:DWORD src1_sel:BYTE_1
	v_and_b32_sdwa v7, v5, s17 dst_sel:DWORD dst_unused:UNUSED_PAD src0_sel:WORD_1 src1_sel:DWORD
	v_lshlrev_b16_sdwa v5, v202, v5 dst_sel:DWORD dst_unused:UNUSED_PAD src0_sel:DWORD src1_sel:WORD_1
	v_add_u16_e32 v5, 0xe000, v5
	v_or_b32_sdwa v5, v7, v5 dst_sel:DWORD dst_unused:UNUSED_PAD src0_sel:DWORD src1_sel:BYTE_1
	v_add_u16_e32 v6, 0xe000, v6
	v_add_u16_sdwa v5, v5, s18 dst_sel:WORD_1 dst_unused:UNUSED_PAD src0_sel:DWORD src1_sel:DWORD
	v_or_b32_e32 v5, v6, v5
	ds_write2_b32 v152, v4, v5 offset1:16
	v_mad_u64_u32 v[4:5], s[20:21], v50, s5, v[2:3]
	v_add_co_u32_e32 v6, vcc, v4, v18
	v_addc_co_u32_e32 v7, vcc, 0, v5, vcc
	v_add_co_u32_e32 v4, vcc, v4, v20
	v_addc_co_u32_e32 v5, vcc, 0, v5, vcc
	v_mad_u64_u32 v[2:3], s[20:21], v52, s5, v[2:3]
	v_add_co_u32_e32 v8, vcc, v2, v18
	v_addc_co_u32_e32 v9, vcc, 0, v3, vcc
	v_add_co_u32_e32 v2, vcc, v2, v20
	v_addc_co_u32_e32 v3, vcc, 0, v3, vcc
	global_load_dword v68, v[6:7], off
	global_load_dword v69, v[4:5], off offset:128
	global_load_dword v70, v[8:9], off
	global_load_dword v71, v[2:3], off offset:128
	s_mov_b32 s21, 0
	s_waitcnt vmcnt(7)
	v_and_b32_e32 v2, 0xf0f0f0f, v13
	s_waitcnt vmcnt(6)
	v_ashrrev_i32_e32 v4, v139, v14
	v_lshlrev_b32_e32 v5, 4, v4
	v_and_or_b32 v2, v5, s16, v2
	v_lshlrev_b16_e32 v6, 8, v2
	v_and_b32_e32 v5, 0x3f00, v2
	v_add_u16_e32 v6, 0xe000, v6
	v_or_b32_sdwa v5, v5, v6 dst_sel:DWORD dst_unused:UNUSED_PAD src0_sel:DWORD src1_sel:BYTE_1
	v_and_b32_sdwa v6, v2, s17 dst_sel:DWORD dst_unused:UNUSED_PAD src0_sel:WORD_1 src1_sel:DWORD
	v_lshlrev_b16_sdwa v2, v202, v2 dst_sel:DWORD dst_unused:UNUSED_PAD src0_sel:DWORD src1_sel:WORD_1
	v_add_u16_e32 v2, 0xe000, v2
	v_lshrrev_b32_e32 v3, 4, v13
	v_and_b32_e32 v4, 0x30303030, v4
	v_or_b32_sdwa v2, v6, v2 dst_sel:DWORD dst_unused:UNUSED_PAD src0_sel:DWORD src1_sel:BYTE_1
	v_add_u16_e32 v5, 0xe000, v5
	v_add_u16_sdwa v2, v2, s18 dst_sel:WORD_1 dst_unused:UNUSED_PAD src0_sel:DWORD src1_sel:DWORD
	v_and_or_b32 v3, v3, s15, v4
	v_or_b32_e32 v2, v5, v2
	v_lshlrev_b16_e32 v5, 8, v3
	v_and_b32_e32 v4, 0x3f00, v3
	v_add_u16_e32 v5, 0xe000, v5
	v_or_b32_sdwa v4, v4, v5 dst_sel:DWORD dst_unused:UNUSED_PAD src0_sel:DWORD src1_sel:BYTE_1
	v_and_b32_sdwa v5, v3, s17 dst_sel:DWORD dst_unused:UNUSED_PAD src0_sel:WORD_1 src1_sel:DWORD
	v_lshlrev_b16_sdwa v3, v202, v3 dst_sel:DWORD dst_unused:UNUSED_PAD src0_sel:DWORD src1_sel:WORD_1
	v_add_u16_e32 v3, 0xe000, v3
	v_or_b32_sdwa v3, v5, v3 dst_sel:DWORD dst_unused:UNUSED_PAD src0_sel:DWORD src1_sel:BYTE_1
	v_add_u16_e32 v4, 0xe000, v4
	v_add_u16_sdwa v3, v3, s18 dst_sel:WORD_1 dst_unused:UNUSED_PAD src0_sel:DWORD src1_sel:DWORD
	v_or_b32_e32 v3, v4, v3
	ds_write2_b32 v153, v2, v3 offset1:16
	s_waitcnt vmcnt(4)
	v_ashrrev_i32_e32 v4, v139, v15
	v_and_b32_e32 v2, 0xf0f0f0f, v12
	v_lshlrev_b32_e32 v5, 4, v4
	v_and_or_b32 v2, v5, s16, v2
	v_lshlrev_b16_e32 v6, 8, v2
	v_and_b32_e32 v5, 0x3f00, v2
	v_add_u16_e32 v6, 0xe000, v6
	v_or_b32_sdwa v5, v5, v6 dst_sel:DWORD dst_unused:UNUSED_PAD src0_sel:DWORD src1_sel:BYTE_1
	v_and_b32_sdwa v6, v2, s17 dst_sel:DWORD dst_unused:UNUSED_PAD src0_sel:WORD_1 src1_sel:DWORD
	v_lshlrev_b16_sdwa v2, v202, v2 dst_sel:DWORD dst_unused:UNUSED_PAD src0_sel:DWORD src1_sel:WORD_1
	v_lshrrev_b32_e32 v3, 4, v12
	v_and_b32_e32 v4, 0x30303030, v4
	v_add_u16_e32 v2, 0xe000, v2
	v_or_b32_sdwa v2, v6, v2 dst_sel:DWORD dst_unused:UNUSED_PAD src0_sel:DWORD src1_sel:BYTE_1
	v_and_or_b32 v73, v3, s15, v4
	v_add_u16_e32 v5, 0xe000, v5
	v_add_u16_sdwa v2, v2, s18 dst_sel:WORD_1 dst_unused:UNUSED_PAD src0_sel:DWORD src1_sel:DWORD
	v_lshlrev_b16_e32 v3, 8, v73
	v_or_b32_e32 v72, v5, v2
	v_and_b32_e32 v2, 0x3f00, v73
	v_add_u16_e32 v3, 0xe000, v3
	v_or_b32_sdwa v2, v2, v3 dst_sel:DWORD dst_unused:UNUSED_PAD src0_sel:DWORD src1_sel:BYTE_1
	v_add_u16_e32 v74, 0xe000, v2
	v_mov_b32_e32 v3, s1
	v_add_co_u32_e32 v2, vcc, s0, v56
	v_addc_co_u32_e32 v3, vcc, 0, v3, vcc
	v_mad_u64_u32 v[4:5], s[0:1], v58, s5, v[2:3]
	v_mad_u64_u32 v[2:3], s[0:1], v60, s5, v[2:3]
	v_add_u32_e32 v14, s19, v164
	global_load_ushort v75, v[0:1], off offset:208
	global_load_dword v76, v[4:5], off offset:192
	global_load_dword v77, v[2:3], off offset:192
	v_add_u32_e32 v0, v14, v166
	v_add_u32_e32 v2, v14, v168
	;; [unrolled: 1-line block ×5, first 2 shown]
	v_mad_i64_i32 v[0:1], s[0:1], v0, 36, v[62:63]
	v_mad_i64_i32 v[2:3], s[0:1], v2, 36, v[62:63]
	;; [unrolled: 1-line block ×5, first 2 shown]
	v_add_u32_e32 v10, v14, v180
	v_add_u32_e32 v12, v14, v183
	;; [unrolled: 1-line block ×3, first 2 shown]
	v_mad_i64_i32 v[10:11], s[0:1], v10, 36, v[62:63]
	v_mad_i64_i32 v[12:13], s[0:1], v12, 36, v[62:63]
	v_mad_i64_i32 v[14:15], s[0:1], v14, 36, v[62:63]
	v_mad_u64_u32 v[66:67], s[0:1], v203, 36, s[2:3]
	global_load_dword v0, v[0:1], off offset:4
	s_nop 0
	global_load_dword v1, v[2:3], off offset:4
	s_nop 0
	global_load_dword v2, v[4:5], off offset:4
	global_load_dword v3, v[6:7], off offset:4
	s_nop 0
	global_load_dword v4, v[8:9], off offset:4
	global_load_dword v5, v[66:67], off
	global_load_dword v6, v[10:11], off offset:4
	global_load_dword v7, v[12:13], off offset:4
	s_nop 0
	global_load_dword v8, v[14:15], off offset:4
	v_lshlrev_b16_sdwa v10, v202, v73 dst_sel:DWORD dst_unused:UNUSED_PAD src0_sel:DWORD src1_sel:WORD_1
	v_and_b32_sdwa v9, v73, s17 dst_sel:DWORD dst_unused:UNUSED_PAD src0_sel:WORD_1 src1_sel:DWORD
	v_add_u16_e32 v10, 0xe000, v10
	v_or_b32_sdwa v9, v9, v10 dst_sel:DWORD dst_unused:UNUSED_PAD src0_sel:DWORD src1_sel:BYTE_1
	v_add_u16_sdwa v9, v9, s18 dst_sel:WORD_1 dst_unused:UNUSED_PAD src0_sel:DWORD src1_sel:DWORD
	v_or_b32_e32 v9, v74, v9
	s_waitcnt vmcnt(14)
	v_ashrrev_i32_e32 v11, v139, v69
	ds_write2_b32 v155, v72, v9 offset1:16
	v_and_b32_e32 v9, 0xf0f0f0f, v68
	v_lshlrev_b32_e32 v12, 4, v11
	v_and_or_b32 v9, v12, s16, v9
	v_lshlrev_b16_e32 v13, 8, v9
	v_and_b32_e32 v12, 0x3f00, v9
	v_add_u16_e32 v13, 0xe000, v13
	v_or_b32_sdwa v12, v12, v13 dst_sel:DWORD dst_unused:UNUSED_PAD src0_sel:DWORD src1_sel:BYTE_1
	v_and_b32_sdwa v13, v9, s17 dst_sel:DWORD dst_unused:UNUSED_PAD src0_sel:WORD_1 src1_sel:DWORD
	v_lshlrev_b16_sdwa v9, v202, v9 dst_sel:DWORD dst_unused:UNUSED_PAD src0_sel:DWORD src1_sel:WORD_1
	v_add_u16_e32 v9, 0xe000, v9
	v_lshrrev_b32_e32 v10, 4, v68
	v_and_b32_e32 v11, 0x30303030, v11
	v_or_b32_sdwa v9, v13, v9 dst_sel:DWORD dst_unused:UNUSED_PAD src0_sel:DWORD src1_sel:BYTE_1
	v_add_u16_e32 v12, 0xe000, v12
	v_add_u16_sdwa v9, v9, s18 dst_sel:WORD_1 dst_unused:UNUSED_PAD src0_sel:DWORD src1_sel:DWORD
	v_and_or_b32 v10, v10, s15, v11
	v_or_b32_e32 v9, v12, v9
	v_lshlrev_b16_e32 v12, 8, v10
	v_and_b32_e32 v11, 0x3f00, v10
	v_add_u16_e32 v12, 0xe000, v12
	v_or_b32_sdwa v11, v11, v12 dst_sel:DWORD dst_unused:UNUSED_PAD src0_sel:DWORD src1_sel:BYTE_1
	v_and_b32_sdwa v12, v10, s17 dst_sel:DWORD dst_unused:UNUSED_PAD src0_sel:WORD_1 src1_sel:DWORD
	v_lshlrev_b16_sdwa v10, v202, v10 dst_sel:DWORD dst_unused:UNUSED_PAD src0_sel:DWORD src1_sel:WORD_1
	v_add_u16_e32 v10, 0xe000, v10
	v_or_b32_sdwa v10, v12, v10 dst_sel:DWORD dst_unused:UNUSED_PAD src0_sel:DWORD src1_sel:BYTE_1
	v_add_u16_e32 v11, 0xe000, v11
	v_add_u16_sdwa v10, v10, s18 dst_sel:WORD_1 dst_unused:UNUSED_PAD src0_sel:DWORD src1_sel:DWORD
	v_or_b32_e32 v10, v11, v10
	s_waitcnt vmcnt(12)
	v_ashrrev_i32_e32 v11, v139, v71
	ds_write2_b32 v156, v9, v10 offset1:16
	v_and_b32_e32 v9, 0xf0f0f0f, v70
	v_lshlrev_b32_e32 v12, 4, v11
	v_and_or_b32 v9, v12, s16, v9
	v_lshlrev_b16_e32 v13, 8, v9
	v_and_b32_e32 v12, 0x3f00, v9
	v_add_u16_e32 v13, 0xe000, v13
	v_or_b32_sdwa v12, v12, v13 dst_sel:DWORD dst_unused:UNUSED_PAD src0_sel:DWORD src1_sel:BYTE_1
	v_and_b32_sdwa v13, v9, s17 dst_sel:DWORD dst_unused:UNUSED_PAD src0_sel:WORD_1 src1_sel:DWORD
	v_lshlrev_b16_sdwa v9, v202, v9 dst_sel:DWORD dst_unused:UNUSED_PAD src0_sel:DWORD src1_sel:WORD_1
	v_add_u16_e32 v9, 0xe000, v9
	v_lshrrev_b32_e32 v10, 4, v70
	v_and_b32_e32 v11, 0x30303030, v11
	v_or_b32_sdwa v9, v13, v9 dst_sel:DWORD dst_unused:UNUSED_PAD src0_sel:DWORD src1_sel:BYTE_1
	v_add_u16_e32 v12, 0xe000, v12
	v_add_u16_sdwa v9, v9, s18 dst_sel:WORD_1 dst_unused:UNUSED_PAD src0_sel:DWORD src1_sel:DWORD
	v_and_or_b32 v10, v10, s15, v11
	v_or_b32_e32 v9, v12, v9
	v_lshlrev_b16_e32 v12, 8, v10
	v_and_b32_e32 v11, 0x3f00, v10
	v_add_u16_e32 v12, 0xe000, v12
	v_or_b32_sdwa v11, v11, v12 dst_sel:DWORD dst_unused:UNUSED_PAD src0_sel:DWORD src1_sel:BYTE_1
	v_and_b32_sdwa v12, v10, s17 dst_sel:DWORD dst_unused:UNUSED_PAD src0_sel:WORD_1 src1_sel:DWORD
	v_lshlrev_b16_sdwa v10, v202, v10 dst_sel:DWORD dst_unused:UNUSED_PAD src0_sel:DWORD src1_sel:WORD_1
	v_add_u16_e32 v10, 0xe000, v10
	v_or_b32_sdwa v10, v12, v10 dst_sel:DWORD dst_unused:UNUSED_PAD src0_sel:DWORD src1_sel:BYTE_1
	s_waitcnt vmcnt(11)
	v_cvt_f32_f16_e32 v12, v75
	v_add_u16_e32 v11, 0xe000, v11
	v_add_u16_sdwa v10, v10, s18 dst_sel:WORD_1 dst_unused:UNUSED_PAD src0_sel:DWORD src1_sel:DWORD
	v_or_b32_e32 v10, v11, v10
	ds_write2_b32 v157, v9, v10 offset1:16
	ds_write_b32 v159, v12
	s_waitcnt vmcnt(10)
	ds_write_b32 v161, v76
	s_waitcnt vmcnt(9)
	;; [unrolled: 2-line block ×8, first 2 shown]
	v_cvt_f32_f16_e32 v0, v5
	s_waitcnt vmcnt(2)
	ds_write_b32 v182, v6
	s_waitcnt vmcnt(1)
	ds_write_b32 v185, v7
	s_waitcnt vmcnt(0)
	ds_write_b32 v188, v8
	ds_write_b32 v163, v0
	s_waitcnt lgkmcnt(0)
	s_barrier
	ds_read_b32 v204, v189
	ds_read_b32 v205, v191 offset:128
	ds_read_b32 v206, v192 offset:256
	;; [unrolled: 1-line block ×3, first 2 shown]
	s_mov_b64 s[0:1], -1
.LBB175_6:                              ;   Parent Loop BB175_5 Depth=1
                                        ; =>  This Inner Loop Header: Depth=2
	s_lshl_b32 s20, s21, 1
	v_or_b32_e32 v0, s20, v158
	v_lshlrev_b32_e32 v12, 2, v0
	s_lshr_b32 s22, s21, 1
	s_lshl_b32 s21, s21, 3
	v_lshrrev_b32_e32 v66, 1, v0
	ds_read_b128 v[0:3], v12 offset:33280
	ds_read_b128 v[4:7], v12 offset:33296
	;; [unrolled: 1-line block ×4, first 2 shown]
	ds_read_b64 v[130:131], v66 offset:43584
	v_add_u32_e32 v74, s22, v194
	v_add_u32_e32 v75, s21, v195
	ds_read2_b32 v[70:71], v75 offset0:6 offset1:7
	ds_read2_b32 v[72:73], v75 offset0:4 offset1:5
	;; [unrolled: 1-line block ×3, first 2 shown]
	ds_read2_b32 v[68:69], v75 offset1:1
	ds_read_b32 v76, v74
	ds_read2_b32 v[126:127], v75 offset0:14 offset1:15
	ds_read2_b32 v[128:129], v75 offset0:12 offset1:13
	v_mov_b32_e32 v74, 0
	ds_read2_b32 v[82:83], v75 offset0:10 offset1:11
	ds_read2_b32 v[84:85], v75 offset0:8 offset1:9
	s_waitcnt lgkmcnt(7)
	v_dot4c_i32_i8_e32 v74, v72, v4
	v_mov_b32_e32 v75, 0
	v_dot4c_i32_i8_e32 v74, v73, v5
	s_waitcnt lgkmcnt(5)
	v_dot4c_i32_i8_e32 v75, v68, v0
	v_dot4c_i32_i8_e32 v74, v70, v6
	;; [unrolled: 1-line block ×4, first 2 shown]
	s_waitcnt lgkmcnt(4)
	v_bfe_i32 v208, v76, 8, 8
	v_dot4c_i32_i8_e32 v75, v66, v2
	v_dot4c_i32_i8_e32 v75, v67, v3
	v_mul_lo_u32 v74, v74, v208
	v_bfe_i32 v209, v76, 0, 8
	v_mov_b32_e32 v77, 0
	v_mad_u64_u32 v[74:75], s[24:25], v75, v209, v[74:75]
	s_waitcnt lgkmcnt(2)
	v_dot4c_i32_i8_e32 v77, v128, v12
	v_mov_b32_e32 v78, 0
	v_cvt_f32_i32_e32 v74, v74
	v_dot4c_i32_i8_e32 v77, v129, v13
	s_waitcnt lgkmcnt(0)
	v_dot4c_i32_i8_e32 v78, v84, v8
	v_dot4c_i32_i8_e32 v77, v126, v14
	;; [unrolled: 1-line block ×5, first 2 shown]
	v_ashrrev_i32_e32 v211, 24, v76
	v_dot4c_i32_i8_e32 v78, v83, v11
	v_fma_f32 v79, v130, v74, 0
	v_bfe_i32 v210, v76, 16, 8
	v_mul_lo_u32 v74, v77, v211
	v_mad_u64_u32 v[74:75], s[24:25], v78, v210, v[74:75]
	v_cvt_f32_i32_e32 v74, v74
	v_add_u32_e32 v86, s22, v196
	v_add_u32_e32 v90, s21, v197
	v_mov_b32_e32 v91, 0
	v_fmac_f32_e32 v79, v131, v74
	v_fmac_f32_e32 v165, v204, v79
	ds_read2_b32 v[78:79], v90 offset0:6 offset1:7
	ds_read2_b32 v[80:81], v90 offset0:4 offset1:5
	;; [unrolled: 1-line block ×3, first 2 shown]
	ds_read2_b32 v[76:77], v90 offset1:1
	ds_read_b32 v92, v86
	ds_read2_b32 v[86:87], v90 offset0:14 offset1:15
	ds_read2_b32 v[88:89], v90 offset0:12 offset1:13
	;; [unrolled: 1-line block ×4, first 2 shown]
	v_mov_b32_e32 v90, 0
	s_waitcnt lgkmcnt(7)
	v_dot4c_i32_i8_e32 v90, v80, v4
	v_dot4c_i32_i8_e32 v90, v81, v5
	s_waitcnt lgkmcnt(5)
	v_dot4c_i32_i8_e32 v91, v76, v0
	v_dot4c_i32_i8_e32 v90, v78, v6
	;; [unrolled: 1-line block ×4, first 2 shown]
	s_waitcnt lgkmcnt(4)
	v_bfe_i32 v212, v92, 8, 8
	v_dot4c_i32_i8_e32 v91, v74, v2
	v_dot4c_i32_i8_e32 v91, v75, v3
	v_mul_lo_u32 v90, v90, v212
	v_bfe_i32 v213, v92, 0, 8
	v_mov_b32_e32 v93, 0
	v_mad_u64_u32 v[90:91], s[24:25], v91, v213, v[90:91]
	s_waitcnt lgkmcnt(2)
	v_dot4c_i32_i8_e32 v93, v88, v12
	v_mov_b32_e32 v94, 0
	v_cvt_f32_i32_e32 v90, v90
	v_dot4c_i32_i8_e32 v93, v89, v13
	s_waitcnt lgkmcnt(0)
	v_dot4c_i32_i8_e32 v94, v104, v8
	v_dot4c_i32_i8_e32 v93, v86, v14
	;; [unrolled: 1-line block ×5, first 2 shown]
	v_ashrrev_i32_e32 v215, 24, v92
	v_dot4c_i32_i8_e32 v94, v101, v11
	v_fma_f32 v95, v130, v90, 0
	v_bfe_i32 v214, v92, 16, 8
	v_mul_lo_u32 v90, v93, v215
	v_mad_u64_u32 v[90:91], s[24:25], v94, v214, v[90:91]
	v_cvt_f32_i32_e32 v90, v90
	v_add_u32_e32 v98, s22, v198
	v_add_u32_e32 v99, s21, v199
	v_mov_b32_e32 v103, 0
	v_fmac_f32_e32 v95, v131, v90
	v_fmac_f32_e32 v160, v205, v95
	ds_read2_b32 v[94:95], v99 offset0:6 offset1:7
	ds_read2_b32 v[96:97], v99 offset0:4 offset1:5
	;; [unrolled: 1-line block ×3, first 2 shown]
	ds_read2_b32 v[92:93], v99 offset1:1
	ds_read_b32 v102, v98
	ds_read2_b32 v[106:107], v99 offset0:14 offset1:15
	ds_read2_b32 v[108:109], v99 offset0:12 offset1:13
	v_mov_b32_e32 v98, 0
	ds_read2_b32 v[116:117], v99 offset0:10 offset1:11
	ds_read2_b32 v[120:121], v99 offset0:8 offset1:9
	s_waitcnt lgkmcnt(7)
	v_dot4c_i32_i8_e32 v98, v96, v4
	v_mov_b32_e32 v99, 0
	v_dot4c_i32_i8_e32 v98, v97, v5
	s_waitcnt lgkmcnt(5)
	v_dot4c_i32_i8_e32 v99, v92, v0
	v_dot4c_i32_i8_e32 v98, v94, v6
	;; [unrolled: 1-line block ×4, first 2 shown]
	s_waitcnt lgkmcnt(4)
	v_bfe_i32 v216, v102, 8, 8
	v_dot4c_i32_i8_e32 v99, v90, v2
	v_dot4c_i32_i8_e32 v99, v91, v3
	v_mul_lo_u32 v98, v98, v216
	v_bfe_i32 v217, v102, 0, 8
	s_waitcnt lgkmcnt(2)
	v_dot4c_i32_i8_e32 v103, v108, v12
	v_mad_u64_u32 v[98:99], s[24:25], v99, v217, v[98:99]
	v_mov_b32_e32 v110, 0
	v_cvt_f32_i32_e32 v98, v98
	v_dot4c_i32_i8_e32 v103, v109, v13
	s_waitcnt lgkmcnt(0)
	v_dot4c_i32_i8_e32 v110, v120, v8
	v_dot4c_i32_i8_e32 v103, v106, v14
	;; [unrolled: 1-line block ×5, first 2 shown]
	v_ashrrev_i32_e32 v219, 24, v102
	v_dot4c_i32_i8_e32 v110, v117, v11
	v_fma_f32 v111, v130, v98, 0
	v_bfe_i32 v218, v102, 16, 8
	v_mul_lo_u32 v98, v103, v219
	v_mad_u64_u32 v[98:99], s[24:25], v110, v218, v[98:99]
	v_cvt_f32_i32_e32 v98, v98
	v_add_u32_e32 v114, s22, v200
	v_add_u32_e32 v124, s21, v201
	v_mov_b32_e32 v224, 0
	v_fmac_f32_e32 v111, v131, v98
	v_fmac_f32_e32 v154, v206, v111
	ds_read2_b32 v[110:111], v124 offset0:6 offset1:7
	ds_read2_b32 v[112:113], v124 offset0:4 offset1:5
	;; [unrolled: 1-line block ×3, first 2 shown]
	ds_read2_b32 v[102:103], v124 offset1:1
	ds_read_b32 v223, v114
	ds_read2_b32 v[114:115], v124 offset0:14 offset1:15
	ds_read2_b32 v[118:119], v124 offset0:12 offset1:13
	;; [unrolled: 1-line block ×4, first 2 shown]
	v_mov_b32_e32 v225, 0
	s_waitcnt lgkmcnt(4)
	v_bfe_i32 v220, v223, 8, 8
	v_bfe_i32 v221, v223, 0, 8
	s_waitcnt lgkmcnt(2)
	v_dot4c_i32_i8_e32 v224, v118, v12
	v_mov_b32_e32 v12, 0
	s_waitcnt lgkmcnt(0)
	v_dot4c_i32_i8_e32 v12, v124, v8
	v_mov_b32_e32 v8, 0
	v_dot4c_i32_i8_e32 v8, v112, v4
	v_dot4c_i32_i8_e32 v8, v113, v5
	v_mov_b32_e32 v5, 0
	v_dot4c_i32_i8_e32 v5, v102, v0
	v_dot4c_i32_i8_e32 v8, v110, v6
	;; [unrolled: 1-line block ×7, first 2 shown]
	v_mul_lo_u32 v4, v8, v220
	v_dot4c_i32_i8_e32 v224, v114, v14
	v_mad_u64_u32 v[0:1], s[22:23], v5, v221, v[4:5]
	v_cvt_f32_i32_e32 v0, v0
	v_dot4c_i32_i8_e32 v12, v125, v9
	v_dot4c_i32_i8_e32 v224, v115, v15
	;; [unrolled: 1-line block ×3, first 2 shown]
	v_bfe_i32 v222, v223, 16, 8
	v_ashrrev_i32_e32 v223, 24, v223
	v_dot4c_i32_i8_e32 v12, v123, v11
	v_fma_f32 v2, v130, v0, 0
	v_mul_lo_u32 v0, v224, v223
	v_mov_b32_e32 v224, 0
	v_mad_u64_u32 v[0:1], s[22:23], v12, v222, v[0:1]
	v_cvt_f32_i32_e32 v0, v0
	v_mov_b32_e32 v226, 0
	v_mov_b32_e32 v227, 0
	s_and_b64 vcc, exec, s[0:1]
	v_fmac_f32_e32 v2, v131, v0
	v_or_b32_e32 v0, s20, v169
	v_lshlrev_b32_e32 v12, 2, v0
	v_lshrrev_b32_e32 v130, 1, v0
	v_fmac_f32_e32 v143, v207, v2
	ds_read_b128 v[0:3], v12 offset:33280
	ds_read_b128 v[4:7], v12 offset:33296
	;; [unrolled: 1-line block ×4, first 2 shown]
	ds_read_b64 v[130:131], v130 offset:43584
	s_waitcnt lgkmcnt(4)
	v_dot4c_i32_i8_e32 v225, v68, v0
	s_waitcnt lgkmcnt(3)
	v_dot4c_i32_i8_e32 v224, v72, v4
	v_dot4c_i32_i8_e32 v224, v73, v5
	;; [unrolled: 1-line block ×7, first 2 shown]
	s_waitcnt lgkmcnt(1)
	v_dot4c_i32_i8_e32 v226, v128, v12
	v_mul_lo_u32 v224, v224, v208
	v_dot4c_i32_i8_e32 v226, v129, v13
	v_mad_u64_u32 v[224:225], s[22:23], v225, v209, v[224:225]
	v_cvt_f32_i32_e32 v224, v224
	v_dot4c_i32_i8_e32 v227, v84, v8
	v_dot4c_i32_i8_e32 v226, v126, v14
	;; [unrolled: 1-line block ×6, first 2 shown]
	s_waitcnt lgkmcnt(0)
	v_fma_f32 v228, v130, v224, 0
	v_mul_lo_u32 v224, v226, v211
	v_mov_b32_e32 v226, 0
	v_mad_u64_u32 v[224:225], s[22:23], v227, v210, v[224:225]
	v_cvt_f32_i32_e32 v224, v224
	v_mov_b32_e32 v225, 0
	v_dot4c_i32_i8_e32 v225, v76, v0
	v_dot4c_i32_i8_e32 v225, v77, v1
	v_fmac_f32_e32 v228, v131, v224
	v_mov_b32_e32 v224, 0
	v_dot4c_i32_i8_e32 v224, v80, v4
	v_dot4c_i32_i8_e32 v224, v81, v5
	v_dot4c_i32_i8_e32 v224, v78, v6
	v_dot4c_i32_i8_e32 v224, v79, v7
	v_dot4c_i32_i8_e32 v225, v74, v2
	v_dot4c_i32_i8_e32 v225, v75, v3
	v_dot4c_i32_i8_e32 v226, v88, v12
	v_mul_lo_u32 v224, v224, v212
	v_mov_b32_e32 v227, 0
	v_mad_u64_u32 v[224:225], s[22:23], v225, v213, v[224:225]
	v_cvt_f32_i32_e32 v224, v224
	v_dot4c_i32_i8_e32 v226, v89, v13
	v_dot4c_i32_i8_e32 v227, v104, v8
	;; [unrolled: 1-line block ×6, first 2 shown]
	v_fmac_f32_e32 v138, v204, v228
	v_dot4c_i32_i8_e32 v227, v101, v11
	v_fma_f32 v228, v130, v224, 0
	v_mul_lo_u32 v224, v226, v215
	v_mov_b32_e32 v226, 0
	v_mad_u64_u32 v[224:225], s[22:23], v227, v214, v[224:225]
	v_cvt_f32_i32_e32 v224, v224
	v_mov_b32_e32 v225, 0
	v_dot4c_i32_i8_e32 v225, v92, v0
	v_dot4c_i32_i8_e32 v225, v93, v1
	v_fmac_f32_e32 v228, v131, v224
	v_mov_b32_e32 v224, 0
	v_dot4c_i32_i8_e32 v224, v96, v4
	v_dot4c_i32_i8_e32 v224, v97, v5
	;; [unrolled: 1-line block ×7, first 2 shown]
	v_mul_lo_u32 v224, v224, v216
	v_mov_b32_e32 v227, 0
	v_mad_u64_u32 v[224:225], s[22:23], v225, v217, v[224:225]
	v_cvt_f32_i32_e32 v224, v224
	v_dot4c_i32_i8_e32 v226, v109, v13
	v_dot4c_i32_i8_e32 v227, v120, v8
	;; [unrolled: 1-line block ×6, first 2 shown]
	v_fmac_f32_e32 v137, v205, v228
	v_dot4c_i32_i8_e32 v227, v117, v11
	v_fma_f32 v228, v130, v224, 0
	v_mul_lo_u32 v224, v226, v219
	v_mov_b32_e32 v226, 0
	v_mad_u64_u32 v[224:225], s[22:23], v227, v218, v[224:225]
	v_cvt_f32_i32_e32 v224, v224
	v_mov_b32_e32 v225, 0
	v_mov_b32_e32 v227, 0
	s_mov_b64 s[0:1], 0
	v_fmac_f32_e32 v228, v131, v224
	v_mov_b32_e32 v224, 0
	v_dot4c_i32_i8_e32 v224, v118, v12
	v_mov_b32_e32 v12, 0
	v_dot4c_i32_i8_e32 v12, v124, v8
	;; [unrolled: 2-line block ×3, first 2 shown]
	v_dot4c_i32_i8_e32 v8, v113, v5
	v_mov_b32_e32 v5, 0
	v_dot4c_i32_i8_e32 v5, v102, v0
	v_dot4c_i32_i8_e32 v8, v110, v6
	;; [unrolled: 1-line block ×7, first 2 shown]
	v_mul_lo_u32 v4, v8, v220
	v_dot4c_i32_i8_e32 v224, v114, v14
	v_mad_u64_u32 v[0:1], s[22:23], v5, v221, v[4:5]
	v_cvt_f32_i32_e32 v0, v0
	v_dot4c_i32_i8_e32 v12, v125, v9
	v_dot4c_i32_i8_e32 v224, v115, v15
	;; [unrolled: 1-line block ×4, first 2 shown]
	v_fma_f32 v2, v130, v0, 0
	v_mul_lo_u32 v0, v224, v223
	v_mov_b32_e32 v224, 0
	v_mad_u64_u32 v[0:1], s[22:23], v12, v222, v[0:1]
	v_cvt_f32_i32_e32 v0, v0
	v_fmac_f32_e32 v135, v206, v228
	v_fmac_f32_e32 v2, v131, v0
	v_or_b32_e32 v0, s20, v172
	v_lshlrev_b32_e32 v12, 2, v0
	v_lshrrev_b32_e32 v130, 1, v0
	v_fmac_f32_e32 v134, v207, v2
	ds_read_b128 v[0:3], v12 offset:33280
	ds_read_b128 v[4:7], v12 offset:33296
	ds_read_b128 v[8:11], v12 offset:33312
	ds_read_b128 v[12:15], v12 offset:33328
	ds_read_b64 v[130:131], v130 offset:43584
	s_waitcnt lgkmcnt(4)
	v_dot4c_i32_i8_e32 v225, v68, v0
	s_waitcnt lgkmcnt(3)
	v_dot4c_i32_i8_e32 v224, v72, v4
	v_dot4c_i32_i8_e32 v224, v73, v5
	;; [unrolled: 1-line block ×7, first 2 shown]
	s_waitcnt lgkmcnt(1)
	v_dot4c_i32_i8_e32 v226, v128, v12
	v_mul_lo_u32 v224, v224, v208
	v_dot4c_i32_i8_e32 v226, v129, v13
	v_mad_u64_u32 v[224:225], s[22:23], v225, v209, v[224:225]
	v_cvt_f32_i32_e32 v224, v224
	v_dot4c_i32_i8_e32 v227, v84, v8
	v_dot4c_i32_i8_e32 v226, v126, v14
	;; [unrolled: 1-line block ×6, first 2 shown]
	s_waitcnt lgkmcnt(0)
	v_fma_f32 v228, v130, v224, 0
	v_mul_lo_u32 v224, v226, v211
	v_mov_b32_e32 v226, 0
	v_mad_u64_u32 v[224:225], s[22:23], v227, v210, v[224:225]
	v_cvt_f32_i32_e32 v224, v224
	v_mov_b32_e32 v225, 0
	v_dot4c_i32_i8_e32 v225, v76, v0
	v_dot4c_i32_i8_e32 v225, v77, v1
	v_fmac_f32_e32 v228, v131, v224
	v_mov_b32_e32 v224, 0
	v_dot4c_i32_i8_e32 v224, v80, v4
	v_dot4c_i32_i8_e32 v224, v81, v5
	;; [unrolled: 1-line block ×7, first 2 shown]
	v_mul_lo_u32 v224, v224, v212
	v_mov_b32_e32 v227, 0
	v_mad_u64_u32 v[224:225], s[22:23], v225, v213, v[224:225]
	v_cvt_f32_i32_e32 v224, v224
	v_dot4c_i32_i8_e32 v226, v89, v13
	v_dot4c_i32_i8_e32 v227, v104, v8
	;; [unrolled: 1-line block ×6, first 2 shown]
	v_fmac_f32_e32 v65, v204, v228
	v_dot4c_i32_i8_e32 v227, v101, v11
	v_fma_f32 v228, v130, v224, 0
	v_mul_lo_u32 v224, v226, v215
	v_mov_b32_e32 v226, 0
	v_mad_u64_u32 v[224:225], s[22:23], v227, v214, v[224:225]
	v_cvt_f32_i32_e32 v224, v224
	v_mov_b32_e32 v225, 0
	v_dot4c_i32_i8_e32 v225, v92, v0
	v_dot4c_i32_i8_e32 v225, v93, v1
	v_fmac_f32_e32 v228, v131, v224
	v_mov_b32_e32 v224, 0
	v_dot4c_i32_i8_e32 v224, v96, v4
	v_dot4c_i32_i8_e32 v224, v97, v5
	;; [unrolled: 1-line block ×7, first 2 shown]
	v_mul_lo_u32 v224, v224, v216
	v_mov_b32_e32 v227, 0
	v_mad_u64_u32 v[224:225], s[22:23], v225, v217, v[224:225]
	v_cvt_f32_i32_e32 v224, v224
	v_dot4c_i32_i8_e32 v226, v109, v13
	v_dot4c_i32_i8_e32 v227, v120, v8
	;; [unrolled: 1-line block ×6, first 2 shown]
	v_fmac_f32_e32 v61, v205, v228
	v_dot4c_i32_i8_e32 v227, v117, v11
	v_fma_f32 v228, v130, v224, 0
	v_mul_lo_u32 v224, v226, v219
	v_mov_b32_e32 v226, 0
	v_mad_u64_u32 v[224:225], s[22:23], v227, v218, v[224:225]
	v_cvt_f32_i32_e32 v224, v224
	v_mov_b32_e32 v225, 0
	v_mov_b32_e32 v227, 0
	v_fmac_f32_e32 v228, v131, v224
	v_mov_b32_e32 v224, 0
	v_dot4c_i32_i8_e32 v224, v118, v12
	v_mov_b32_e32 v12, 0
	v_dot4c_i32_i8_e32 v12, v124, v8
	;; [unrolled: 2-line block ×3, first 2 shown]
	v_dot4c_i32_i8_e32 v8, v113, v5
	v_mov_b32_e32 v5, 0
	v_dot4c_i32_i8_e32 v5, v102, v0
	v_dot4c_i32_i8_e32 v8, v110, v6
	;; [unrolled: 1-line block ×7, first 2 shown]
	v_mul_lo_u32 v4, v8, v220
	v_dot4c_i32_i8_e32 v224, v114, v14
	v_mad_u64_u32 v[0:1], s[22:23], v5, v221, v[4:5]
	v_cvt_f32_i32_e32 v0, v0
	v_dot4c_i32_i8_e32 v12, v125, v9
	v_dot4c_i32_i8_e32 v224, v115, v15
	v_dot4c_i32_i8_e32 v12, v122, v10
	v_dot4c_i32_i8_e32 v12, v123, v11
	v_fma_f32 v2, v130, v0, 0
	v_mul_lo_u32 v0, v224, v223
	v_mov_b32_e32 v224, 0
	v_mad_u64_u32 v[0:1], s[22:23], v12, v222, v[0:1]
	v_cvt_f32_i32_e32 v0, v0
	v_fmac_f32_e32 v59, v206, v228
	v_fmac_f32_e32 v2, v131, v0
	v_or_b32_e32 v0, s20, v175
	v_lshlrev_b32_e32 v12, 2, v0
	v_lshrrev_b32_e32 v130, 1, v0
	v_fmac_f32_e32 v57, v207, v2
	ds_read_b128 v[0:3], v12 offset:33280
	ds_read_b128 v[4:7], v12 offset:33296
	;; [unrolled: 1-line block ×4, first 2 shown]
	ds_read_b64 v[130:131], v130 offset:43584
	s_waitcnt lgkmcnt(4)
	v_dot4c_i32_i8_e32 v225, v68, v0
	s_waitcnt lgkmcnt(3)
	v_dot4c_i32_i8_e32 v224, v72, v4
	v_dot4c_i32_i8_e32 v224, v73, v5
	;; [unrolled: 1-line block ×7, first 2 shown]
	s_waitcnt lgkmcnt(1)
	v_dot4c_i32_i8_e32 v226, v128, v12
	v_mul_lo_u32 v224, v224, v208
	v_dot4c_i32_i8_e32 v226, v129, v13
	v_mad_u64_u32 v[224:225], s[22:23], v225, v209, v[224:225]
	v_cvt_f32_i32_e32 v224, v224
	v_dot4c_i32_i8_e32 v227, v84, v8
	v_dot4c_i32_i8_e32 v226, v126, v14
	;; [unrolled: 1-line block ×6, first 2 shown]
	s_waitcnt lgkmcnt(0)
	v_fma_f32 v228, v130, v224, 0
	v_mul_lo_u32 v224, v226, v211
	v_mov_b32_e32 v226, 0
	v_mad_u64_u32 v[224:225], s[22:23], v227, v210, v[224:225]
	v_cvt_f32_i32_e32 v224, v224
	v_mov_b32_e32 v225, 0
	v_dot4c_i32_i8_e32 v225, v76, v0
	v_dot4c_i32_i8_e32 v225, v77, v1
	v_fmac_f32_e32 v228, v131, v224
	v_mov_b32_e32 v224, 0
	v_dot4c_i32_i8_e32 v224, v80, v4
	v_dot4c_i32_i8_e32 v224, v81, v5
	;; [unrolled: 1-line block ×7, first 2 shown]
	v_mul_lo_u32 v224, v224, v212
	v_mov_b32_e32 v227, 0
	v_mad_u64_u32 v[224:225], s[22:23], v225, v213, v[224:225]
	v_cvt_f32_i32_e32 v224, v224
	v_dot4c_i32_i8_e32 v226, v89, v13
	v_dot4c_i32_i8_e32 v227, v104, v8
	;; [unrolled: 1-line block ×6, first 2 shown]
	v_fmac_f32_e32 v55, v204, v228
	v_dot4c_i32_i8_e32 v227, v101, v11
	v_fma_f32 v228, v130, v224, 0
	v_mul_lo_u32 v224, v226, v215
	v_mov_b32_e32 v226, 0
	v_mad_u64_u32 v[224:225], s[22:23], v227, v214, v[224:225]
	v_cvt_f32_i32_e32 v224, v224
	v_mov_b32_e32 v225, 0
	v_dot4c_i32_i8_e32 v225, v92, v0
	v_dot4c_i32_i8_e32 v225, v93, v1
	v_fmac_f32_e32 v228, v131, v224
	v_mov_b32_e32 v224, 0
	v_dot4c_i32_i8_e32 v224, v96, v4
	v_dot4c_i32_i8_e32 v224, v97, v5
	;; [unrolled: 1-line block ×7, first 2 shown]
	v_mul_lo_u32 v224, v224, v216
	v_mov_b32_e32 v227, 0
	v_mad_u64_u32 v[224:225], s[22:23], v225, v217, v[224:225]
	v_cvt_f32_i32_e32 v224, v224
	v_dot4c_i32_i8_e32 v226, v109, v13
	v_dot4c_i32_i8_e32 v227, v120, v8
	;; [unrolled: 1-line block ×6, first 2 shown]
	v_fmac_f32_e32 v53, v205, v228
	v_dot4c_i32_i8_e32 v227, v117, v11
	v_fma_f32 v228, v130, v224, 0
	v_mul_lo_u32 v224, v226, v219
	v_mov_b32_e32 v226, 0
	v_mad_u64_u32 v[224:225], s[22:23], v227, v218, v[224:225]
	v_cvt_f32_i32_e32 v224, v224
	v_mov_b32_e32 v225, 0
	v_mov_b32_e32 v227, 0
	v_fmac_f32_e32 v228, v131, v224
	v_mov_b32_e32 v224, 0
	v_dot4c_i32_i8_e32 v224, v118, v12
	v_mov_b32_e32 v12, 0
	v_dot4c_i32_i8_e32 v12, v124, v8
	;; [unrolled: 2-line block ×3, first 2 shown]
	v_dot4c_i32_i8_e32 v8, v113, v5
	v_mov_b32_e32 v5, 0
	v_dot4c_i32_i8_e32 v5, v102, v0
	v_dot4c_i32_i8_e32 v8, v110, v6
	;; [unrolled: 1-line block ×7, first 2 shown]
	v_mul_lo_u32 v4, v8, v220
	v_dot4c_i32_i8_e32 v224, v114, v14
	v_mad_u64_u32 v[0:1], s[22:23], v5, v221, v[4:5]
	v_cvt_f32_i32_e32 v0, v0
	v_dot4c_i32_i8_e32 v12, v125, v9
	v_dot4c_i32_i8_e32 v224, v115, v15
	;; [unrolled: 1-line block ×4, first 2 shown]
	v_fma_f32 v2, v130, v0, 0
	v_mul_lo_u32 v0, v224, v223
	v_mov_b32_e32 v224, 0
	v_mad_u64_u32 v[0:1], s[22:23], v12, v222, v[0:1]
	v_cvt_f32_i32_e32 v0, v0
	v_fmac_f32_e32 v51, v206, v228
	v_fmac_f32_e32 v2, v131, v0
	v_or_b32_e32 v0, s20, v178
	v_lshlrev_b32_e32 v12, 2, v0
	v_lshrrev_b32_e32 v130, 1, v0
	v_fmac_f32_e32 v49, v207, v2
	ds_read_b128 v[0:3], v12 offset:33280
	ds_read_b128 v[4:7], v12 offset:33296
	;; [unrolled: 1-line block ×4, first 2 shown]
	ds_read_b64 v[130:131], v130 offset:43584
	s_waitcnt lgkmcnt(4)
	v_dot4c_i32_i8_e32 v225, v68, v0
	s_waitcnt lgkmcnt(3)
	v_dot4c_i32_i8_e32 v224, v72, v4
	v_dot4c_i32_i8_e32 v224, v73, v5
	;; [unrolled: 1-line block ×7, first 2 shown]
	s_waitcnt lgkmcnt(1)
	v_dot4c_i32_i8_e32 v226, v128, v12
	v_mul_lo_u32 v224, v224, v208
	v_dot4c_i32_i8_e32 v226, v129, v13
	v_mad_u64_u32 v[224:225], s[22:23], v225, v209, v[224:225]
	v_cvt_f32_i32_e32 v224, v224
	v_dot4c_i32_i8_e32 v227, v84, v8
	v_dot4c_i32_i8_e32 v226, v126, v14
	;; [unrolled: 1-line block ×6, first 2 shown]
	s_waitcnt lgkmcnt(0)
	v_fma_f32 v228, v130, v224, 0
	v_mul_lo_u32 v224, v226, v211
	v_mov_b32_e32 v226, 0
	v_mad_u64_u32 v[224:225], s[22:23], v227, v210, v[224:225]
	v_cvt_f32_i32_e32 v224, v224
	v_mov_b32_e32 v225, 0
	v_dot4c_i32_i8_e32 v225, v76, v0
	v_dot4c_i32_i8_e32 v225, v77, v1
	v_fmac_f32_e32 v228, v131, v224
	v_mov_b32_e32 v224, 0
	v_dot4c_i32_i8_e32 v224, v80, v4
	v_dot4c_i32_i8_e32 v224, v81, v5
	;; [unrolled: 1-line block ×7, first 2 shown]
	v_mul_lo_u32 v224, v224, v212
	v_mov_b32_e32 v227, 0
	v_mad_u64_u32 v[224:225], s[22:23], v225, v213, v[224:225]
	v_cvt_f32_i32_e32 v224, v224
	v_dot4c_i32_i8_e32 v226, v89, v13
	v_dot4c_i32_i8_e32 v227, v104, v8
	;; [unrolled: 1-line block ×6, first 2 shown]
	v_fmac_f32_e32 v47, v204, v228
	v_dot4c_i32_i8_e32 v227, v101, v11
	v_fma_f32 v228, v130, v224, 0
	v_mul_lo_u32 v224, v226, v215
	v_mov_b32_e32 v226, 0
	v_mad_u64_u32 v[224:225], s[22:23], v227, v214, v[224:225]
	v_cvt_f32_i32_e32 v224, v224
	v_mov_b32_e32 v225, 0
	v_dot4c_i32_i8_e32 v225, v92, v0
	v_dot4c_i32_i8_e32 v225, v93, v1
	v_fmac_f32_e32 v228, v131, v224
	v_mov_b32_e32 v224, 0
	v_dot4c_i32_i8_e32 v224, v96, v4
	v_dot4c_i32_i8_e32 v224, v97, v5
	;; [unrolled: 1-line block ×7, first 2 shown]
	v_mul_lo_u32 v224, v224, v216
	v_mov_b32_e32 v227, 0
	v_mad_u64_u32 v[224:225], s[22:23], v225, v217, v[224:225]
	v_cvt_f32_i32_e32 v224, v224
	v_dot4c_i32_i8_e32 v226, v109, v13
	v_dot4c_i32_i8_e32 v227, v120, v8
	;; [unrolled: 1-line block ×6, first 2 shown]
	v_fmac_f32_e32 v45, v205, v228
	v_dot4c_i32_i8_e32 v227, v117, v11
	v_fma_f32 v228, v130, v224, 0
	v_mul_lo_u32 v224, v226, v219
	v_mov_b32_e32 v226, 0
	v_mad_u64_u32 v[224:225], s[22:23], v227, v218, v[224:225]
	v_cvt_f32_i32_e32 v224, v224
	v_mov_b32_e32 v225, 0
	v_mov_b32_e32 v227, 0
	v_fmac_f32_e32 v228, v131, v224
	v_mov_b32_e32 v224, 0
	v_dot4c_i32_i8_e32 v224, v118, v12
	v_mov_b32_e32 v12, 0
	v_dot4c_i32_i8_e32 v12, v124, v8
	;; [unrolled: 2-line block ×3, first 2 shown]
	v_dot4c_i32_i8_e32 v8, v113, v5
	v_mov_b32_e32 v5, 0
	v_dot4c_i32_i8_e32 v5, v102, v0
	v_dot4c_i32_i8_e32 v8, v110, v6
	v_dot4c_i32_i8_e32 v5, v103, v1
	v_dot4c_i32_i8_e32 v8, v111, v7
	v_dot4c_i32_i8_e32 v5, v98, v2
	v_dot4c_i32_i8_e32 v5, v99, v3
	v_dot4c_i32_i8_e32 v224, v119, v13
	v_mul_lo_u32 v4, v8, v220
	v_dot4c_i32_i8_e32 v224, v114, v14
	v_mad_u64_u32 v[0:1], s[22:23], v5, v221, v[4:5]
	v_cvt_f32_i32_e32 v0, v0
	v_dot4c_i32_i8_e32 v12, v125, v9
	v_dot4c_i32_i8_e32 v224, v115, v15
	;; [unrolled: 1-line block ×4, first 2 shown]
	v_fma_f32 v2, v130, v0, 0
	v_mul_lo_u32 v0, v224, v223
	v_mov_b32_e32 v224, 0
	v_mad_u64_u32 v[0:1], s[22:23], v12, v222, v[0:1]
	v_cvt_f32_i32_e32 v0, v0
	v_fmac_f32_e32 v43, v206, v228
	v_fmac_f32_e32 v2, v131, v0
	v_or_b32_e32 v0, s20, v181
	v_lshlrev_b32_e32 v12, 2, v0
	v_lshrrev_b32_e32 v130, 1, v0
	v_fmac_f32_e32 v41, v207, v2
	ds_read_b128 v[0:3], v12 offset:33280
	ds_read_b128 v[4:7], v12 offset:33296
	ds_read_b128 v[8:11], v12 offset:33312
	ds_read_b128 v[12:15], v12 offset:33328
	ds_read_b64 v[130:131], v130 offset:43584
	s_waitcnt lgkmcnt(4)
	v_dot4c_i32_i8_e32 v225, v68, v0
	s_waitcnt lgkmcnt(3)
	v_dot4c_i32_i8_e32 v224, v72, v4
	v_dot4c_i32_i8_e32 v224, v73, v5
	;; [unrolled: 1-line block ×7, first 2 shown]
	s_waitcnt lgkmcnt(1)
	v_dot4c_i32_i8_e32 v226, v128, v12
	v_mul_lo_u32 v224, v224, v208
	v_dot4c_i32_i8_e32 v226, v129, v13
	v_mad_u64_u32 v[224:225], s[22:23], v225, v209, v[224:225]
	v_cvt_f32_i32_e32 v224, v224
	v_dot4c_i32_i8_e32 v227, v84, v8
	v_dot4c_i32_i8_e32 v226, v126, v14
	;; [unrolled: 1-line block ×6, first 2 shown]
	s_waitcnt lgkmcnt(0)
	v_fma_f32 v228, v130, v224, 0
	v_mul_lo_u32 v224, v226, v211
	v_mov_b32_e32 v226, 0
	v_mad_u64_u32 v[224:225], s[22:23], v227, v210, v[224:225]
	v_cvt_f32_i32_e32 v224, v224
	v_mov_b32_e32 v225, 0
	v_dot4c_i32_i8_e32 v225, v76, v0
	v_dot4c_i32_i8_e32 v225, v77, v1
	v_fmac_f32_e32 v228, v131, v224
	v_mov_b32_e32 v224, 0
	v_dot4c_i32_i8_e32 v224, v80, v4
	v_dot4c_i32_i8_e32 v224, v81, v5
	;; [unrolled: 1-line block ×7, first 2 shown]
	v_mul_lo_u32 v224, v224, v212
	v_mov_b32_e32 v227, 0
	v_mad_u64_u32 v[224:225], s[22:23], v225, v213, v[224:225]
	v_cvt_f32_i32_e32 v224, v224
	v_dot4c_i32_i8_e32 v226, v89, v13
	v_dot4c_i32_i8_e32 v227, v104, v8
	v_dot4c_i32_i8_e32 v226, v86, v14
	v_dot4c_i32_i8_e32 v227, v105, v9
	v_dot4c_i32_i8_e32 v226, v87, v15
	v_dot4c_i32_i8_e32 v227, v100, v10
	v_fmac_f32_e32 v39, v204, v228
	v_dot4c_i32_i8_e32 v227, v101, v11
	v_fma_f32 v228, v130, v224, 0
	v_mul_lo_u32 v224, v226, v215
	v_mov_b32_e32 v226, 0
	v_mad_u64_u32 v[224:225], s[22:23], v227, v214, v[224:225]
	v_cvt_f32_i32_e32 v224, v224
	v_mov_b32_e32 v225, 0
	v_dot4c_i32_i8_e32 v225, v92, v0
	v_dot4c_i32_i8_e32 v225, v93, v1
	v_fmac_f32_e32 v228, v131, v224
	v_mov_b32_e32 v224, 0
	v_dot4c_i32_i8_e32 v224, v96, v4
	v_dot4c_i32_i8_e32 v224, v97, v5
	;; [unrolled: 1-line block ×7, first 2 shown]
	v_mul_lo_u32 v224, v224, v216
	v_mov_b32_e32 v227, 0
	v_mad_u64_u32 v[224:225], s[22:23], v225, v217, v[224:225]
	v_cvt_f32_i32_e32 v224, v224
	v_dot4c_i32_i8_e32 v226, v109, v13
	v_dot4c_i32_i8_e32 v227, v120, v8
	;; [unrolled: 1-line block ×6, first 2 shown]
	v_fmac_f32_e32 v37, v205, v228
	v_dot4c_i32_i8_e32 v227, v117, v11
	v_fma_f32 v228, v130, v224, 0
	v_mul_lo_u32 v224, v226, v219
	v_mov_b32_e32 v226, 0
	v_mad_u64_u32 v[224:225], s[22:23], v227, v218, v[224:225]
	v_cvt_f32_i32_e32 v224, v224
	v_mov_b32_e32 v225, 0
	v_mov_b32_e32 v227, 0
	v_fmac_f32_e32 v228, v131, v224
	v_mov_b32_e32 v224, 0
	v_dot4c_i32_i8_e32 v224, v118, v12
	v_mov_b32_e32 v12, 0
	v_dot4c_i32_i8_e32 v12, v124, v8
	v_mov_b32_e32 v8, 0
	v_dot4c_i32_i8_e32 v8, v112, v4
	v_dot4c_i32_i8_e32 v8, v113, v5
	v_mov_b32_e32 v5, 0
	v_dot4c_i32_i8_e32 v5, v102, v0
	v_dot4c_i32_i8_e32 v8, v110, v6
	;; [unrolled: 1-line block ×7, first 2 shown]
	v_mul_lo_u32 v4, v8, v220
	v_dot4c_i32_i8_e32 v224, v114, v14
	v_mad_u64_u32 v[0:1], s[22:23], v5, v221, v[4:5]
	v_cvt_f32_i32_e32 v0, v0
	v_dot4c_i32_i8_e32 v12, v125, v9
	v_dot4c_i32_i8_e32 v224, v115, v15
	;; [unrolled: 1-line block ×4, first 2 shown]
	v_fma_f32 v2, v130, v0, 0
	v_mul_lo_u32 v0, v224, v223
	v_mov_b32_e32 v224, 0
	v_mad_u64_u32 v[0:1], s[22:23], v12, v222, v[0:1]
	v_cvt_f32_i32_e32 v0, v0
	v_fmac_f32_e32 v35, v206, v228
	v_fmac_f32_e32 v2, v131, v0
	v_or_b32_e32 v0, s20, v184
	v_lshlrev_b32_e32 v12, 2, v0
	v_lshrrev_b32_e32 v130, 1, v0
	v_fmac_f32_e32 v33, v207, v2
	ds_read_b128 v[0:3], v12 offset:33280
	ds_read_b128 v[4:7], v12 offset:33296
	;; [unrolled: 1-line block ×4, first 2 shown]
	ds_read_b64 v[130:131], v130 offset:43584
	s_waitcnt lgkmcnt(4)
	v_dot4c_i32_i8_e32 v225, v68, v0
	s_waitcnt lgkmcnt(3)
	v_dot4c_i32_i8_e32 v224, v72, v4
	v_dot4c_i32_i8_e32 v224, v73, v5
	;; [unrolled: 1-line block ×7, first 2 shown]
	s_waitcnt lgkmcnt(1)
	v_dot4c_i32_i8_e32 v226, v128, v12
	v_mul_lo_u32 v224, v224, v208
	v_dot4c_i32_i8_e32 v226, v129, v13
	v_mad_u64_u32 v[224:225], s[22:23], v225, v209, v[224:225]
	v_cvt_f32_i32_e32 v224, v224
	v_dot4c_i32_i8_e32 v227, v84, v8
	v_dot4c_i32_i8_e32 v226, v126, v14
	;; [unrolled: 1-line block ×6, first 2 shown]
	s_waitcnt lgkmcnt(0)
	v_fma_f32 v228, v130, v224, 0
	v_mul_lo_u32 v224, v226, v211
	v_mov_b32_e32 v226, 0
	v_mad_u64_u32 v[224:225], s[22:23], v227, v210, v[224:225]
	v_cvt_f32_i32_e32 v224, v224
	v_mov_b32_e32 v225, 0
	v_dot4c_i32_i8_e32 v225, v76, v0
	v_dot4c_i32_i8_e32 v225, v77, v1
	v_fmac_f32_e32 v228, v131, v224
	v_mov_b32_e32 v224, 0
	v_dot4c_i32_i8_e32 v224, v80, v4
	v_dot4c_i32_i8_e32 v224, v81, v5
	;; [unrolled: 1-line block ×7, first 2 shown]
	v_mul_lo_u32 v224, v224, v212
	v_mov_b32_e32 v227, 0
	v_mad_u64_u32 v[224:225], s[22:23], v225, v213, v[224:225]
	v_cvt_f32_i32_e32 v224, v224
	v_dot4c_i32_i8_e32 v226, v89, v13
	v_dot4c_i32_i8_e32 v227, v104, v8
	v_dot4c_i32_i8_e32 v226, v86, v14
	v_dot4c_i32_i8_e32 v227, v105, v9
	v_dot4c_i32_i8_e32 v226, v87, v15
	v_dot4c_i32_i8_e32 v227, v100, v10
	v_fmac_f32_e32 v31, v204, v228
	v_dot4c_i32_i8_e32 v227, v101, v11
	v_fma_f32 v228, v130, v224, 0
	v_mul_lo_u32 v224, v226, v215
	v_mov_b32_e32 v226, 0
	v_mad_u64_u32 v[224:225], s[22:23], v227, v214, v[224:225]
	v_cvt_f32_i32_e32 v224, v224
	v_mov_b32_e32 v225, 0
	v_dot4c_i32_i8_e32 v225, v92, v0
	v_dot4c_i32_i8_e32 v225, v93, v1
	v_fmac_f32_e32 v228, v131, v224
	v_mov_b32_e32 v224, 0
	v_dot4c_i32_i8_e32 v224, v96, v4
	v_dot4c_i32_i8_e32 v224, v97, v5
	;; [unrolled: 1-line block ×7, first 2 shown]
	v_mul_lo_u32 v224, v224, v216
	v_mov_b32_e32 v227, 0
	v_mad_u64_u32 v[224:225], s[22:23], v225, v217, v[224:225]
	v_cvt_f32_i32_e32 v224, v224
	v_dot4c_i32_i8_e32 v226, v109, v13
	v_dot4c_i32_i8_e32 v227, v120, v8
	;; [unrolled: 1-line block ×6, first 2 shown]
	v_fmac_f32_e32 v29, v205, v228
	v_dot4c_i32_i8_e32 v227, v117, v11
	v_fma_f32 v228, v130, v224, 0
	v_mul_lo_u32 v224, v226, v219
	s_nop 0
	v_mad_u64_u32 v[224:225], s[22:23], v227, v218, v[224:225]
	v_cvt_f32_i32_e32 v224, v224
	v_fmac_f32_e32 v228, v131, v224
	v_mov_b32_e32 v224, 0
	v_dot4c_i32_i8_e32 v224, v118, v12
	v_mov_b32_e32 v12, 0
	v_dot4c_i32_i8_e32 v12, v124, v8
	;; [unrolled: 2-line block ×3, first 2 shown]
	v_dot4c_i32_i8_e32 v8, v113, v5
	v_mov_b32_e32 v5, 0
	v_dot4c_i32_i8_e32 v5, v102, v0
	v_dot4c_i32_i8_e32 v8, v110, v6
	;; [unrolled: 1-line block ×7, first 2 shown]
	v_mul_lo_u32 v4, v8, v220
	v_dot4c_i32_i8_e32 v224, v114, v14
	v_mad_u64_u32 v[0:1], s[22:23], v5, v221, v[4:5]
	v_cvt_f32_i32_e32 v0, v0
	v_dot4c_i32_i8_e32 v12, v125, v9
	v_dot4c_i32_i8_e32 v224, v115, v15
	;; [unrolled: 1-line block ×4, first 2 shown]
	v_fma_f32 v2, v130, v0, 0
	v_mul_lo_u32 v0, v224, v223
	v_mov_b32_e32 v224, 0
	v_mad_u64_u32 v[0:1], s[22:23], v12, v222, v[0:1]
	v_cvt_f32_i32_e32 v0, v0
	v_fmac_f32_e32 v27, v206, v228
	v_fmac_f32_e32 v2, v131, v0
	v_or_b32_e32 v0, s20, v187
	v_lshlrev_b32_e32 v12, 2, v0
	v_lshrrev_b32_e32 v130, 1, v0
	v_fmac_f32_e32 v25, v207, v2
	ds_read_b128 v[0:3], v12 offset:33280
	ds_read_b128 v[4:7], v12 offset:33296
	ds_read_b128 v[8:11], v12 offset:33312
	ds_read_b128 v[12:15], v12 offset:33328
	ds_read_b64 v[130:131], v130 offset:43584
	s_waitcnt lgkmcnt(1)
	v_dot4c_i32_i8_e32 v224, v128, v12
	v_dot4c_i32_i8_e32 v224, v129, v13
	;; [unrolled: 1-line block ×3, first 2 shown]
	v_mov_b32_e32 v126, 0
	v_dot4c_i32_i8_e32 v126, v84, v8
	v_dot4c_i32_i8_e32 v126, v85, v9
	;; [unrolled: 1-line block ×3, first 2 shown]
	v_mov_b32_e32 v82, 0
	v_dot4c_i32_i8_e32 v82, v72, v4
	v_dot4c_i32_i8_e32 v82, v73, v5
	v_dot4c_i32_i8_e32 v82, v70, v6
	v_dot4c_i32_i8_e32 v82, v71, v7
	v_mov_b32_e32 v71, 0
	v_dot4c_i32_i8_e32 v71, v68, v0
	v_dot4c_i32_i8_e32 v71, v69, v1
	;; [unrolled: 1-line block ×3, first 2 shown]
	v_mul_lo_u32 v70, v82, v208
	v_dot4c_i32_i8_e32 v71, v67, v3
	v_dot4c_i32_i8_e32 v224, v127, v15
	;; [unrolled: 1-line block ×3, first 2 shown]
	v_mov_b32_e32 v69, 0
	v_mad_u64_u32 v[66:67], s[20:21], v71, v209, v[70:71]
	v_cvt_f32_i32_e32 v66, v66
	v_dot4c_i32_i8_e32 v69, v104, v8
	v_dot4c_i32_i8_e32 v69, v105, v9
	;; [unrolled: 1-line block ×3, first 2 shown]
	s_waitcnt lgkmcnt(0)
	v_fma_f32 v68, v130, v66, 0
	v_mul_lo_u32 v66, v224, v211
	v_mad_u64_u32 v[66:67], s[20:21], v126, v210, v[66:67]
	v_cvt_f32_i32_e32 v66, v66
	v_mov_b32_e32 v67, 0
	v_dot4c_i32_i8_e32 v67, v76, v0
	v_dot4c_i32_i8_e32 v67, v77, v1
	v_fmac_f32_e32 v68, v131, v66
	v_mov_b32_e32 v66, 0
	v_dot4c_i32_i8_e32 v66, v80, v4
	v_dot4c_i32_i8_e32 v66, v81, v5
	;; [unrolled: 1-line block ×6, first 2 shown]
	v_fmac_f32_e32 v23, v204, v68
	v_mul_lo_u32 v66, v66, v212
	v_mov_b32_e32 v68, 0
	v_mad_u64_u32 v[66:67], s[20:21], v67, v213, v[66:67]
	v_dot4c_i32_i8_e32 v68, v88, v12
	v_cvt_f32_i32_e32 v66, v66
	v_dot4c_i32_i8_e32 v68, v89, v13
	v_dot4c_i32_i8_e32 v68, v86, v14
	;; [unrolled: 1-line block ×4, first 2 shown]
	v_fma_f32 v70, v130, v66, 0
	s_nop 0
	v_mul_lo_u32 v66, v68, v215
	v_mad_u64_u32 v[66:67], s[20:21], v69, v214, v[66:67]
	v_cvt_f32_i32_e32 v66, v66
	v_mov_b32_e32 v67, 0
	v_dot4c_i32_i8_e32 v67, v92, v0
	v_dot4c_i32_i8_e32 v67, v93, v1
	v_fmac_f32_e32 v70, v131, v66
	v_mov_b32_e32 v66, 0
	v_dot4c_i32_i8_e32 v66, v96, v4
	v_dot4c_i32_i8_e32 v66, v97, v5
	;; [unrolled: 1-line block ×6, first 2 shown]
	v_mov_b32_e32 v68, 0
	v_mul_lo_u32 v66, v66, v216
	v_dot4c_i32_i8_e32 v68, v108, v12
	v_mad_u64_u32 v[66:67], s[20:21], v67, v217, v[66:67]
	v_mov_b32_e32 v69, 0
	v_cvt_f32_i32_e32 v66, v66
	v_dot4c_i32_i8_e32 v68, v109, v13
	v_dot4c_i32_i8_e32 v69, v120, v8
	;; [unrolled: 1-line block ×6, first 2 shown]
	v_fmac_f32_e32 v21, v205, v70
	v_dot4c_i32_i8_e32 v69, v117, v11
	v_fma_f32 v70, v130, v66, 0
	v_mul_lo_u32 v66, v68, v219
	s_nop 0
	v_mad_u64_u32 v[66:67], s[20:21], v69, v218, v[66:67]
	v_cvt_f32_i32_e32 v66, v66
	v_fmac_f32_e32 v70, v131, v66
	v_mov_b32_e32 v66, 0
	v_dot4c_i32_i8_e32 v66, v118, v12
	v_mov_b32_e32 v12, 0
	v_dot4c_i32_i8_e32 v12, v124, v8
	;; [unrolled: 2-line block ×3, first 2 shown]
	v_dot4c_i32_i8_e32 v8, v113, v5
	v_mov_b32_e32 v5, 0
	v_dot4c_i32_i8_e32 v5, v102, v0
	v_dot4c_i32_i8_e32 v8, v110, v6
	;; [unrolled: 1-line block ×7, first 2 shown]
	v_mul_lo_u32 v4, v8, v220
	v_dot4c_i32_i8_e32 v66, v114, v14
	v_mad_u64_u32 v[0:1], s[20:21], v5, v221, v[4:5]
	v_cvt_f32_i32_e32 v0, v0
	v_dot4c_i32_i8_e32 v12, v125, v9
	v_dot4c_i32_i8_e32 v66, v115, v15
	;; [unrolled: 1-line block ×4, first 2 shown]
	v_fma_f32 v2, v130, v0, 0
	v_mul_lo_u32 v0, v66, v223
	v_fmac_f32_e32 v19, v206, v70
	v_mad_u64_u32 v[0:1], s[20:21], v12, v222, v[0:1]
	v_cvt_f32_i32_e32 v0, v0
	s_mov_b32 s21, 8
	v_fmac_f32_e32 v2, v131, v0
	v_fmac_f32_e32 v17, v207, v2
	s_cbranch_vccnz .LBB175_6
; %bb.7:                                ;   in Loop: Header=BB175_5 Depth=1
	v_add_u32_e32 v14, s19, v190
	v_add_u32_e32 v0, v14, v166
	;; [unrolled: 1-line block ×6, first 2 shown]
	v_mad_i64_i32 v[0:1], s[0:1], v0, 36, v[62:63]
	v_mad_i64_i32 v[2:3], s[0:1], v2, 36, v[62:63]
	;; [unrolled: 1-line block ×4, first 2 shown]
	v_add_u32_e32 v8, v14, v177
	v_add_u32_e32 v10, v14, v180
	;; [unrolled: 1-line block ×4, first 2 shown]
	v_mad_u64_u32 v[66:67], s[0:1], v66, 36, s[2:3]
	s_barrier
	v_mad_i64_i32 v[8:9], s[0:1], v8, 36, v[62:63]
	v_mad_i64_i32 v[10:11], s[0:1], v10, 36, v[62:63]
	;; [unrolled: 1-line block ×4, first 2 shown]
	global_load_dword v66, v[66:67], off
	s_nop 0
	global_load_dword v0, v[0:1], off offset:4
	s_nop 0
	global_load_dword v1, v[2:3], off offset:4
	;; [unrolled: 2-line block ×3, first 2 shown]
	global_load_dword v3, v[6:7], off offset:4
	s_nop 0
	global_load_dword v4, v[8:9], off offset:4
	global_load_dword v5, v[10:11], off offset:4
	;; [unrolled: 1-line block ×4, first 2 shown]
	s_mov_b32 s0, 16
	s_waitcnt vmcnt(8)
	v_cvt_f32_f16_e32 v8, v66
	s_waitcnt vmcnt(7)
	ds_write_b32 v167, v0
	s_waitcnt vmcnt(6)
	ds_write_b32 v170, v1
	s_waitcnt vmcnt(5)
	ds_write_b32 v173, v2
	s_waitcnt vmcnt(4)
	ds_write_b32 v176, v3
	s_waitcnt vmcnt(3)
	ds_write_b32 v179, v4
	s_waitcnt vmcnt(2)
	ds_write_b32 v182, v5
	s_waitcnt vmcnt(1)
	ds_write_b32 v185, v6
	s_waitcnt vmcnt(0)
	ds_write_b32 v188, v7
	ds_write_b32 v163, v8
	s_waitcnt lgkmcnt(0)
	s_barrier
	ds_read_b32 v203, v189
	ds_read_b32 v204, v191 offset:128
	ds_read_b32 v205, v192 offset:256
	;; [unrolled: 1-line block ×3, first 2 shown]
.LBB175_8:                              ;   Parent Loop BB175_5 Depth=1
                                        ; =>  This Inner Loop Header: Depth=2
	s_lshl_b32 s1, s0, 1
	s_and_b32 s1, s1, 16
	v_or_b32_e32 v0, s1, v158
	v_lshlrev_b32_e32 v12, 2, v0
	s_lshr_b32 s19, s0, 1
	s_lshl_b32 s20, s0, 3
	v_lshrrev_b32_e32 v66, 1, v0
	ds_read_b128 v[0:3], v12 offset:33280
	ds_read_b128 v[4:7], v12 offset:33296
	;; [unrolled: 1-line block ×4, first 2 shown]
	ds_read_b64 v[130:131], v66 offset:43584
	v_add_u32_e32 v74, s19, v194
	v_add_u32_e32 v75, s20, v195
	ds_read2_b32 v[70:71], v75 offset0:6 offset1:7
	ds_read2_b32 v[72:73], v75 offset0:4 offset1:5
	;; [unrolled: 1-line block ×3, first 2 shown]
	ds_read2_b32 v[68:69], v75 offset1:1
	ds_read_b32 v76, v74
	ds_read2_b32 v[126:127], v75 offset0:14 offset1:15
	ds_read2_b32 v[128:129], v75 offset0:12 offset1:13
	v_mov_b32_e32 v74, 0
	ds_read2_b32 v[82:83], v75 offset0:10 offset1:11
	ds_read2_b32 v[84:85], v75 offset0:8 offset1:9
	s_waitcnt lgkmcnt(7)
	v_dot4c_i32_i8_e32 v74, v72, v4
	v_mov_b32_e32 v75, 0
	v_dot4c_i32_i8_e32 v74, v73, v5
	s_waitcnt lgkmcnt(5)
	v_dot4c_i32_i8_e32 v75, v68, v0
	v_dot4c_i32_i8_e32 v74, v70, v6
	;; [unrolled: 1-line block ×4, first 2 shown]
	s_waitcnt lgkmcnt(4)
	v_bfe_i32 v207, v76, 8, 8
	v_dot4c_i32_i8_e32 v75, v66, v2
	v_dot4c_i32_i8_e32 v75, v67, v3
	v_mul_lo_u32 v74, v74, v207
	v_bfe_i32 v208, v76, 0, 8
	v_mov_b32_e32 v77, 0
	v_mad_u64_u32 v[74:75], s[22:23], v75, v208, v[74:75]
	s_waitcnt lgkmcnt(2)
	v_dot4c_i32_i8_e32 v77, v128, v12
	v_mov_b32_e32 v78, 0
	v_cvt_f32_i32_e32 v74, v74
	v_dot4c_i32_i8_e32 v77, v129, v13
	s_waitcnt lgkmcnt(0)
	v_dot4c_i32_i8_e32 v78, v84, v8
	v_dot4c_i32_i8_e32 v77, v126, v14
	;; [unrolled: 1-line block ×5, first 2 shown]
	v_ashrrev_i32_e32 v210, 24, v76
	v_dot4c_i32_i8_e32 v78, v83, v11
	v_fma_f32 v79, v130, v74, 0
	v_bfe_i32 v209, v76, 16, 8
	v_mul_lo_u32 v74, v77, v210
	v_mad_u64_u32 v[74:75], s[22:23], v78, v209, v[74:75]
	v_cvt_f32_i32_e32 v74, v74
	v_add_u32_e32 v86, s19, v196
	v_add_u32_e32 v90, s20, v197
	v_mov_b32_e32 v91, 0
	v_fmac_f32_e32 v79, v131, v74
	v_fmac_f32_e32 v165, v203, v79
	ds_read2_b32 v[78:79], v90 offset0:6 offset1:7
	ds_read2_b32 v[80:81], v90 offset0:4 offset1:5
	;; [unrolled: 1-line block ×3, first 2 shown]
	ds_read2_b32 v[76:77], v90 offset1:1
	ds_read_b32 v92, v86
	ds_read2_b32 v[86:87], v90 offset0:14 offset1:15
	ds_read2_b32 v[88:89], v90 offset0:12 offset1:13
	ds_read2_b32 v[100:101], v90 offset0:10 offset1:11
	ds_read2_b32 v[104:105], v90 offset0:8 offset1:9
	v_mov_b32_e32 v90, 0
	s_waitcnt lgkmcnt(7)
	v_dot4c_i32_i8_e32 v90, v80, v4
	v_dot4c_i32_i8_e32 v90, v81, v5
	s_waitcnt lgkmcnt(5)
	v_dot4c_i32_i8_e32 v91, v76, v0
	v_dot4c_i32_i8_e32 v90, v78, v6
	;; [unrolled: 1-line block ×4, first 2 shown]
	s_waitcnt lgkmcnt(4)
	v_bfe_i32 v211, v92, 8, 8
	v_dot4c_i32_i8_e32 v91, v74, v2
	v_dot4c_i32_i8_e32 v91, v75, v3
	v_mul_lo_u32 v90, v90, v211
	v_bfe_i32 v212, v92, 0, 8
	v_mov_b32_e32 v93, 0
	v_mad_u64_u32 v[90:91], s[22:23], v91, v212, v[90:91]
	s_waitcnt lgkmcnt(2)
	v_dot4c_i32_i8_e32 v93, v88, v12
	v_mov_b32_e32 v94, 0
	v_cvt_f32_i32_e32 v90, v90
	v_dot4c_i32_i8_e32 v93, v89, v13
	s_waitcnt lgkmcnt(0)
	v_dot4c_i32_i8_e32 v94, v104, v8
	v_dot4c_i32_i8_e32 v93, v86, v14
	;; [unrolled: 1-line block ×5, first 2 shown]
	v_ashrrev_i32_e32 v214, 24, v92
	v_dot4c_i32_i8_e32 v94, v101, v11
	v_fma_f32 v95, v130, v90, 0
	v_bfe_i32 v213, v92, 16, 8
	v_mul_lo_u32 v90, v93, v214
	v_mad_u64_u32 v[90:91], s[22:23], v94, v213, v[90:91]
	v_cvt_f32_i32_e32 v90, v90
	v_add_u32_e32 v98, s19, v198
	v_add_u32_e32 v99, s20, v199
	v_mov_b32_e32 v103, 0
	v_fmac_f32_e32 v95, v131, v90
	v_fmac_f32_e32 v160, v204, v95
	ds_read2_b32 v[94:95], v99 offset0:6 offset1:7
	ds_read2_b32 v[96:97], v99 offset0:4 offset1:5
	;; [unrolled: 1-line block ×3, first 2 shown]
	ds_read2_b32 v[92:93], v99 offset1:1
	ds_read_b32 v102, v98
	ds_read2_b32 v[106:107], v99 offset0:14 offset1:15
	ds_read2_b32 v[108:109], v99 offset0:12 offset1:13
	v_mov_b32_e32 v98, 0
	ds_read2_b32 v[116:117], v99 offset0:10 offset1:11
	ds_read2_b32 v[120:121], v99 offset0:8 offset1:9
	s_waitcnt lgkmcnt(7)
	v_dot4c_i32_i8_e32 v98, v96, v4
	v_mov_b32_e32 v99, 0
	v_dot4c_i32_i8_e32 v98, v97, v5
	s_waitcnt lgkmcnt(5)
	v_dot4c_i32_i8_e32 v99, v92, v0
	v_dot4c_i32_i8_e32 v98, v94, v6
	;; [unrolled: 1-line block ×4, first 2 shown]
	s_waitcnt lgkmcnt(4)
	v_bfe_i32 v215, v102, 8, 8
	v_dot4c_i32_i8_e32 v99, v90, v2
	v_dot4c_i32_i8_e32 v99, v91, v3
	v_mul_lo_u32 v98, v98, v215
	v_bfe_i32 v216, v102, 0, 8
	s_waitcnt lgkmcnt(2)
	v_dot4c_i32_i8_e32 v103, v108, v12
	v_mad_u64_u32 v[98:99], s[22:23], v99, v216, v[98:99]
	v_mov_b32_e32 v110, 0
	v_cvt_f32_i32_e32 v98, v98
	v_dot4c_i32_i8_e32 v103, v109, v13
	s_waitcnt lgkmcnt(0)
	v_dot4c_i32_i8_e32 v110, v120, v8
	v_dot4c_i32_i8_e32 v103, v106, v14
	;; [unrolled: 1-line block ×5, first 2 shown]
	v_ashrrev_i32_e32 v218, 24, v102
	v_dot4c_i32_i8_e32 v110, v117, v11
	v_fma_f32 v111, v130, v98, 0
	v_bfe_i32 v217, v102, 16, 8
	v_mul_lo_u32 v98, v103, v218
	v_mad_u64_u32 v[98:99], s[22:23], v110, v217, v[98:99]
	v_cvt_f32_i32_e32 v98, v98
	v_add_u32_e32 v114, s19, v200
	v_add_u32_e32 v124, s20, v201
	v_mov_b32_e32 v223, 0
	v_fmac_f32_e32 v111, v131, v98
	v_fmac_f32_e32 v154, v205, v111
	ds_read2_b32 v[110:111], v124 offset0:6 offset1:7
	ds_read2_b32 v[112:113], v124 offset0:4 offset1:5
	;; [unrolled: 1-line block ×3, first 2 shown]
	ds_read2_b32 v[102:103], v124 offset1:1
	ds_read_b32 v222, v114
	ds_read2_b32 v[114:115], v124 offset0:14 offset1:15
	ds_read2_b32 v[118:119], v124 offset0:12 offset1:13
	;; [unrolled: 1-line block ×4, first 2 shown]
	v_mov_b32_e32 v224, 0
	s_waitcnt lgkmcnt(4)
	v_bfe_i32 v219, v222, 8, 8
	v_bfe_i32 v220, v222, 0, 8
	s_waitcnt lgkmcnt(2)
	v_dot4c_i32_i8_e32 v223, v118, v12
	v_mov_b32_e32 v12, 0
	s_waitcnt lgkmcnt(0)
	v_dot4c_i32_i8_e32 v12, v124, v8
	v_mov_b32_e32 v8, 0
	v_dot4c_i32_i8_e32 v8, v112, v4
	v_dot4c_i32_i8_e32 v8, v113, v5
	v_mov_b32_e32 v5, 0
	v_dot4c_i32_i8_e32 v5, v102, v0
	v_dot4c_i32_i8_e32 v8, v110, v6
	;; [unrolled: 1-line block ×7, first 2 shown]
	v_mul_lo_u32 v4, v8, v219
	v_dot4c_i32_i8_e32 v223, v114, v14
	v_mad_u64_u32 v[0:1], s[20:21], v5, v220, v[4:5]
	v_cvt_f32_i32_e32 v0, v0
	v_dot4c_i32_i8_e32 v12, v125, v9
	v_dot4c_i32_i8_e32 v223, v115, v15
	;; [unrolled: 1-line block ×3, first 2 shown]
	v_bfe_i32 v221, v222, 16, 8
	v_ashrrev_i32_e32 v222, 24, v222
	v_dot4c_i32_i8_e32 v12, v123, v11
	v_fma_f32 v2, v130, v0, 0
	v_mul_lo_u32 v0, v223, v222
	v_mov_b32_e32 v225, 0
	v_mad_u64_u32 v[0:1], s[20:21], v12, v221, v[0:1]
	v_cvt_f32_i32_e32 v0, v0
	v_mov_b32_e32 v223, 0
	v_mov_b32_e32 v226, 0
	v_fmac_f32_e32 v2, v131, v0
	v_or_b32_e32 v0, s1, v169
	v_lshlrev_b32_e32 v12, 2, v0
	v_lshrrev_b32_e32 v130, 1, v0
	v_fmac_f32_e32 v143, v206, v2
	ds_read_b128 v[0:3], v12 offset:33280
	ds_read_b128 v[4:7], v12 offset:33296
	;; [unrolled: 1-line block ×4, first 2 shown]
	ds_read_b64 v[130:131], v130 offset:43584
	s_waitcnt lgkmcnt(4)
	v_dot4c_i32_i8_e32 v225, v68, v0
	s_waitcnt lgkmcnt(3)
	v_dot4c_i32_i8_e32 v224, v72, v4
	v_dot4c_i32_i8_e32 v224, v73, v5
	;; [unrolled: 1-line block ×7, first 2 shown]
	s_waitcnt lgkmcnt(1)
	v_dot4c_i32_i8_e32 v223, v128, v12
	v_mul_lo_u32 v224, v224, v207
	v_dot4c_i32_i8_e32 v223, v129, v13
	v_mad_u64_u32 v[224:225], s[20:21], v225, v208, v[224:225]
	v_cvt_f32_i32_e32 v224, v224
	v_dot4c_i32_i8_e32 v226, v84, v8
	v_dot4c_i32_i8_e32 v223, v126, v14
	;; [unrolled: 1-line block ×6, first 2 shown]
	s_waitcnt lgkmcnt(0)
	v_fma_f32 v227, v130, v224, 0
	v_mul_lo_u32 v224, v223, v210
	v_mad_u64_u32 v[224:225], s[20:21], v226, v209, v[224:225]
	v_cvt_f32_i32_e32 v223, v224
	v_mov_b32_e32 v224, 0
	v_dot4c_i32_i8_e32 v224, v80, v4
	v_mov_b32_e32 v225, 0
	v_dot4c_i32_i8_e32 v224, v81, v5
	v_dot4c_i32_i8_e32 v225, v76, v0
	;; [unrolled: 1-line block ×7, first 2 shown]
	v_fmac_f32_e32 v227, v131, v223
	v_mul_lo_u32 v224, v224, v211
	v_mov_b32_e32 v223, 0
	v_mad_u64_u32 v[224:225], s[20:21], v225, v212, v[224:225]
	v_dot4c_i32_i8_e32 v223, v88, v12
	v_mov_b32_e32 v226, 0
	v_cvt_f32_i32_e32 v224, v224
	v_dot4c_i32_i8_e32 v223, v89, v13
	v_dot4c_i32_i8_e32 v226, v104, v8
	;; [unrolled: 1-line block ×6, first 2 shown]
	v_fmac_f32_e32 v138, v203, v227
	v_dot4c_i32_i8_e32 v226, v101, v11
	v_fma_f32 v227, v130, v224, 0
	v_mul_lo_u32 v224, v223, v214
	s_nop 0
	v_mad_u64_u32 v[224:225], s[20:21], v226, v213, v[224:225]
	v_cvt_f32_i32_e32 v223, v224
	v_mov_b32_e32 v224, 0
	v_dot4c_i32_i8_e32 v224, v96, v4
	v_mov_b32_e32 v225, 0
	v_dot4c_i32_i8_e32 v224, v97, v5
	v_dot4c_i32_i8_e32 v225, v92, v0
	v_dot4c_i32_i8_e32 v224, v94, v6
	v_dot4c_i32_i8_e32 v225, v93, v1
	v_dot4c_i32_i8_e32 v224, v95, v7
	v_dot4c_i32_i8_e32 v225, v90, v2
	v_dot4c_i32_i8_e32 v225, v91, v3
	v_fmac_f32_e32 v227, v131, v223
	v_mul_lo_u32 v224, v224, v215
	v_mov_b32_e32 v223, 0
	v_mad_u64_u32 v[224:225], s[20:21], v225, v216, v[224:225]
	v_dot4c_i32_i8_e32 v223, v108, v12
	v_mov_b32_e32 v226, 0
	v_cvt_f32_i32_e32 v224, v224
	v_dot4c_i32_i8_e32 v223, v109, v13
	v_dot4c_i32_i8_e32 v226, v120, v8
	;; [unrolled: 1-line block ×6, first 2 shown]
	v_fmac_f32_e32 v137, v204, v227
	v_dot4c_i32_i8_e32 v226, v117, v11
	v_fma_f32 v227, v130, v224, 0
	v_mul_lo_u32 v224, v223, v218
	s_nop 0
	v_mad_u64_u32 v[224:225], s[20:21], v226, v217, v[224:225]
	v_cvt_f32_i32_e32 v223, v224
	v_mov_b32_e32 v224, 0
	v_mov_b32_e32 v225, 0
	;; [unrolled: 1-line block ×3, first 2 shown]
	v_fmac_f32_e32 v227, v131, v223
	v_mov_b32_e32 v223, 0
	v_dot4c_i32_i8_e32 v223, v118, v12
	v_mov_b32_e32 v12, 0
	v_dot4c_i32_i8_e32 v12, v124, v8
	;; [unrolled: 2-line block ×3, first 2 shown]
	v_dot4c_i32_i8_e32 v8, v113, v5
	v_mov_b32_e32 v5, 0
	v_dot4c_i32_i8_e32 v5, v102, v0
	v_dot4c_i32_i8_e32 v8, v110, v6
	;; [unrolled: 1-line block ×7, first 2 shown]
	v_mul_lo_u32 v4, v8, v219
	v_dot4c_i32_i8_e32 v223, v114, v14
	v_mad_u64_u32 v[0:1], s[20:21], v5, v220, v[4:5]
	v_cvt_f32_i32_e32 v0, v0
	v_dot4c_i32_i8_e32 v12, v125, v9
	v_dot4c_i32_i8_e32 v223, v115, v15
	;; [unrolled: 1-line block ×4, first 2 shown]
	v_fma_f32 v2, v130, v0, 0
	v_mul_lo_u32 v0, v223, v222
	v_mov_b32_e32 v223, 0
	v_mad_u64_u32 v[0:1], s[20:21], v12, v221, v[0:1]
	v_cvt_f32_i32_e32 v0, v0
	v_fmac_f32_e32 v135, v205, v227
	v_fmac_f32_e32 v2, v131, v0
	v_or_b32_e32 v0, s1, v172
	v_lshlrev_b32_e32 v12, 2, v0
	v_lshrrev_b32_e32 v130, 1, v0
	v_fmac_f32_e32 v134, v206, v2
	ds_read_b128 v[0:3], v12 offset:33280
	ds_read_b128 v[4:7], v12 offset:33296
	;; [unrolled: 1-line block ×4, first 2 shown]
	ds_read_b64 v[130:131], v130 offset:43584
	s_waitcnt lgkmcnt(4)
	v_dot4c_i32_i8_e32 v225, v68, v0
	s_waitcnt lgkmcnt(3)
	v_dot4c_i32_i8_e32 v224, v72, v4
	v_dot4c_i32_i8_e32 v224, v73, v5
	;; [unrolled: 1-line block ×7, first 2 shown]
	s_waitcnt lgkmcnt(1)
	v_dot4c_i32_i8_e32 v223, v128, v12
	v_mul_lo_u32 v224, v224, v207
	v_dot4c_i32_i8_e32 v223, v129, v13
	v_mad_u64_u32 v[224:225], s[20:21], v225, v208, v[224:225]
	v_cvt_f32_i32_e32 v224, v224
	v_dot4c_i32_i8_e32 v226, v84, v8
	v_dot4c_i32_i8_e32 v223, v126, v14
	;; [unrolled: 1-line block ×6, first 2 shown]
	s_waitcnt lgkmcnt(0)
	v_fma_f32 v227, v130, v224, 0
	v_mul_lo_u32 v224, v223, v210
	v_mad_u64_u32 v[224:225], s[20:21], v226, v209, v[224:225]
	v_cvt_f32_i32_e32 v223, v224
	v_mov_b32_e32 v224, 0
	v_dot4c_i32_i8_e32 v224, v80, v4
	v_mov_b32_e32 v225, 0
	v_dot4c_i32_i8_e32 v224, v81, v5
	v_dot4c_i32_i8_e32 v225, v76, v0
	;; [unrolled: 1-line block ×7, first 2 shown]
	v_fmac_f32_e32 v227, v131, v223
	v_mul_lo_u32 v224, v224, v211
	v_mov_b32_e32 v223, 0
	v_mad_u64_u32 v[224:225], s[20:21], v225, v212, v[224:225]
	v_dot4c_i32_i8_e32 v223, v88, v12
	v_mov_b32_e32 v226, 0
	v_cvt_f32_i32_e32 v224, v224
	v_dot4c_i32_i8_e32 v223, v89, v13
	v_dot4c_i32_i8_e32 v226, v104, v8
	;; [unrolled: 1-line block ×6, first 2 shown]
	v_fmac_f32_e32 v65, v203, v227
	v_dot4c_i32_i8_e32 v226, v101, v11
	v_fma_f32 v227, v130, v224, 0
	v_mul_lo_u32 v224, v223, v214
	s_nop 0
	v_mad_u64_u32 v[224:225], s[20:21], v226, v213, v[224:225]
	v_cvt_f32_i32_e32 v223, v224
	v_mov_b32_e32 v224, 0
	v_dot4c_i32_i8_e32 v224, v96, v4
	v_mov_b32_e32 v225, 0
	v_dot4c_i32_i8_e32 v224, v97, v5
	v_dot4c_i32_i8_e32 v225, v92, v0
	;; [unrolled: 1-line block ×7, first 2 shown]
	v_fmac_f32_e32 v227, v131, v223
	v_mul_lo_u32 v224, v224, v215
	v_mov_b32_e32 v223, 0
	v_mad_u64_u32 v[224:225], s[20:21], v225, v216, v[224:225]
	v_dot4c_i32_i8_e32 v223, v108, v12
	v_mov_b32_e32 v226, 0
	v_cvt_f32_i32_e32 v224, v224
	v_dot4c_i32_i8_e32 v223, v109, v13
	v_dot4c_i32_i8_e32 v226, v120, v8
	;; [unrolled: 1-line block ×6, first 2 shown]
	v_fmac_f32_e32 v61, v204, v227
	v_dot4c_i32_i8_e32 v226, v117, v11
	v_fma_f32 v227, v130, v224, 0
	v_mul_lo_u32 v224, v223, v218
	s_nop 0
	v_mad_u64_u32 v[224:225], s[20:21], v226, v217, v[224:225]
	v_cvt_f32_i32_e32 v223, v224
	v_mov_b32_e32 v224, 0
	v_mov_b32_e32 v225, 0
	;; [unrolled: 1-line block ×3, first 2 shown]
	v_fmac_f32_e32 v227, v131, v223
	v_mov_b32_e32 v223, 0
	v_dot4c_i32_i8_e32 v223, v118, v12
	v_mov_b32_e32 v12, 0
	v_dot4c_i32_i8_e32 v12, v124, v8
	;; [unrolled: 2-line block ×3, first 2 shown]
	v_dot4c_i32_i8_e32 v8, v113, v5
	v_mov_b32_e32 v5, 0
	v_dot4c_i32_i8_e32 v5, v102, v0
	v_dot4c_i32_i8_e32 v8, v110, v6
	;; [unrolled: 1-line block ×7, first 2 shown]
	v_mul_lo_u32 v4, v8, v219
	v_dot4c_i32_i8_e32 v223, v114, v14
	v_mad_u64_u32 v[0:1], s[20:21], v5, v220, v[4:5]
	v_cvt_f32_i32_e32 v0, v0
	v_dot4c_i32_i8_e32 v12, v125, v9
	v_dot4c_i32_i8_e32 v223, v115, v15
	;; [unrolled: 1-line block ×4, first 2 shown]
	v_fma_f32 v2, v130, v0, 0
	v_mul_lo_u32 v0, v223, v222
	v_mov_b32_e32 v223, 0
	v_mad_u64_u32 v[0:1], s[20:21], v12, v221, v[0:1]
	v_cvt_f32_i32_e32 v0, v0
	v_fmac_f32_e32 v59, v205, v227
	v_fmac_f32_e32 v2, v131, v0
	v_or_b32_e32 v0, s1, v175
	v_lshlrev_b32_e32 v12, 2, v0
	v_lshrrev_b32_e32 v130, 1, v0
	v_fmac_f32_e32 v57, v206, v2
	ds_read_b128 v[0:3], v12 offset:33280
	ds_read_b128 v[4:7], v12 offset:33296
	;; [unrolled: 1-line block ×4, first 2 shown]
	ds_read_b64 v[130:131], v130 offset:43584
	s_waitcnt lgkmcnt(4)
	v_dot4c_i32_i8_e32 v225, v68, v0
	s_waitcnt lgkmcnt(3)
	v_dot4c_i32_i8_e32 v224, v72, v4
	v_dot4c_i32_i8_e32 v224, v73, v5
	;; [unrolled: 1-line block ×7, first 2 shown]
	s_waitcnt lgkmcnt(1)
	v_dot4c_i32_i8_e32 v223, v128, v12
	v_mul_lo_u32 v224, v224, v207
	v_dot4c_i32_i8_e32 v223, v129, v13
	v_mad_u64_u32 v[224:225], s[20:21], v225, v208, v[224:225]
	v_cvt_f32_i32_e32 v224, v224
	v_dot4c_i32_i8_e32 v226, v84, v8
	v_dot4c_i32_i8_e32 v223, v126, v14
	;; [unrolled: 1-line block ×6, first 2 shown]
	s_waitcnt lgkmcnt(0)
	v_fma_f32 v227, v130, v224, 0
	v_mul_lo_u32 v224, v223, v210
	v_mad_u64_u32 v[224:225], s[20:21], v226, v209, v[224:225]
	v_cvt_f32_i32_e32 v223, v224
	v_mov_b32_e32 v224, 0
	v_dot4c_i32_i8_e32 v224, v80, v4
	v_mov_b32_e32 v225, 0
	v_dot4c_i32_i8_e32 v224, v81, v5
	v_dot4c_i32_i8_e32 v225, v76, v0
	;; [unrolled: 1-line block ×7, first 2 shown]
	v_fmac_f32_e32 v227, v131, v223
	v_mul_lo_u32 v224, v224, v211
	v_mov_b32_e32 v223, 0
	v_mad_u64_u32 v[224:225], s[20:21], v225, v212, v[224:225]
	v_dot4c_i32_i8_e32 v223, v88, v12
	v_mov_b32_e32 v226, 0
	v_cvt_f32_i32_e32 v224, v224
	v_dot4c_i32_i8_e32 v223, v89, v13
	v_dot4c_i32_i8_e32 v226, v104, v8
	;; [unrolled: 1-line block ×6, first 2 shown]
	v_fmac_f32_e32 v55, v203, v227
	v_dot4c_i32_i8_e32 v226, v101, v11
	v_fma_f32 v227, v130, v224, 0
	v_mul_lo_u32 v224, v223, v214
	s_nop 0
	v_mad_u64_u32 v[224:225], s[20:21], v226, v213, v[224:225]
	v_cvt_f32_i32_e32 v223, v224
	v_mov_b32_e32 v224, 0
	v_dot4c_i32_i8_e32 v224, v96, v4
	v_mov_b32_e32 v225, 0
	v_dot4c_i32_i8_e32 v224, v97, v5
	v_dot4c_i32_i8_e32 v225, v92, v0
	;; [unrolled: 1-line block ×7, first 2 shown]
	v_fmac_f32_e32 v227, v131, v223
	v_mul_lo_u32 v224, v224, v215
	v_mov_b32_e32 v223, 0
	v_mad_u64_u32 v[224:225], s[20:21], v225, v216, v[224:225]
	v_dot4c_i32_i8_e32 v223, v108, v12
	v_mov_b32_e32 v226, 0
	v_cvt_f32_i32_e32 v224, v224
	v_dot4c_i32_i8_e32 v223, v109, v13
	v_dot4c_i32_i8_e32 v226, v120, v8
	;; [unrolled: 1-line block ×6, first 2 shown]
	v_fmac_f32_e32 v53, v204, v227
	v_dot4c_i32_i8_e32 v226, v117, v11
	v_fma_f32 v227, v130, v224, 0
	v_mul_lo_u32 v224, v223, v218
	s_nop 0
	v_mad_u64_u32 v[224:225], s[20:21], v226, v217, v[224:225]
	v_cvt_f32_i32_e32 v223, v224
	v_mov_b32_e32 v224, 0
	v_mov_b32_e32 v225, 0
	;; [unrolled: 1-line block ×3, first 2 shown]
	v_fmac_f32_e32 v227, v131, v223
	v_mov_b32_e32 v223, 0
	v_dot4c_i32_i8_e32 v223, v118, v12
	v_mov_b32_e32 v12, 0
	v_dot4c_i32_i8_e32 v12, v124, v8
	;; [unrolled: 2-line block ×3, first 2 shown]
	v_dot4c_i32_i8_e32 v8, v113, v5
	v_mov_b32_e32 v5, 0
	v_dot4c_i32_i8_e32 v5, v102, v0
	v_dot4c_i32_i8_e32 v8, v110, v6
	v_dot4c_i32_i8_e32 v5, v103, v1
	v_dot4c_i32_i8_e32 v8, v111, v7
	v_dot4c_i32_i8_e32 v5, v98, v2
	v_dot4c_i32_i8_e32 v5, v99, v3
	v_dot4c_i32_i8_e32 v223, v119, v13
	v_mul_lo_u32 v4, v8, v219
	v_dot4c_i32_i8_e32 v223, v114, v14
	v_mad_u64_u32 v[0:1], s[20:21], v5, v220, v[4:5]
	v_cvt_f32_i32_e32 v0, v0
	v_dot4c_i32_i8_e32 v12, v125, v9
	v_dot4c_i32_i8_e32 v223, v115, v15
	;; [unrolled: 1-line block ×4, first 2 shown]
	v_fma_f32 v2, v130, v0, 0
	v_mul_lo_u32 v0, v223, v222
	v_mov_b32_e32 v223, 0
	v_mad_u64_u32 v[0:1], s[20:21], v12, v221, v[0:1]
	v_cvt_f32_i32_e32 v0, v0
	v_fmac_f32_e32 v51, v205, v227
	v_fmac_f32_e32 v2, v131, v0
	v_or_b32_e32 v0, s1, v178
	v_lshlrev_b32_e32 v12, 2, v0
	v_lshrrev_b32_e32 v130, 1, v0
	v_fmac_f32_e32 v49, v206, v2
	ds_read_b128 v[0:3], v12 offset:33280
	ds_read_b128 v[4:7], v12 offset:33296
	;; [unrolled: 1-line block ×4, first 2 shown]
	ds_read_b64 v[130:131], v130 offset:43584
	s_waitcnt lgkmcnt(4)
	v_dot4c_i32_i8_e32 v225, v68, v0
	s_waitcnt lgkmcnt(3)
	v_dot4c_i32_i8_e32 v224, v72, v4
	v_dot4c_i32_i8_e32 v224, v73, v5
	;; [unrolled: 1-line block ×7, first 2 shown]
	s_waitcnt lgkmcnt(1)
	v_dot4c_i32_i8_e32 v223, v128, v12
	v_mul_lo_u32 v224, v224, v207
	v_dot4c_i32_i8_e32 v223, v129, v13
	v_mad_u64_u32 v[224:225], s[20:21], v225, v208, v[224:225]
	v_cvt_f32_i32_e32 v224, v224
	v_dot4c_i32_i8_e32 v226, v84, v8
	v_dot4c_i32_i8_e32 v223, v126, v14
	;; [unrolled: 1-line block ×6, first 2 shown]
	s_waitcnt lgkmcnt(0)
	v_fma_f32 v227, v130, v224, 0
	v_mul_lo_u32 v224, v223, v210
	v_mad_u64_u32 v[224:225], s[20:21], v226, v209, v[224:225]
	v_cvt_f32_i32_e32 v223, v224
	v_mov_b32_e32 v224, 0
	v_dot4c_i32_i8_e32 v224, v80, v4
	v_mov_b32_e32 v225, 0
	v_dot4c_i32_i8_e32 v224, v81, v5
	v_dot4c_i32_i8_e32 v225, v76, v0
	;; [unrolled: 1-line block ×7, first 2 shown]
	v_fmac_f32_e32 v227, v131, v223
	v_mul_lo_u32 v224, v224, v211
	v_mov_b32_e32 v223, 0
	v_mad_u64_u32 v[224:225], s[20:21], v225, v212, v[224:225]
	v_dot4c_i32_i8_e32 v223, v88, v12
	v_mov_b32_e32 v226, 0
	v_cvt_f32_i32_e32 v224, v224
	v_dot4c_i32_i8_e32 v223, v89, v13
	v_dot4c_i32_i8_e32 v226, v104, v8
	;; [unrolled: 1-line block ×6, first 2 shown]
	v_fmac_f32_e32 v47, v203, v227
	v_dot4c_i32_i8_e32 v226, v101, v11
	v_fma_f32 v227, v130, v224, 0
	v_mul_lo_u32 v224, v223, v214
	s_nop 0
	v_mad_u64_u32 v[224:225], s[20:21], v226, v213, v[224:225]
	v_cvt_f32_i32_e32 v223, v224
	v_mov_b32_e32 v224, 0
	v_dot4c_i32_i8_e32 v224, v96, v4
	v_mov_b32_e32 v225, 0
	v_dot4c_i32_i8_e32 v224, v97, v5
	v_dot4c_i32_i8_e32 v225, v92, v0
	;; [unrolled: 1-line block ×7, first 2 shown]
	v_fmac_f32_e32 v227, v131, v223
	v_mul_lo_u32 v224, v224, v215
	v_mov_b32_e32 v223, 0
	v_mad_u64_u32 v[224:225], s[20:21], v225, v216, v[224:225]
	v_dot4c_i32_i8_e32 v223, v108, v12
	v_mov_b32_e32 v226, 0
	v_cvt_f32_i32_e32 v224, v224
	v_dot4c_i32_i8_e32 v223, v109, v13
	v_dot4c_i32_i8_e32 v226, v120, v8
	;; [unrolled: 1-line block ×6, first 2 shown]
	v_fmac_f32_e32 v45, v204, v227
	v_dot4c_i32_i8_e32 v226, v117, v11
	v_fma_f32 v227, v130, v224, 0
	v_mul_lo_u32 v224, v223, v218
	s_nop 0
	v_mad_u64_u32 v[224:225], s[20:21], v226, v217, v[224:225]
	v_cvt_f32_i32_e32 v223, v224
	v_mov_b32_e32 v224, 0
	v_mov_b32_e32 v225, 0
	;; [unrolled: 1-line block ×3, first 2 shown]
	v_fmac_f32_e32 v227, v131, v223
	v_mov_b32_e32 v223, 0
	v_dot4c_i32_i8_e32 v223, v118, v12
	v_mov_b32_e32 v12, 0
	v_dot4c_i32_i8_e32 v12, v124, v8
	;; [unrolled: 2-line block ×3, first 2 shown]
	v_dot4c_i32_i8_e32 v8, v113, v5
	v_mov_b32_e32 v5, 0
	v_dot4c_i32_i8_e32 v5, v102, v0
	v_dot4c_i32_i8_e32 v8, v110, v6
	;; [unrolled: 1-line block ×7, first 2 shown]
	v_mul_lo_u32 v4, v8, v219
	v_dot4c_i32_i8_e32 v223, v114, v14
	v_mad_u64_u32 v[0:1], s[20:21], v5, v220, v[4:5]
	v_cvt_f32_i32_e32 v0, v0
	v_dot4c_i32_i8_e32 v12, v125, v9
	v_dot4c_i32_i8_e32 v223, v115, v15
	;; [unrolled: 1-line block ×4, first 2 shown]
	v_fma_f32 v2, v130, v0, 0
	v_mul_lo_u32 v0, v223, v222
	v_mov_b32_e32 v223, 0
	v_mad_u64_u32 v[0:1], s[20:21], v12, v221, v[0:1]
	v_cvt_f32_i32_e32 v0, v0
	v_fmac_f32_e32 v43, v205, v227
	v_fmac_f32_e32 v2, v131, v0
	v_or_b32_e32 v0, s1, v181
	v_lshlrev_b32_e32 v12, 2, v0
	v_lshrrev_b32_e32 v130, 1, v0
	v_fmac_f32_e32 v41, v206, v2
	ds_read_b128 v[0:3], v12 offset:33280
	ds_read_b128 v[4:7], v12 offset:33296
	;; [unrolled: 1-line block ×4, first 2 shown]
	ds_read_b64 v[130:131], v130 offset:43584
	s_waitcnt lgkmcnt(4)
	v_dot4c_i32_i8_e32 v225, v68, v0
	s_waitcnt lgkmcnt(3)
	v_dot4c_i32_i8_e32 v224, v72, v4
	v_dot4c_i32_i8_e32 v224, v73, v5
	;; [unrolled: 1-line block ×7, first 2 shown]
	s_waitcnt lgkmcnt(1)
	v_dot4c_i32_i8_e32 v223, v128, v12
	v_mul_lo_u32 v224, v224, v207
	v_dot4c_i32_i8_e32 v223, v129, v13
	v_mad_u64_u32 v[224:225], s[20:21], v225, v208, v[224:225]
	v_cvt_f32_i32_e32 v224, v224
	v_dot4c_i32_i8_e32 v226, v84, v8
	v_dot4c_i32_i8_e32 v223, v126, v14
	;; [unrolled: 1-line block ×6, first 2 shown]
	s_waitcnt lgkmcnt(0)
	v_fma_f32 v227, v130, v224, 0
	v_mul_lo_u32 v224, v223, v210
	v_mad_u64_u32 v[224:225], s[20:21], v226, v209, v[224:225]
	v_cvt_f32_i32_e32 v223, v224
	v_mov_b32_e32 v224, 0
	v_dot4c_i32_i8_e32 v224, v80, v4
	v_mov_b32_e32 v225, 0
	v_dot4c_i32_i8_e32 v224, v81, v5
	v_dot4c_i32_i8_e32 v225, v76, v0
	;; [unrolled: 1-line block ×7, first 2 shown]
	v_fmac_f32_e32 v227, v131, v223
	v_mul_lo_u32 v224, v224, v211
	v_mov_b32_e32 v223, 0
	v_mad_u64_u32 v[224:225], s[20:21], v225, v212, v[224:225]
	v_dot4c_i32_i8_e32 v223, v88, v12
	v_mov_b32_e32 v226, 0
	v_cvt_f32_i32_e32 v224, v224
	v_dot4c_i32_i8_e32 v223, v89, v13
	v_dot4c_i32_i8_e32 v226, v104, v8
	;; [unrolled: 1-line block ×6, first 2 shown]
	v_fmac_f32_e32 v39, v203, v227
	v_dot4c_i32_i8_e32 v226, v101, v11
	v_fma_f32 v227, v130, v224, 0
	v_mul_lo_u32 v224, v223, v214
	s_nop 0
	v_mad_u64_u32 v[224:225], s[20:21], v226, v213, v[224:225]
	v_cvt_f32_i32_e32 v223, v224
	v_mov_b32_e32 v224, 0
	v_dot4c_i32_i8_e32 v224, v96, v4
	v_mov_b32_e32 v225, 0
	v_dot4c_i32_i8_e32 v224, v97, v5
	v_dot4c_i32_i8_e32 v225, v92, v0
	;; [unrolled: 1-line block ×7, first 2 shown]
	v_fmac_f32_e32 v227, v131, v223
	v_mul_lo_u32 v224, v224, v215
	v_mov_b32_e32 v223, 0
	v_mad_u64_u32 v[224:225], s[20:21], v225, v216, v[224:225]
	v_dot4c_i32_i8_e32 v223, v108, v12
	v_mov_b32_e32 v226, 0
	v_cvt_f32_i32_e32 v224, v224
	v_dot4c_i32_i8_e32 v223, v109, v13
	v_dot4c_i32_i8_e32 v226, v120, v8
	;; [unrolled: 1-line block ×6, first 2 shown]
	v_fmac_f32_e32 v37, v204, v227
	v_dot4c_i32_i8_e32 v226, v117, v11
	v_fma_f32 v227, v130, v224, 0
	v_mul_lo_u32 v224, v223, v218
	s_nop 0
	v_mad_u64_u32 v[224:225], s[20:21], v226, v217, v[224:225]
	v_cvt_f32_i32_e32 v223, v224
	v_mov_b32_e32 v224, 0
	v_mov_b32_e32 v225, 0
	;; [unrolled: 1-line block ×3, first 2 shown]
	v_fmac_f32_e32 v227, v131, v223
	v_mov_b32_e32 v223, 0
	v_dot4c_i32_i8_e32 v223, v118, v12
	v_mov_b32_e32 v12, 0
	v_dot4c_i32_i8_e32 v12, v124, v8
	;; [unrolled: 2-line block ×3, first 2 shown]
	v_dot4c_i32_i8_e32 v8, v113, v5
	v_mov_b32_e32 v5, 0
	v_dot4c_i32_i8_e32 v5, v102, v0
	v_dot4c_i32_i8_e32 v8, v110, v6
	v_dot4c_i32_i8_e32 v5, v103, v1
	v_dot4c_i32_i8_e32 v8, v111, v7
	v_dot4c_i32_i8_e32 v5, v98, v2
	v_dot4c_i32_i8_e32 v5, v99, v3
	v_dot4c_i32_i8_e32 v223, v119, v13
	v_mul_lo_u32 v4, v8, v219
	v_dot4c_i32_i8_e32 v223, v114, v14
	v_mad_u64_u32 v[0:1], s[20:21], v5, v220, v[4:5]
	v_cvt_f32_i32_e32 v0, v0
	v_dot4c_i32_i8_e32 v12, v125, v9
	v_dot4c_i32_i8_e32 v223, v115, v15
	;; [unrolled: 1-line block ×4, first 2 shown]
	v_fma_f32 v2, v130, v0, 0
	v_mul_lo_u32 v0, v223, v222
	v_mov_b32_e32 v223, 0
	v_mad_u64_u32 v[0:1], s[20:21], v12, v221, v[0:1]
	v_cvt_f32_i32_e32 v0, v0
	v_fmac_f32_e32 v35, v205, v227
	v_fmac_f32_e32 v2, v131, v0
	v_or_b32_e32 v0, s1, v184
	v_lshlrev_b32_e32 v12, 2, v0
	v_lshrrev_b32_e32 v130, 1, v0
	v_fmac_f32_e32 v33, v206, v2
	ds_read_b128 v[0:3], v12 offset:33280
	ds_read_b128 v[4:7], v12 offset:33296
	ds_read_b128 v[8:11], v12 offset:33312
	ds_read_b128 v[12:15], v12 offset:33328
	ds_read_b64 v[130:131], v130 offset:43584
	s_waitcnt lgkmcnt(4)
	v_dot4c_i32_i8_e32 v225, v68, v0
	s_waitcnt lgkmcnt(3)
	v_dot4c_i32_i8_e32 v224, v72, v4
	v_dot4c_i32_i8_e32 v224, v73, v5
	;; [unrolled: 1-line block ×7, first 2 shown]
	s_waitcnt lgkmcnt(1)
	v_dot4c_i32_i8_e32 v223, v128, v12
	v_mul_lo_u32 v224, v224, v207
	v_dot4c_i32_i8_e32 v223, v129, v13
	v_mad_u64_u32 v[224:225], s[20:21], v225, v208, v[224:225]
	v_cvt_f32_i32_e32 v224, v224
	v_dot4c_i32_i8_e32 v226, v84, v8
	v_dot4c_i32_i8_e32 v223, v126, v14
	;; [unrolled: 1-line block ×6, first 2 shown]
	s_waitcnt lgkmcnt(0)
	v_fma_f32 v227, v130, v224, 0
	v_mul_lo_u32 v224, v223, v210
	v_mad_u64_u32 v[224:225], s[20:21], v226, v209, v[224:225]
	v_cvt_f32_i32_e32 v223, v224
	v_mov_b32_e32 v224, 0
	v_dot4c_i32_i8_e32 v224, v80, v4
	v_mov_b32_e32 v225, 0
	v_dot4c_i32_i8_e32 v224, v81, v5
	v_dot4c_i32_i8_e32 v225, v76, v0
	;; [unrolled: 1-line block ×7, first 2 shown]
	v_fmac_f32_e32 v227, v131, v223
	v_mul_lo_u32 v224, v224, v211
	v_mov_b32_e32 v223, 0
	v_mad_u64_u32 v[224:225], s[20:21], v225, v212, v[224:225]
	v_dot4c_i32_i8_e32 v223, v88, v12
	v_mov_b32_e32 v226, 0
	v_cvt_f32_i32_e32 v224, v224
	v_dot4c_i32_i8_e32 v223, v89, v13
	v_dot4c_i32_i8_e32 v226, v104, v8
	;; [unrolled: 1-line block ×6, first 2 shown]
	v_fmac_f32_e32 v31, v203, v227
	v_dot4c_i32_i8_e32 v226, v101, v11
	v_fma_f32 v227, v130, v224, 0
	v_mul_lo_u32 v224, v223, v214
	s_nop 0
	v_mad_u64_u32 v[224:225], s[20:21], v226, v213, v[224:225]
	v_cvt_f32_i32_e32 v223, v224
	v_mov_b32_e32 v224, 0
	v_dot4c_i32_i8_e32 v224, v96, v4
	v_mov_b32_e32 v225, 0
	v_dot4c_i32_i8_e32 v224, v97, v5
	v_dot4c_i32_i8_e32 v225, v92, v0
	;; [unrolled: 1-line block ×7, first 2 shown]
	v_fmac_f32_e32 v227, v131, v223
	v_mul_lo_u32 v224, v224, v215
	v_mov_b32_e32 v223, 0
	v_mad_u64_u32 v[224:225], s[20:21], v225, v216, v[224:225]
	v_dot4c_i32_i8_e32 v223, v108, v12
	v_mov_b32_e32 v226, 0
	v_cvt_f32_i32_e32 v224, v224
	v_dot4c_i32_i8_e32 v223, v109, v13
	v_dot4c_i32_i8_e32 v226, v120, v8
	;; [unrolled: 1-line block ×6, first 2 shown]
	v_fmac_f32_e32 v29, v204, v227
	v_dot4c_i32_i8_e32 v226, v117, v11
	v_fma_f32 v227, v130, v224, 0
	v_mul_lo_u32 v224, v223, v218
	s_nop 0
	v_mad_u64_u32 v[224:225], s[20:21], v226, v217, v[224:225]
	v_cvt_f32_i32_e32 v223, v224
	v_fmac_f32_e32 v227, v131, v223
	v_mov_b32_e32 v223, 0
	v_dot4c_i32_i8_e32 v223, v118, v12
	v_mov_b32_e32 v12, 0
	v_dot4c_i32_i8_e32 v12, v124, v8
	v_mov_b32_e32 v8, 0
	v_dot4c_i32_i8_e32 v8, v112, v4
	v_dot4c_i32_i8_e32 v8, v113, v5
	v_mov_b32_e32 v5, 0
	v_dot4c_i32_i8_e32 v5, v102, v0
	v_dot4c_i32_i8_e32 v8, v110, v6
	;; [unrolled: 1-line block ×7, first 2 shown]
	v_mul_lo_u32 v4, v8, v219
	v_dot4c_i32_i8_e32 v223, v114, v14
	v_mad_u64_u32 v[0:1], s[20:21], v5, v220, v[4:5]
	v_cvt_f32_i32_e32 v0, v0
	v_dot4c_i32_i8_e32 v12, v125, v9
	v_dot4c_i32_i8_e32 v223, v115, v15
	;; [unrolled: 1-line block ×4, first 2 shown]
	v_fma_f32 v2, v130, v0, 0
	v_mul_lo_u32 v0, v223, v222
	v_mov_b32_e32 v223, 0
	v_mad_u64_u32 v[0:1], s[20:21], v12, v221, v[0:1]
	v_cvt_f32_i32_e32 v0, v0
	v_fmac_f32_e32 v27, v205, v227
	v_fmac_f32_e32 v2, v131, v0
	v_or_b32_e32 v0, s1, v187
	v_lshlrev_b32_e32 v12, 2, v0
	v_lshrrev_b32_e32 v130, 1, v0
	v_fmac_f32_e32 v25, v206, v2
	ds_read_b128 v[0:3], v12 offset:33280
	ds_read_b128 v[4:7], v12 offset:33296
	;; [unrolled: 1-line block ×4, first 2 shown]
	ds_read_b64 v[130:131], v130 offset:43584
	s_add_i32 s1, s0, 8
	s_cmp_lt_u32 s0, 24
	s_mov_b32 s0, s1
	s_waitcnt lgkmcnt(1)
	v_dot4c_i32_i8_e32 v223, v128, v12
	v_dot4c_i32_i8_e32 v223, v129, v13
	;; [unrolled: 1-line block ×3, first 2 shown]
	v_mov_b32_e32 v126, 0
	v_dot4c_i32_i8_e32 v126, v84, v8
	v_dot4c_i32_i8_e32 v126, v85, v9
	;; [unrolled: 1-line block ×3, first 2 shown]
	v_mov_b32_e32 v82, 0
	v_dot4c_i32_i8_e32 v82, v72, v4
	v_dot4c_i32_i8_e32 v82, v73, v5
	v_dot4c_i32_i8_e32 v82, v70, v6
	v_dot4c_i32_i8_e32 v82, v71, v7
	v_mov_b32_e32 v71, 0
	v_dot4c_i32_i8_e32 v71, v68, v0
	v_dot4c_i32_i8_e32 v71, v69, v1
	;; [unrolled: 1-line block ×3, first 2 shown]
	v_mul_lo_u32 v70, v82, v207
	v_dot4c_i32_i8_e32 v71, v67, v3
	v_dot4c_i32_i8_e32 v223, v127, v15
	;; [unrolled: 1-line block ×3, first 2 shown]
	v_mov_b32_e32 v69, 0
	v_mad_u64_u32 v[66:67], s[20:21], v71, v208, v[70:71]
	v_cvt_f32_i32_e32 v66, v66
	v_dot4c_i32_i8_e32 v69, v104, v8
	v_dot4c_i32_i8_e32 v69, v105, v9
	;; [unrolled: 1-line block ×3, first 2 shown]
	s_waitcnt lgkmcnt(0)
	v_fma_f32 v68, v130, v66, 0
	v_mul_lo_u32 v66, v223, v210
	v_mad_u64_u32 v[66:67], s[20:21], v126, v209, v[66:67]
	v_cvt_f32_i32_e32 v66, v66
	v_mov_b32_e32 v67, 0
	v_dot4c_i32_i8_e32 v67, v76, v0
	v_dot4c_i32_i8_e32 v67, v77, v1
	v_fmac_f32_e32 v68, v131, v66
	v_mov_b32_e32 v66, 0
	v_dot4c_i32_i8_e32 v66, v80, v4
	v_dot4c_i32_i8_e32 v66, v81, v5
	;; [unrolled: 1-line block ×6, first 2 shown]
	v_fmac_f32_e32 v23, v203, v68
	v_mul_lo_u32 v66, v66, v211
	v_mov_b32_e32 v68, 0
	v_mad_u64_u32 v[66:67], s[20:21], v67, v212, v[66:67]
	v_dot4c_i32_i8_e32 v68, v88, v12
	v_cvt_f32_i32_e32 v66, v66
	v_dot4c_i32_i8_e32 v68, v89, v13
	v_dot4c_i32_i8_e32 v68, v86, v14
	;; [unrolled: 1-line block ×4, first 2 shown]
	v_fma_f32 v70, v130, v66, 0
	s_nop 0
	v_mul_lo_u32 v66, v68, v214
	v_mad_u64_u32 v[66:67], s[20:21], v69, v213, v[66:67]
	v_cvt_f32_i32_e32 v66, v66
	v_mov_b32_e32 v67, 0
	v_dot4c_i32_i8_e32 v67, v92, v0
	v_dot4c_i32_i8_e32 v67, v93, v1
	v_fmac_f32_e32 v70, v131, v66
	v_mov_b32_e32 v66, 0
	v_dot4c_i32_i8_e32 v66, v96, v4
	v_dot4c_i32_i8_e32 v66, v97, v5
	;; [unrolled: 1-line block ×6, first 2 shown]
	v_mov_b32_e32 v68, 0
	v_mul_lo_u32 v66, v66, v215
	v_dot4c_i32_i8_e32 v68, v108, v12
	v_mad_u64_u32 v[66:67], s[20:21], v67, v216, v[66:67]
	v_mov_b32_e32 v69, 0
	v_cvt_f32_i32_e32 v66, v66
	v_dot4c_i32_i8_e32 v68, v109, v13
	v_dot4c_i32_i8_e32 v69, v120, v8
	;; [unrolled: 1-line block ×6, first 2 shown]
	v_fmac_f32_e32 v21, v204, v70
	v_dot4c_i32_i8_e32 v69, v117, v11
	v_fma_f32 v70, v130, v66, 0
	v_mul_lo_u32 v66, v68, v218
	s_nop 0
	v_mad_u64_u32 v[66:67], s[20:21], v69, v217, v[66:67]
	v_cvt_f32_i32_e32 v66, v66
	v_fmac_f32_e32 v70, v131, v66
	v_mov_b32_e32 v66, 0
	v_dot4c_i32_i8_e32 v66, v118, v12
	v_mov_b32_e32 v12, 0
	v_dot4c_i32_i8_e32 v12, v124, v8
	;; [unrolled: 2-line block ×3, first 2 shown]
	v_dot4c_i32_i8_e32 v8, v113, v5
	v_mov_b32_e32 v5, 0
	v_dot4c_i32_i8_e32 v5, v102, v0
	v_dot4c_i32_i8_e32 v8, v110, v6
	v_dot4c_i32_i8_e32 v5, v103, v1
	v_dot4c_i32_i8_e32 v8, v111, v7
	v_dot4c_i32_i8_e32 v5, v98, v2
	v_dot4c_i32_i8_e32 v5, v99, v3
	v_dot4c_i32_i8_e32 v66, v119, v13
	v_mul_lo_u32 v4, v8, v219
	v_dot4c_i32_i8_e32 v66, v114, v14
	v_mad_u64_u32 v[0:1], s[20:21], v5, v220, v[4:5]
	v_cvt_f32_i32_e32 v0, v0
	v_dot4c_i32_i8_e32 v12, v125, v9
	v_dot4c_i32_i8_e32 v66, v115, v15
	;; [unrolled: 1-line block ×4, first 2 shown]
	v_fma_f32 v2, v130, v0, 0
	v_mul_lo_u32 v0, v66, v222
	v_fmac_f32_e32 v19, v205, v70
	v_mad_u64_u32 v[0:1], s[20:21], v12, v221, v[0:1]
	v_cvt_f32_i32_e32 v0, v0
	v_fmac_f32_e32 v2, v131, v0
	v_fmac_f32_e32 v17, v206, v2
	s_cbranch_scc1 .LBB175_8
; %bb.9:                                ;   in Loop: Header=BB175_5 Depth=1
	s_add_i32 s14, s14, 1
	s_cmp_eq_u32 s14, s4
	s_barrier
	s_cbranch_scc0 .LBB175_5
; %bb.10:
	v_mov_b32_e32 v1, v133
.LBB175_11:
	v_cmp_gt_u32_e32 vcc, s8, v136
	s_and_saveexec_b64 s[0:1], vcc
	s_cbranch_execz .LBB175_62
; %bb.12:
	v_add_u32_e32 v0, s6, v132
	v_mul_lo_u32 v5, v136, s10
	v_cmp_gt_u32_e32 vcc, s10, v0
	s_and_saveexec_b64 s[2:3], vcc
	s_cbranch_execz .LBB175_14
; %bb.13:
	v_bfe_u32 v2, v165, 16, 1
	s_movk_i32 s0, 0x7fff
	v_add3_u32 v2, v165, v2, s0
	v_lshrrev_b32_e32 v2, 16, v2
	v_mov_b32_e32 v3, 0x7fc0
	v_cmp_o_f32_e64 s[0:1], v165, v165
	v_cndmask_b32_e64 v4, v3, v2, s[0:1]
	v_add_u32_e32 v2, v0, v5
	v_mov_b32_e32 v3, 0
	v_lshlrev_b64 v[2:3], 1, v[2:3]
	s_waitcnt lgkmcnt(0)
	v_mov_b32_e32 v6, s13
	v_add_co_u32_e64 v2, s[0:1], s12, v2
	v_addc_co_u32_e64 v3, s[0:1], v6, v3, s[0:1]
	global_store_short v[2:3], v4, off
.LBB175_14:
	s_or_b64 exec, exec, s[2:3]
	v_add_u32_e32 v2, 32, v0
	v_cmp_gt_u32_e64 s[0:1], s10, v2
	s_and_saveexec_b64 s[4:5], s[0:1]
	s_cbranch_execz .LBB175_16
; %bb.15:
	v_bfe_u32 v3, v160, 16, 1
	s_movk_i32 s2, 0x7fff
	v_add3_u32 v3, v160, v3, s2
	v_add_u32_e32 v6, v2, v5
	v_mov_b32_e32 v7, 0
	v_lshrrev_b32_e32 v3, 16, v3
	v_mov_b32_e32 v4, 0x7fc0
	v_cmp_o_f32_e64 s[2:3], v160, v160
	v_lshlrev_b64 v[6:7], 1, v[6:7]
	v_cndmask_b32_e64 v3, v4, v3, s[2:3]
	s_waitcnt lgkmcnt(0)
	v_mov_b32_e32 v4, s13
	v_add_co_u32_e64 v6, s[2:3], s12, v6
	v_addc_co_u32_e64 v7, s[2:3], v4, v7, s[2:3]
	global_store_short v[6:7], v3, off
.LBB175_16:
	s_or_b64 exec, exec, s[4:5]
	v_add_u32_e32 v3, 64, v0
	v_cmp_gt_u32_e64 s[2:3], s10, v3
	s_and_saveexec_b64 s[6:7], s[2:3]
	s_cbranch_execz .LBB175_18
; %bb.17:
	v_bfe_u32 v4, v154, 16, 1
	s_movk_i32 s4, 0x7fff
	v_add3_u32 v4, v154, v4, s4
	v_lshrrev_b32_e32 v4, 16, v4
	v_mov_b32_e32 v6, 0x7fc0
	v_cmp_o_f32_e64 s[4:5], v154, v154
	v_cndmask_b32_e64 v4, v6, v4, s[4:5]
	v_add_u32_e32 v6, v3, v5
	v_mov_b32_e32 v7, 0
	v_lshlrev_b64 v[6:7], 1, v[6:7]
	s_waitcnt lgkmcnt(0)
	v_mov_b32_e32 v8, s13
	v_add_co_u32_e64 v6, s[4:5], s12, v6
	v_addc_co_u32_e64 v7, s[4:5], v8, v7, s[4:5]
	global_store_short v[6:7], v4, off
.LBB175_18:
	s_or_b64 exec, exec, s[6:7]
	v_add_u32_e32 v4, 0x60, v0
	v_cmp_gt_u32_e64 s[4:5], s10, v4
	s_and_saveexec_b64 s[14:15], s[4:5]
	s_cbranch_execz .LBB175_20
; %bb.19:
	v_bfe_u32 v6, v143, 16, 1
	s_movk_i32 s6, 0x7fff
	v_add3_u32 v6, v143, v6, s6
	v_lshrrev_b32_e32 v6, 16, v6
	v_mov_b32_e32 v7, 0x7fc0
	v_cmp_o_f32_e64 s[6:7], v143, v143
	v_cndmask_b32_e64 v8, v7, v6, s[6:7]
	v_add_u32_e32 v6, v4, v5
	v_mov_b32_e32 v7, 0
	v_lshlrev_b64 v[6:7], 1, v[6:7]
	s_waitcnt lgkmcnt(0)
	v_mov_b32_e32 v5, s13
	v_add_co_u32_e64 v6, s[6:7], s12, v6
	v_addc_co_u32_e64 v7, s[6:7], v5, v7, s[6:7]
	global_store_short v[6:7], v8, off
.LBB175_20:
	s_or_b64 exec, exec, s[14:15]
	v_add3_u32 v5, v1, s11, 8
	v_cmp_gt_u32_e64 s[6:7], s8, v5
	s_and_b64 exec, exec, s[6:7]
	s_cbranch_execz .LBB175_62
; %bb.21:
	v_mul_lo_u32 v5, v5, s10
	s_and_saveexec_b64 s[14:15], vcc
	s_cbranch_execnz .LBB175_63
; %bb.22:
	s_or_b64 exec, exec, s[14:15]
	s_and_saveexec_b64 s[14:15], s[0:1]
	s_cbranch_execnz .LBB175_64
.LBB175_23:
	s_or_b64 exec, exec, s[14:15]
	s_and_saveexec_b64 s[14:15], s[2:3]
	s_cbranch_execnz .LBB175_65
.LBB175_24:
	s_or_b64 exec, exec, s[14:15]
	s_and_saveexec_b64 s[14:15], s[4:5]
	s_cbranch_execz .LBB175_26
.LBB175_25:
	v_bfe_u32 v6, v134, 16, 1
	s_movk_i32 s6, 0x7fff
	v_add3_u32 v6, v134, v6, s6
	v_lshrrev_b32_e32 v6, 16, v6
	v_mov_b32_e32 v7, 0x7fc0
	v_cmp_o_f32_e64 s[6:7], v134, v134
	v_cndmask_b32_e64 v8, v7, v6, s[6:7]
	v_add_u32_e32 v6, v5, v4
	v_mov_b32_e32 v7, 0
	v_lshlrev_b64 v[6:7], 1, v[6:7]
	s_waitcnt lgkmcnt(0)
	v_mov_b32_e32 v5, s13
	v_add_co_u32_e64 v6, s[6:7], s12, v6
	v_addc_co_u32_e64 v7, s[6:7], v5, v7, s[6:7]
	global_store_short v[6:7], v8, off
.LBB175_26:
	s_or_b64 exec, exec, s[14:15]
	v_add3_u32 v5, v1, s11, 16
	v_cmp_gt_u32_e64 s[6:7], s8, v5
	s_and_b64 exec, exec, s[6:7]
	s_cbranch_execz .LBB175_62
; %bb.27:
	v_mul_lo_u32 v5, v5, s10
	s_and_saveexec_b64 s[14:15], vcc
	s_cbranch_execnz .LBB175_66
; %bb.28:
	s_or_b64 exec, exec, s[14:15]
	s_and_saveexec_b64 s[14:15], s[0:1]
	s_cbranch_execnz .LBB175_67
.LBB175_29:
	s_or_b64 exec, exec, s[14:15]
	s_and_saveexec_b64 s[14:15], s[2:3]
	s_cbranch_execnz .LBB175_68
.LBB175_30:
	s_or_b64 exec, exec, s[14:15]
	s_and_saveexec_b64 s[14:15], s[4:5]
	s_cbranch_execz .LBB175_32
.LBB175_31:
	v_bfe_u32 v6, v57, 16, 1
	s_movk_i32 s6, 0x7fff
	v_add3_u32 v6, v57, v6, s6
	v_lshrrev_b32_e32 v6, 16, v6
	v_mov_b32_e32 v7, 0x7fc0
	v_cmp_o_f32_e64 s[6:7], v57, v57
	v_cndmask_b32_e64 v8, v7, v6, s[6:7]
	v_add_u32_e32 v6, v5, v4
	v_mov_b32_e32 v7, 0
	v_lshlrev_b64 v[6:7], 1, v[6:7]
	s_waitcnt lgkmcnt(0)
	v_mov_b32_e32 v5, s13
	v_add_co_u32_e64 v6, s[6:7], s12, v6
	v_addc_co_u32_e64 v7, s[6:7], v5, v7, s[6:7]
	global_store_short v[6:7], v8, off
.LBB175_32:
	s_or_b64 exec, exec, s[14:15]
	v_add3_u32 v5, v1, s11, 24
	v_cmp_gt_u32_e64 s[6:7], s8, v5
	s_and_b64 exec, exec, s[6:7]
	s_cbranch_execz .LBB175_62
; %bb.33:
	v_mul_lo_u32 v5, v5, s10
	s_and_saveexec_b64 s[14:15], vcc
	s_cbranch_execnz .LBB175_69
; %bb.34:
	s_or_b64 exec, exec, s[14:15]
	s_and_saveexec_b64 s[14:15], s[0:1]
	s_cbranch_execnz .LBB175_70
.LBB175_35:
	s_or_b64 exec, exec, s[14:15]
	s_and_saveexec_b64 s[14:15], s[2:3]
	s_cbranch_execnz .LBB175_71
.LBB175_36:
	s_or_b64 exec, exec, s[14:15]
	s_and_saveexec_b64 s[14:15], s[4:5]
	s_cbranch_execz .LBB175_38
.LBB175_37:
	v_bfe_u32 v6, v49, 16, 1
	s_movk_i32 s6, 0x7fff
	v_add3_u32 v6, v49, v6, s6
	v_lshrrev_b32_e32 v6, 16, v6
	v_mov_b32_e32 v7, 0x7fc0
	v_cmp_o_f32_e64 s[6:7], v49, v49
	v_cndmask_b32_e64 v8, v7, v6, s[6:7]
	v_add_u32_e32 v6, v5, v4
	v_mov_b32_e32 v7, 0
	v_lshlrev_b64 v[6:7], 1, v[6:7]
	s_waitcnt lgkmcnt(0)
	v_mov_b32_e32 v5, s13
	v_add_co_u32_e64 v6, s[6:7], s12, v6
	v_addc_co_u32_e64 v7, s[6:7], v5, v7, s[6:7]
	global_store_short v[6:7], v8, off
.LBB175_38:
	s_or_b64 exec, exec, s[14:15]
	v_add3_u32 v5, v1, s11, 32
	v_cmp_gt_u32_e64 s[6:7], s8, v5
	s_and_b64 exec, exec, s[6:7]
	s_cbranch_execz .LBB175_62
; %bb.39:
	v_mul_lo_u32 v5, v5, s10
	s_and_saveexec_b64 s[14:15], vcc
	s_cbranch_execnz .LBB175_72
; %bb.40:
	s_or_b64 exec, exec, s[14:15]
	s_and_saveexec_b64 s[14:15], s[0:1]
	s_cbranch_execnz .LBB175_73
.LBB175_41:
	s_or_b64 exec, exec, s[14:15]
	s_and_saveexec_b64 s[14:15], s[2:3]
	s_cbranch_execnz .LBB175_74
.LBB175_42:
	s_or_b64 exec, exec, s[14:15]
	s_and_saveexec_b64 s[14:15], s[4:5]
	s_cbranch_execz .LBB175_44
.LBB175_43:
	v_bfe_u32 v6, v41, 16, 1
	s_movk_i32 s6, 0x7fff
	v_add3_u32 v6, v41, v6, s6
	v_lshrrev_b32_e32 v6, 16, v6
	v_mov_b32_e32 v7, 0x7fc0
	v_cmp_o_f32_e64 s[6:7], v41, v41
	v_cndmask_b32_e64 v8, v7, v6, s[6:7]
	v_add_u32_e32 v6, v5, v4
	v_mov_b32_e32 v7, 0
	v_lshlrev_b64 v[6:7], 1, v[6:7]
	s_waitcnt lgkmcnt(0)
	v_mov_b32_e32 v5, s13
	v_add_co_u32_e64 v6, s[6:7], s12, v6
	v_addc_co_u32_e64 v7, s[6:7], v5, v7, s[6:7]
	global_store_short v[6:7], v8, off
.LBB175_44:
	s_or_b64 exec, exec, s[14:15]
	v_add3_u32 v5, v1, s11, 40
	v_cmp_gt_u32_e64 s[6:7], s8, v5
	s_and_b64 exec, exec, s[6:7]
	s_cbranch_execz .LBB175_62
; %bb.45:
	v_mul_lo_u32 v5, v5, s10
	s_and_saveexec_b64 s[14:15], vcc
	s_cbranch_execnz .LBB175_75
; %bb.46:
	s_or_b64 exec, exec, s[14:15]
	s_and_saveexec_b64 s[14:15], s[0:1]
	s_cbranch_execnz .LBB175_76
.LBB175_47:
	s_or_b64 exec, exec, s[14:15]
	s_and_saveexec_b64 s[14:15], s[2:3]
	s_cbranch_execnz .LBB175_77
.LBB175_48:
	s_or_b64 exec, exec, s[14:15]
	s_and_saveexec_b64 s[14:15], s[4:5]
	s_cbranch_execz .LBB175_50
.LBB175_49:
	v_bfe_u32 v6, v33, 16, 1
	s_movk_i32 s6, 0x7fff
	v_add3_u32 v6, v33, v6, s6
	v_lshrrev_b32_e32 v6, 16, v6
	v_mov_b32_e32 v7, 0x7fc0
	v_cmp_o_f32_e64 s[6:7], v33, v33
	v_cndmask_b32_e64 v8, v7, v6, s[6:7]
	v_add_u32_e32 v6, v5, v4
	v_mov_b32_e32 v7, 0
	v_lshlrev_b64 v[6:7], 1, v[6:7]
	s_waitcnt lgkmcnt(0)
	v_mov_b32_e32 v5, s13
	v_add_co_u32_e64 v6, s[6:7], s12, v6
	v_addc_co_u32_e64 v7, s[6:7], v5, v7, s[6:7]
	global_store_short v[6:7], v8, off
.LBB175_50:
	s_or_b64 exec, exec, s[14:15]
	v_add3_u32 v5, v1, s11, 48
	v_cmp_gt_u32_e64 s[6:7], s8, v5
	s_and_b64 exec, exec, s[6:7]
	s_cbranch_execz .LBB175_62
; %bb.51:
	v_mul_lo_u32 v5, v5, s10
	s_and_saveexec_b64 s[14:15], vcc
	s_cbranch_execnz .LBB175_78
; %bb.52:
	s_or_b64 exec, exec, s[14:15]
	s_and_saveexec_b64 s[14:15], s[0:1]
	s_cbranch_execnz .LBB175_79
.LBB175_53:
	s_or_b64 exec, exec, s[14:15]
	s_and_saveexec_b64 s[14:15], s[2:3]
	s_cbranch_execnz .LBB175_80
.LBB175_54:
	s_or_b64 exec, exec, s[14:15]
	s_and_saveexec_b64 s[14:15], s[4:5]
	s_cbranch_execz .LBB175_56
.LBB175_55:
	v_bfe_u32 v6, v25, 16, 1
	s_movk_i32 s6, 0x7fff
	v_add3_u32 v6, v25, v6, s6
	v_lshrrev_b32_e32 v6, 16, v6
	v_mov_b32_e32 v7, 0x7fc0
	v_cmp_o_f32_e64 s[6:7], v25, v25
	v_cndmask_b32_e64 v8, v7, v6, s[6:7]
	v_add_u32_e32 v6, v5, v4
	v_mov_b32_e32 v7, 0
	v_lshlrev_b64 v[6:7], 1, v[6:7]
	s_waitcnt lgkmcnt(0)
	v_mov_b32_e32 v5, s13
	v_add_co_u32_e64 v6, s[6:7], s12, v6
	v_addc_co_u32_e64 v7, s[6:7], v5, v7, s[6:7]
	global_store_short v[6:7], v8, off
.LBB175_56:
	s_or_b64 exec, exec, s[14:15]
	v_add3_u32 v1, v1, s11, 56
	v_cmp_gt_u32_e64 s[6:7], s8, v1
	s_and_b64 exec, exec, s[6:7]
	s_cbranch_execz .LBB175_62
; %bb.57:
	v_mul_lo_u32 v1, v1, s10
	s_and_saveexec_b64 s[6:7], vcc
	s_cbranch_execnz .LBB175_81
; %bb.58:
	s_or_b64 exec, exec, s[6:7]
	s_and_saveexec_b64 s[6:7], s[0:1]
	s_cbranch_execnz .LBB175_82
.LBB175_59:
	s_or_b64 exec, exec, s[6:7]
	s_and_saveexec_b64 s[0:1], s[2:3]
	s_cbranch_execnz .LBB175_83
.LBB175_60:
	s_or_b64 exec, exec, s[0:1]
	s_and_b64 exec, exec, s[4:5]
	s_cbranch_execz .LBB175_62
.LBB175_61:
	v_bfe_u32 v0, v17, 16, 1
	s_movk_i32 s0, 0x7fff
	v_add3_u32 v0, v17, v0, s0
	v_lshrrev_b32_e32 v0, 16, v0
	v_mov_b32_e32 v2, 0x7fc0
	v_cmp_o_f32_e32 vcc, v17, v17
	v_cndmask_b32_e32 v2, v2, v0, vcc
	v_add_u32_e32 v0, v1, v4
	v_mov_b32_e32 v1, 0
	v_lshlrev_b64 v[0:1], 1, v[0:1]
	s_waitcnt lgkmcnt(0)
	v_mov_b32_e32 v3, s13
	v_add_co_u32_e32 v0, vcc, s12, v0
	v_addc_co_u32_e32 v1, vcc, v3, v1, vcc
	global_store_short v[0:1], v2, off
.LBB175_62:
	s_endpgm
.LBB175_63:
	v_bfe_u32 v6, v138, 16, 1
	s_movk_i32 s6, 0x7fff
	v_add3_u32 v6, v138, v6, s6
	v_lshrrev_b32_e32 v6, 16, v6
	v_mov_b32_e32 v7, 0x7fc0
	v_cmp_o_f32_e64 s[6:7], v138, v138
	v_cndmask_b32_e64 v8, v7, v6, s[6:7]
	v_add_u32_e32 v6, v5, v0
	v_mov_b32_e32 v7, 0
	v_lshlrev_b64 v[6:7], 1, v[6:7]
	s_waitcnt lgkmcnt(0)
	v_mov_b32_e32 v9, s13
	v_add_co_u32_e64 v6, s[6:7], s12, v6
	v_addc_co_u32_e64 v7, s[6:7], v9, v7, s[6:7]
	global_store_short v[6:7], v8, off
	s_or_b64 exec, exec, s[14:15]
	s_and_saveexec_b64 s[14:15], s[0:1]
	s_cbranch_execz .LBB175_23
.LBB175_64:
	v_bfe_u32 v6, v137, 16, 1
	s_movk_i32 s6, 0x7fff
	v_add3_u32 v6, v137, v6, s6
	v_lshrrev_b32_e32 v6, 16, v6
	v_mov_b32_e32 v7, 0x7fc0
	v_cmp_o_f32_e64 s[6:7], v137, v137
	v_cndmask_b32_e64 v8, v7, v6, s[6:7]
	v_add_u32_e32 v6, v5, v2
	v_mov_b32_e32 v7, 0
	v_lshlrev_b64 v[6:7], 1, v[6:7]
	s_waitcnt lgkmcnt(0)
	v_mov_b32_e32 v9, s13
	v_add_co_u32_e64 v6, s[6:7], s12, v6
	v_addc_co_u32_e64 v7, s[6:7], v9, v7, s[6:7]
	global_store_short v[6:7], v8, off
	s_or_b64 exec, exec, s[14:15]
	s_and_saveexec_b64 s[14:15], s[2:3]
	s_cbranch_execz .LBB175_24
.LBB175_65:
	v_bfe_u32 v6, v135, 16, 1
	s_movk_i32 s6, 0x7fff
	v_add3_u32 v6, v135, v6, s6
	v_lshrrev_b32_e32 v6, 16, v6
	v_mov_b32_e32 v7, 0x7fc0
	v_cmp_o_f32_e64 s[6:7], v135, v135
	v_cndmask_b32_e64 v8, v7, v6, s[6:7]
	v_add_u32_e32 v6, v5, v3
	v_mov_b32_e32 v7, 0
	v_lshlrev_b64 v[6:7], 1, v[6:7]
	s_waitcnt lgkmcnt(0)
	v_mov_b32_e32 v9, s13
	v_add_co_u32_e64 v6, s[6:7], s12, v6
	v_addc_co_u32_e64 v7, s[6:7], v9, v7, s[6:7]
	global_store_short v[6:7], v8, off
	s_or_b64 exec, exec, s[14:15]
	s_and_saveexec_b64 s[14:15], s[4:5]
	s_cbranch_execnz .LBB175_25
	s_branch .LBB175_26
.LBB175_66:
	v_bfe_u32 v6, v65, 16, 1
	s_movk_i32 s6, 0x7fff
	v_add3_u32 v6, v65, v6, s6
	v_lshrrev_b32_e32 v6, 16, v6
	v_mov_b32_e32 v7, 0x7fc0
	v_cmp_o_f32_e64 s[6:7], v65, v65
	v_cndmask_b32_e64 v8, v7, v6, s[6:7]
	v_add_u32_e32 v6, v5, v0
	v_mov_b32_e32 v7, 0
	v_lshlrev_b64 v[6:7], 1, v[6:7]
	s_waitcnt lgkmcnt(0)
	v_mov_b32_e32 v9, s13
	v_add_co_u32_e64 v6, s[6:7], s12, v6
	v_addc_co_u32_e64 v7, s[6:7], v9, v7, s[6:7]
	global_store_short v[6:7], v8, off
	s_or_b64 exec, exec, s[14:15]
	s_and_saveexec_b64 s[14:15], s[0:1]
	s_cbranch_execz .LBB175_29
.LBB175_67:
	v_bfe_u32 v6, v61, 16, 1
	s_movk_i32 s6, 0x7fff
	v_add3_u32 v6, v61, v6, s6
	v_lshrrev_b32_e32 v6, 16, v6
	v_mov_b32_e32 v7, 0x7fc0
	v_cmp_o_f32_e64 s[6:7], v61, v61
	v_cndmask_b32_e64 v8, v7, v6, s[6:7]
	v_add_u32_e32 v6, v5, v2
	v_mov_b32_e32 v7, 0
	v_lshlrev_b64 v[6:7], 1, v[6:7]
	s_waitcnt lgkmcnt(0)
	v_mov_b32_e32 v9, s13
	v_add_co_u32_e64 v6, s[6:7], s12, v6
	v_addc_co_u32_e64 v7, s[6:7], v9, v7, s[6:7]
	global_store_short v[6:7], v8, off
	s_or_b64 exec, exec, s[14:15]
	s_and_saveexec_b64 s[14:15], s[2:3]
	s_cbranch_execz .LBB175_30
.LBB175_68:
	v_bfe_u32 v6, v59, 16, 1
	s_movk_i32 s6, 0x7fff
	v_add3_u32 v6, v59, v6, s6
	v_lshrrev_b32_e32 v6, 16, v6
	v_mov_b32_e32 v7, 0x7fc0
	v_cmp_o_f32_e64 s[6:7], v59, v59
	v_cndmask_b32_e64 v8, v7, v6, s[6:7]
	v_add_u32_e32 v6, v5, v3
	v_mov_b32_e32 v7, 0
	v_lshlrev_b64 v[6:7], 1, v[6:7]
	s_waitcnt lgkmcnt(0)
	v_mov_b32_e32 v9, s13
	v_add_co_u32_e64 v6, s[6:7], s12, v6
	v_addc_co_u32_e64 v7, s[6:7], v9, v7, s[6:7]
	global_store_short v[6:7], v8, off
	s_or_b64 exec, exec, s[14:15]
	s_and_saveexec_b64 s[14:15], s[4:5]
	s_cbranch_execnz .LBB175_31
	s_branch .LBB175_32
.LBB175_69:
	v_bfe_u32 v6, v55, 16, 1
	s_movk_i32 s6, 0x7fff
	v_add3_u32 v6, v55, v6, s6
	v_lshrrev_b32_e32 v6, 16, v6
	v_mov_b32_e32 v7, 0x7fc0
	v_cmp_o_f32_e64 s[6:7], v55, v55
	v_cndmask_b32_e64 v8, v7, v6, s[6:7]
	v_add_u32_e32 v6, v5, v0
	v_mov_b32_e32 v7, 0
	v_lshlrev_b64 v[6:7], 1, v[6:7]
	s_waitcnt lgkmcnt(0)
	v_mov_b32_e32 v9, s13
	v_add_co_u32_e64 v6, s[6:7], s12, v6
	v_addc_co_u32_e64 v7, s[6:7], v9, v7, s[6:7]
	global_store_short v[6:7], v8, off
	s_or_b64 exec, exec, s[14:15]
	s_and_saveexec_b64 s[14:15], s[0:1]
	s_cbranch_execz .LBB175_35
.LBB175_70:
	v_bfe_u32 v6, v53, 16, 1
	s_movk_i32 s6, 0x7fff
	v_add3_u32 v6, v53, v6, s6
	v_lshrrev_b32_e32 v6, 16, v6
	v_mov_b32_e32 v7, 0x7fc0
	v_cmp_o_f32_e64 s[6:7], v53, v53
	v_cndmask_b32_e64 v8, v7, v6, s[6:7]
	v_add_u32_e32 v6, v5, v2
	v_mov_b32_e32 v7, 0
	v_lshlrev_b64 v[6:7], 1, v[6:7]
	s_waitcnt lgkmcnt(0)
	v_mov_b32_e32 v9, s13
	v_add_co_u32_e64 v6, s[6:7], s12, v6
	v_addc_co_u32_e64 v7, s[6:7], v9, v7, s[6:7]
	global_store_short v[6:7], v8, off
	s_or_b64 exec, exec, s[14:15]
	s_and_saveexec_b64 s[14:15], s[2:3]
	s_cbranch_execz .LBB175_36
.LBB175_71:
	v_bfe_u32 v6, v51, 16, 1
	s_movk_i32 s6, 0x7fff
	v_add3_u32 v6, v51, v6, s6
	v_lshrrev_b32_e32 v6, 16, v6
	v_mov_b32_e32 v7, 0x7fc0
	v_cmp_o_f32_e64 s[6:7], v51, v51
	v_cndmask_b32_e64 v8, v7, v6, s[6:7]
	v_add_u32_e32 v6, v5, v3
	v_mov_b32_e32 v7, 0
	v_lshlrev_b64 v[6:7], 1, v[6:7]
	s_waitcnt lgkmcnt(0)
	v_mov_b32_e32 v9, s13
	v_add_co_u32_e64 v6, s[6:7], s12, v6
	v_addc_co_u32_e64 v7, s[6:7], v9, v7, s[6:7]
	global_store_short v[6:7], v8, off
	s_or_b64 exec, exec, s[14:15]
	s_and_saveexec_b64 s[14:15], s[4:5]
	s_cbranch_execnz .LBB175_37
	s_branch .LBB175_38
.LBB175_72:
	v_bfe_u32 v6, v47, 16, 1
	s_movk_i32 s6, 0x7fff
	v_add3_u32 v6, v47, v6, s6
	v_lshrrev_b32_e32 v6, 16, v6
	v_mov_b32_e32 v7, 0x7fc0
	v_cmp_o_f32_e64 s[6:7], v47, v47
	v_cndmask_b32_e64 v8, v7, v6, s[6:7]
	v_add_u32_e32 v6, v5, v0
	v_mov_b32_e32 v7, 0
	v_lshlrev_b64 v[6:7], 1, v[6:7]
	s_waitcnt lgkmcnt(0)
	v_mov_b32_e32 v9, s13
	v_add_co_u32_e64 v6, s[6:7], s12, v6
	v_addc_co_u32_e64 v7, s[6:7], v9, v7, s[6:7]
	global_store_short v[6:7], v8, off
	s_or_b64 exec, exec, s[14:15]
	s_and_saveexec_b64 s[14:15], s[0:1]
	s_cbranch_execz .LBB175_41
.LBB175_73:
	v_bfe_u32 v6, v45, 16, 1
	s_movk_i32 s6, 0x7fff
	v_add3_u32 v6, v45, v6, s6
	v_lshrrev_b32_e32 v6, 16, v6
	v_mov_b32_e32 v7, 0x7fc0
	v_cmp_o_f32_e64 s[6:7], v45, v45
	v_cndmask_b32_e64 v8, v7, v6, s[6:7]
	v_add_u32_e32 v6, v5, v2
	v_mov_b32_e32 v7, 0
	v_lshlrev_b64 v[6:7], 1, v[6:7]
	s_waitcnt lgkmcnt(0)
	v_mov_b32_e32 v9, s13
	v_add_co_u32_e64 v6, s[6:7], s12, v6
	v_addc_co_u32_e64 v7, s[6:7], v9, v7, s[6:7]
	global_store_short v[6:7], v8, off
	s_or_b64 exec, exec, s[14:15]
	s_and_saveexec_b64 s[14:15], s[2:3]
	s_cbranch_execz .LBB175_42
.LBB175_74:
	v_bfe_u32 v6, v43, 16, 1
	s_movk_i32 s6, 0x7fff
	v_add3_u32 v6, v43, v6, s6
	v_lshrrev_b32_e32 v6, 16, v6
	v_mov_b32_e32 v7, 0x7fc0
	v_cmp_o_f32_e64 s[6:7], v43, v43
	v_cndmask_b32_e64 v8, v7, v6, s[6:7]
	v_add_u32_e32 v6, v5, v3
	v_mov_b32_e32 v7, 0
	v_lshlrev_b64 v[6:7], 1, v[6:7]
	s_waitcnt lgkmcnt(0)
	v_mov_b32_e32 v9, s13
	v_add_co_u32_e64 v6, s[6:7], s12, v6
	v_addc_co_u32_e64 v7, s[6:7], v9, v7, s[6:7]
	global_store_short v[6:7], v8, off
	s_or_b64 exec, exec, s[14:15]
	s_and_saveexec_b64 s[14:15], s[4:5]
	s_cbranch_execnz .LBB175_43
	s_branch .LBB175_44
.LBB175_75:
	v_bfe_u32 v6, v39, 16, 1
	s_movk_i32 s6, 0x7fff
	v_add3_u32 v6, v39, v6, s6
	v_lshrrev_b32_e32 v6, 16, v6
	v_mov_b32_e32 v7, 0x7fc0
	v_cmp_o_f32_e64 s[6:7], v39, v39
	v_cndmask_b32_e64 v8, v7, v6, s[6:7]
	v_add_u32_e32 v6, v5, v0
	v_mov_b32_e32 v7, 0
	v_lshlrev_b64 v[6:7], 1, v[6:7]
	s_waitcnt lgkmcnt(0)
	v_mov_b32_e32 v9, s13
	v_add_co_u32_e64 v6, s[6:7], s12, v6
	v_addc_co_u32_e64 v7, s[6:7], v9, v7, s[6:7]
	global_store_short v[6:7], v8, off
	s_or_b64 exec, exec, s[14:15]
	s_and_saveexec_b64 s[14:15], s[0:1]
	s_cbranch_execz .LBB175_47
.LBB175_76:
	v_bfe_u32 v6, v37, 16, 1
	s_movk_i32 s6, 0x7fff
	v_add3_u32 v6, v37, v6, s6
	v_lshrrev_b32_e32 v6, 16, v6
	v_mov_b32_e32 v7, 0x7fc0
	v_cmp_o_f32_e64 s[6:7], v37, v37
	v_cndmask_b32_e64 v8, v7, v6, s[6:7]
	v_add_u32_e32 v6, v5, v2
	v_mov_b32_e32 v7, 0
	v_lshlrev_b64 v[6:7], 1, v[6:7]
	s_waitcnt lgkmcnt(0)
	v_mov_b32_e32 v9, s13
	v_add_co_u32_e64 v6, s[6:7], s12, v6
	v_addc_co_u32_e64 v7, s[6:7], v9, v7, s[6:7]
	global_store_short v[6:7], v8, off
	s_or_b64 exec, exec, s[14:15]
	s_and_saveexec_b64 s[14:15], s[2:3]
	s_cbranch_execz .LBB175_48
.LBB175_77:
	v_bfe_u32 v6, v35, 16, 1
	s_movk_i32 s6, 0x7fff
	v_add3_u32 v6, v35, v6, s6
	v_lshrrev_b32_e32 v6, 16, v6
	v_mov_b32_e32 v7, 0x7fc0
	v_cmp_o_f32_e64 s[6:7], v35, v35
	v_cndmask_b32_e64 v8, v7, v6, s[6:7]
	v_add_u32_e32 v6, v5, v3
	v_mov_b32_e32 v7, 0
	v_lshlrev_b64 v[6:7], 1, v[6:7]
	s_waitcnt lgkmcnt(0)
	v_mov_b32_e32 v9, s13
	v_add_co_u32_e64 v6, s[6:7], s12, v6
	v_addc_co_u32_e64 v7, s[6:7], v9, v7, s[6:7]
	global_store_short v[6:7], v8, off
	s_or_b64 exec, exec, s[14:15]
	s_and_saveexec_b64 s[14:15], s[4:5]
	s_cbranch_execnz .LBB175_49
	s_branch .LBB175_50
.LBB175_78:
	v_bfe_u32 v6, v31, 16, 1
	s_movk_i32 s6, 0x7fff
	v_add3_u32 v6, v31, v6, s6
	v_lshrrev_b32_e32 v6, 16, v6
	v_mov_b32_e32 v7, 0x7fc0
	v_cmp_o_f32_e64 s[6:7], v31, v31
	v_cndmask_b32_e64 v8, v7, v6, s[6:7]
	v_add_u32_e32 v6, v5, v0
	v_mov_b32_e32 v7, 0
	v_lshlrev_b64 v[6:7], 1, v[6:7]
	s_waitcnt lgkmcnt(0)
	v_mov_b32_e32 v9, s13
	v_add_co_u32_e64 v6, s[6:7], s12, v6
	v_addc_co_u32_e64 v7, s[6:7], v9, v7, s[6:7]
	global_store_short v[6:7], v8, off
	s_or_b64 exec, exec, s[14:15]
	s_and_saveexec_b64 s[14:15], s[0:1]
	s_cbranch_execz .LBB175_53
.LBB175_79:
	v_bfe_u32 v6, v29, 16, 1
	s_movk_i32 s6, 0x7fff
	v_add3_u32 v6, v29, v6, s6
	v_lshrrev_b32_e32 v6, 16, v6
	v_mov_b32_e32 v7, 0x7fc0
	v_cmp_o_f32_e64 s[6:7], v29, v29
	v_cndmask_b32_e64 v8, v7, v6, s[6:7]
	v_add_u32_e32 v6, v5, v2
	v_mov_b32_e32 v7, 0
	v_lshlrev_b64 v[6:7], 1, v[6:7]
	s_waitcnt lgkmcnt(0)
	v_mov_b32_e32 v9, s13
	v_add_co_u32_e64 v6, s[6:7], s12, v6
	v_addc_co_u32_e64 v7, s[6:7], v9, v7, s[6:7]
	global_store_short v[6:7], v8, off
	s_or_b64 exec, exec, s[14:15]
	s_and_saveexec_b64 s[14:15], s[2:3]
	s_cbranch_execz .LBB175_54
.LBB175_80:
	v_bfe_u32 v6, v27, 16, 1
	s_movk_i32 s6, 0x7fff
	v_add3_u32 v6, v27, v6, s6
	v_lshrrev_b32_e32 v6, 16, v6
	v_mov_b32_e32 v7, 0x7fc0
	v_cmp_o_f32_e64 s[6:7], v27, v27
	v_cndmask_b32_e64 v8, v7, v6, s[6:7]
	v_add_u32_e32 v6, v5, v3
	v_mov_b32_e32 v7, 0
	v_lshlrev_b64 v[6:7], 1, v[6:7]
	s_waitcnt lgkmcnt(0)
	v_mov_b32_e32 v9, s13
	v_add_co_u32_e64 v6, s[6:7], s12, v6
	v_addc_co_u32_e64 v7, s[6:7], v9, v7, s[6:7]
	global_store_short v[6:7], v8, off
	s_or_b64 exec, exec, s[14:15]
	s_and_saveexec_b64 s[14:15], s[4:5]
	s_cbranch_execnz .LBB175_55
	s_branch .LBB175_56
.LBB175_81:
	v_bfe_u32 v5, v23, 16, 1
	s_movk_i32 s8, 0x7fff
	v_add3_u32 v5, v23, v5, s8
	v_lshrrev_b32_e32 v5, 16, v5
	v_mov_b32_e32 v6, 0x7fc0
	v_cmp_o_f32_e32 vcc, v23, v23
	v_cndmask_b32_e32 v5, v6, v5, vcc
	v_add_u32_e32 v6, v1, v0
	v_mov_b32_e32 v7, 0
	v_lshlrev_b64 v[6:7], 1, v[6:7]
	s_waitcnt lgkmcnt(0)
	v_mov_b32_e32 v0, s13
	v_add_co_u32_e32 v6, vcc, s12, v6
	v_addc_co_u32_e32 v7, vcc, v0, v7, vcc
	global_store_short v[6:7], v5, off
	s_or_b64 exec, exec, s[6:7]
	s_and_saveexec_b64 s[6:7], s[0:1]
	s_cbranch_execz .LBB175_59
.LBB175_82:
	v_bfe_u32 v0, v21, 16, 1
	s_movk_i32 s0, 0x7fff
	v_add3_u32 v0, v21, v0, s0
	v_add_u32_e32 v6, v1, v2
	v_mov_b32_e32 v7, 0
	v_lshrrev_b32_e32 v0, 16, v0
	v_mov_b32_e32 v5, 0x7fc0
	v_cmp_o_f32_e32 vcc, v21, v21
	v_lshlrev_b64 v[6:7], 1, v[6:7]
	v_cndmask_b32_e32 v0, v5, v0, vcc
	s_waitcnt lgkmcnt(0)
	v_mov_b32_e32 v2, s13
	v_add_co_u32_e32 v6, vcc, s12, v6
	v_addc_co_u32_e32 v7, vcc, v2, v7, vcc
	global_store_short v[6:7], v0, off
	s_or_b64 exec, exec, s[6:7]
	s_and_saveexec_b64 s[0:1], s[2:3]
	s_cbranch_execz .LBB175_60
.LBB175_83:
	v_bfe_u32 v0, v19, 16, 1
	s_movk_i32 s2, 0x7fff
	v_add3_u32 v0, v19, v0, s2
	v_lshrrev_b32_e32 v0, 16, v0
	v_mov_b32_e32 v2, 0x7fc0
	v_cmp_o_f32_e32 vcc, v19, v19
	v_cndmask_b32_e32 v0, v2, v0, vcc
	v_add_u32_e32 v2, v1, v3
	v_mov_b32_e32 v3, 0
	v_lshlrev_b64 v[2:3], 1, v[2:3]
	s_waitcnt lgkmcnt(0)
	v_mov_b32_e32 v5, s13
	v_add_co_u32_e32 v2, vcc, s12, v2
	v_addc_co_u32_e32 v3, vcc, v5, v3, vcc
	global_store_short v[2:3], v0, off
	s_or_b64 exec, exec, s[0:1]
	s_and_b64 exec, exec, s[4:5]
	s_cbranch_execnz .LBB175_61
	s_branch .LBB175_62
	.section	.rodata,"a",@progbits
	.p2align	6, 0x0
	.amdhsa_kernel _ZL12mul_mat_q6_KIN3c108BFloat16ELb0EEvPKvS3_PT_iiiii
		.amdhsa_group_segment_fixed_size 45136
		.amdhsa_private_segment_fixed_size 0
		.amdhsa_kernarg_size 44
		.amdhsa_user_sgpr_count 6
		.amdhsa_user_sgpr_private_segment_buffer 1
		.amdhsa_user_sgpr_dispatch_ptr 0
		.amdhsa_user_sgpr_queue_ptr 0
		.amdhsa_user_sgpr_kernarg_segment_ptr 1
		.amdhsa_user_sgpr_dispatch_id 0
		.amdhsa_user_sgpr_flat_scratch_init 0
		.amdhsa_user_sgpr_kernarg_preload_length 0
		.amdhsa_user_sgpr_kernarg_preload_offset 0
		.amdhsa_user_sgpr_private_segment_size 0
		.amdhsa_uses_dynamic_stack 0
		.amdhsa_system_sgpr_private_segment_wavefront_offset 0
		.amdhsa_system_sgpr_workgroup_id_x 1
		.amdhsa_system_sgpr_workgroup_id_y 1
		.amdhsa_system_sgpr_workgroup_id_z 0
		.amdhsa_system_sgpr_workgroup_info 0
		.amdhsa_system_vgpr_workitem_id 1
		.amdhsa_next_free_vgpr 229
		.amdhsa_next_free_sgpr 26
		.amdhsa_accum_offset 232
		.amdhsa_reserve_vcc 1
		.amdhsa_reserve_flat_scratch 0
		.amdhsa_float_round_mode_32 0
		.amdhsa_float_round_mode_16_64 0
		.amdhsa_float_denorm_mode_32 3
		.amdhsa_float_denorm_mode_16_64 3
		.amdhsa_dx10_clamp 1
		.amdhsa_ieee_mode 1
		.amdhsa_fp16_overflow 0
		.amdhsa_tg_split 0
		.amdhsa_exception_fp_ieee_invalid_op 0
		.amdhsa_exception_fp_denorm_src 0
		.amdhsa_exception_fp_ieee_div_zero 0
		.amdhsa_exception_fp_ieee_overflow 0
		.amdhsa_exception_fp_ieee_underflow 0
		.amdhsa_exception_fp_ieee_inexact 0
		.amdhsa_exception_int_div_zero 0
	.end_amdhsa_kernel
	.section	.text._ZL12mul_mat_q6_KIN3c108BFloat16ELb0EEvPKvS3_PT_iiiii,"axG",@progbits,_ZL12mul_mat_q6_KIN3c108BFloat16ELb0EEvPKvS3_PT_iiiii,comdat
.Lfunc_end175:
	.size	_ZL12mul_mat_q6_KIN3c108BFloat16ELb0EEvPKvS3_PT_iiiii, .Lfunc_end175-_ZL12mul_mat_q6_KIN3c108BFloat16ELb0EEvPKvS3_PT_iiiii
                                        ; -- End function
	.section	.AMDGPU.csdata,"",@progbits
; Kernel info:
; codeLenInByte = 21428
; NumSgprs: 30
; NumVgprs: 229
; NumAgprs: 0
; TotalNumVgprs: 229
; ScratchSize: 0
; MemoryBound: 0
; FloatMode: 240
; IeeeMode: 1
; LDSByteSize: 45136 bytes/workgroup (compile time only)
; SGPRBlocks: 3
; VGPRBlocks: 28
; NumSGPRsForWavesPerEU: 30
; NumVGPRsForWavesPerEU: 229
; AccumOffset: 232
; Occupancy: 1
; WaveLimiterHint : 0
; COMPUTE_PGM_RSRC2:SCRATCH_EN: 0
; COMPUTE_PGM_RSRC2:USER_SGPR: 6
; COMPUTE_PGM_RSRC2:TRAP_HANDLER: 0
; COMPUTE_PGM_RSRC2:TGID_X_EN: 1
; COMPUTE_PGM_RSRC2:TGID_Y_EN: 1
; COMPUTE_PGM_RSRC2:TGID_Z_EN: 0
; COMPUTE_PGM_RSRC2:TIDIG_COMP_CNT: 1
; COMPUTE_PGM_RSRC3_GFX90A:ACCUM_OFFSET: 57
; COMPUTE_PGM_RSRC3_GFX90A:TG_SPLIT: 0
	.section	.text._ZL12mul_mat_q6_KIN3c108BFloat16ELb1EEvPKvS3_PT_iiiii,"axG",@progbits,_ZL12mul_mat_q6_KIN3c108BFloat16ELb1EEvPKvS3_PT_iiiii,comdat
	.globl	_ZL12mul_mat_q6_KIN3c108BFloat16ELb1EEvPKvS3_PT_iiiii ; -- Begin function _ZL12mul_mat_q6_KIN3c108BFloat16ELb1EEvPKvS3_PT_iiiii
	.p2align	8
	.type	_ZL12mul_mat_q6_KIN3c108BFloat16ELb1EEvPKvS3_PT_iiiii,@function
_ZL12mul_mat_q6_KIN3c108BFloat16ELb1EEvPKvS3_PT_iiiii: ; @_ZL12mul_mat_q6_KIN3c108BFloat16ELb1EEvPKvS3_PT_iiiii
; %bb.0:
	s_load_dwordx4 s[8:11], s[4:5], 0x18
	s_load_dword s14, s[4:5], 0x28
	s_lshl_b32 s15, s7, 6
	v_bfe_u32 v63, v0, 10, 10
	s_waitcnt lgkmcnt(0)
	s_cmpk_gt_i32 s8, 0xff
	s_cbranch_scc1 .LBB176_2
; %bb.1:
	v_bfe_u32 v1, v0, 10, 10
	v_and_b32_e32 v59, 0x3ff, v0
	v_add_u32_e32 v73, s15, v1
	s_mov_b64 s[0:1], 0
	s_mov_b32 s2, 0
	s_branch .LBB176_3
.LBB176_2:
	s_mov_b64 s[0:1], -1
                                        ; implicit-def: $sgpr2
                                        ; implicit-def: $vgpr1
                                        ; implicit-def: $vgpr59
                                        ; implicit-def: $vgpr73
.LBB176_3:
	s_load_dwordx2 s[12:13], s[4:5], 0x10
	s_lshl_b32 s6, s6, 7
	s_andn2_b64 vcc, exec, s[0:1]
	v_mov_b32_e32 v17, s2
	v_mov_b32_e32 v25, s2
	;; [unrolled: 1-line block ×32, first 2 shown]
	s_cbranch_vccnz .LBB176_11
; %bb.4:
	v_and_b32_e32 v59, 0x3ff, v0
	s_load_dwordx4 s[0:3], s[4:5], 0x0
	s_ashr_i32 s4, s8, 31
	v_and_b32_e32 v4, 31, v59
	s_lshr_b32 s4, s4, 24
	v_and_b32_e32 v0, 7, v59
	v_cmp_lt_u32_e32 vcc, 15, v4
	s_add_i32 s4, s8, s4
	s_ashr_i32 s5, s11, 31
	v_lshlrev_b32_e32 v0, 2, v0
	v_cndmask_b32_e64 v1, 0, 1, vcc
	s_ashr_i32 s4, s4, 8
	s_lshr_b32 s5, s5, 27
	v_lshl_or_b32 v20, v1, 5, v0
	v_add_u16_e32 v0, -16, v4
	v_cmp_gt_u32_e32 vcc, 16, v4
	s_add_i32 s5, s11, s5
	s_mul_i32 s7, s4, s6
	v_cndmask_b32_e32 v0, v0, v4, vcc
	s_ashr_i32 s11, s5, 5
	s_mul_hi_i32 s8, s7, 0xd2
	s_mulk_i32 s7, 0xd2
	v_cmp_lt_u16_e32 vcc, 7, v0
	s_waitcnt lgkmcnt(0)
	s_add_u32 s7, s0, s7
	v_cndmask_b32_e64 v0, 0, 1, vcc
	s_addc_u32 s8, s1, s8
	s_not_b32 s0, s6
	v_lshlrev_b32_e32 v79, 1, v0
	v_and_b32_e32 v0, 15, v59
	s_add_i32 s1, s0, s9
	v_lshlrev_b32_e32 v0, 2, v0
	v_min_i32_e32 v2, s1, v63
	v_lshl_or_b32 v0, v1, 7, v0
	s_movk_i32 s0, 0x104
	v_add_u32_e32 v5, 8, v63
	v_mad_u64_u32 v[24:25], s[16:17], v2, s0, v[0:1]
	v_min_i32_e32 v1, s1, v5
	v_add_u32_e32 v6, 16, v63
	v_mul_lo_u32 v26, v1, s4
	v_mad_u64_u32 v[28:29], s[16:17], v1, s0, v[0:1]
	v_min_i32_e32 v1, s1, v6
	v_add_u32_e32 v7, 24, v63
	v_mul_lo_u32 v30, v1, s4
	;; [unrolled: 4-line block ×6, first 2 shown]
	v_mad_u64_u32 v[48:49], s[16:17], v1, s0, v[0:1]
	v_min_i32_e32 v1, s1, v11
	v_mul_lo_u32 v50, v1, s4
	v_mad_u64_u32 v[52:53], s[16:17], v1, s0, v[0:1]
	v_add_u32_e32 v1, 64, v63
	v_min_i32_e32 v1, s1, v1
	v_mul_lo_u32 v54, v1, s4
	v_mad_u64_u32 v[56:57], s[16:17], v1, s0, v[0:1]
	v_add_u32_e32 v1, 0x48, v63
	;; [unrolled: 4-line block ×8, first 2 shown]
	v_min_i32_e32 v1, s1, v1
	v_lshlrev_b32_e32 v83, 5, v63
	v_mad_u64_u32 v[84:85], s[16:17], v1, s0, v[0:1]
	v_add_u32_e32 v0, v83, v59
	v_and_b32_e32 v0, 0x7f, v0
	v_min_i32_e32 v0, s1, v0
	v_mul_lo_u32 v82, v1, s4
	v_ashrrev_i32_e32 v1, 31, v0
	v_lshrrev_b32_e32 v1, 27, v1
	v_add_u32_e32 v1, v0, v1
	v_ashrrev_i32_e32 v1, 5, v1
	v_mul_lo_u32 v86, v0, s4
	v_lshlrev_b32_e32 v1, 2, v1
	v_lshlrev_b32_e32 v0, 2, v0
	s_mov_b32 s18, 0xae40
	v_add3_u32 v87, v1, v0, s18
	v_lshrrev_b32_e32 v0, 2, v59
	v_lshl_add_u32 v1, v63, 3, v0
	v_mul_lo_u32 v22, v2, s4
	v_and_b32_e32 v2, 0x7f, v1
	v_min_i32_e32 v3, s1, v2
	v_ashrrev_i32_e32 v12, 31, v3
	v_xor_b32_e32 v2, 64, v2
	v_lshrrev_b32_e32 v12, 29, v12
	v_min_i32_e32 v2, s1, v2
	v_mul_lo_u32 v90, v3, s4
	v_add_u32_e32 v12, v3, v12
	v_lshlrev_b32_e32 v13, 4, v3
	v_ashrrev_i32_e32 v3, 31, v2
	v_lshlrev_b32_e32 v17, 2, v59
	v_lshrrev_b32_e32 v3, 29, v3
	v_and_b32_e32 v19, 28, v17
	v_and_b32_e32 v1, 63, v1
	;; [unrolled: 1-line block ×3, first 2 shown]
	v_add_u32_e32 v3, v2, v3
	s_add_i32 s1, s10, -1
	v_add_co_u32_e32 v94, vcc, s2, v19
	v_or_b32_e32 v19, s15, v1
	v_lshlrev_b32_e32 v88, 2, v0
	v_ashrrev_i32_e32 v3, 3, v3
	v_min_i32_e32 v19, s1, v19
	s_mov_b32 s19, 0xa200
	v_lshlrev_b32_e32 v3, 2, v3
	v_add_u32_e32 v73, s15, v63
	v_mad_u64_u32 v[96:97], s[16:17], v19, s11, v[0:1]
	v_lshl_or_b32 v0, v1, 4, v88
	v_mul_lo_u32 v92, v2, s4
	v_add3_u32 v14, v3, v88, s19
	v_lshlrev_b32_e32 v15, 4, v2
	v_cvt_f64_i32_e32 v[2:3], s1
	v_add_u32_e32 v91, 0xaa40, v0
	v_cvt_f64_u32_e32 v[0:1], v73
	v_min_f64 v[0:1], v[0:1], v[2:3]
	v_cvt_i32_f64_e32 v0, v[0:1]
	v_mul_lo_u32 v164, s11, v0
	v_or_b32_e32 v0, v83, v4
	v_mov_b32_e32 v19, 0x8200
	v_lshl_add_u32 v165, v0, 2, v19
	v_add_u32_e32 v0, 8, v73
	v_cvt_f64_u32_e32 v[0:1], v0
	v_min_f64 v[0:1], v[0:1], v[2:3]
	v_cvt_i32_f64_e32 v0, v[0:1]
	v_lshlrev_b32_e32 v167, 5, v5
	v_mul_lo_u32 v166, s11, v0
	v_or_b32_e32 v0, v167, v4
	v_lshl_add_u32 v168, v0, 2, v19
	v_add_u32_e32 v0, 16, v73
	v_cvt_f64_u32_e32 v[0:1], v0
	v_min_f64 v[0:1], v[0:1], v[2:3]
	v_cvt_i32_f64_e32 v0, v[0:1]
	v_lshlrev_b32_e32 v170, 5, v6
	v_mul_lo_u32 v169, s11, v0
	v_or_b32_e32 v0, v170, v4
	v_lshl_add_u32 v171, v0, 2, v19
	v_add_u32_e32 v0, 24, v73
	v_cvt_f64_u32_e32 v[0:1], v0
	v_min_f64 v[0:1], v[0:1], v[2:3]
	v_cvt_i32_f64_e32 v0, v[0:1]
	v_lshlrev_b32_e32 v173, 5, v7
	v_mul_lo_u32 v172, s11, v0
	v_or_b32_e32 v0, v173, v4
	v_lshl_add_u32 v174, v0, 2, v19
	v_add_u32_e32 v0, 32, v73
	v_cvt_f64_u32_e32 v[0:1], v0
	v_min_f64 v[0:1], v[0:1], v[2:3]
	v_cvt_i32_f64_e32 v0, v[0:1]
	v_lshlrev_b32_e32 v176, 5, v8
	v_mul_lo_u32 v175, s11, v0
	v_or_b32_e32 v0, v176, v4
	v_lshl_add_u32 v177, v0, 2, v19
	v_add_u32_e32 v0, 40, v73
	v_cvt_f64_u32_e32 v[0:1], v0
	v_min_f64 v[0:1], v[0:1], v[2:3]
	v_cvt_i32_f64_e32 v0, v[0:1]
	v_lshlrev_b32_e32 v179, 5, v9
	v_mul_lo_u32 v178, s11, v0
	v_or_b32_e32 v0, v179, v4
	v_lshl_add_u32 v180, v0, 2, v19
	v_add_u32_e32 v0, 48, v73
	v_cvt_f64_u32_e32 v[0:1], v0
	v_min_f64 v[0:1], v[0:1], v[2:3]
	v_cvt_i32_f64_e32 v0, v[0:1]
	v_lshlrev_b32_e32 v182, 5, v10
	v_mul_lo_u32 v181, s11, v0
	v_or_b32_e32 v0, v182, v4
	v_lshl_add_u32 v183, v0, 2, v19
	v_add_u32_e32 v0, 56, v73
	v_cvt_f64_u32_e32 v[0:1], v0
	v_min_f64 v[0:1], v[0:1], v[2:3]
	v_cvt_i32_f64_e32 v0, v[0:1]
	v_lshlrev_b32_e32 v185, 5, v11
	v_lshrrev_b32_e32 v16, 5, v59
	v_mul_lo_u32 v184, s11, v0
	v_or_b32_e32 v0, v185, v4
	v_lshl_add_u32 v186, v0, 2, v19
	v_lshlrev_b32_e32 v0, 2, v16
	v_add3_u32 v187, v0, v17, s18
	v_add_u32_e32 v0, 32, v59
	v_lshrrev_b32_e32 v188, 3, v0
	v_and_b32_e32 v1, 60, v188
	v_add3_u32 v189, v17, v1, s18
	v_add_u32_e32 v1, 64, v59
	v_lshrrev_b32_e32 v2, 3, v1
	v_and_b32_e32 v2, 60, v2
	v_add3_u32 v190, v17, v2, s18
	v_add_u32_e32 v2, 0x60, v59
	v_lshrrev_b32_e32 v3, 3, v2
	v_lshrrev_b32_e32 v93, 3, v59
	v_and_b32_e32 v3, 60, v3
	v_lshlrev_b32_e32 v18, 2, v4
	v_add3_u32 v191, v17, v3, s18
	v_lshlrev_b32_e32 v3, 2, v93
	v_lshlrev_b32_e32 v4, 4, v59
	v_add3_u32 v192, v4, v3, s19
	v_lshlrev_b32_e32 v3, 2, v188
	v_lshlrev_b32_e32 v0, 4, v0
	v_add3_u32 v194, v3, v0, s19
	v_mov_b32_e32 v0, 0x2080
	v_mad_u32_u24 v195, v59, s0, v0
	v_lshrrev_b32_e32 v0, 1, v1
	v_and_b32_e32 v0, 0xfc, v0
	v_lshlrev_b32_e32 v1, 4, v1
	v_add3_u32 v196, v1, v0, s19
	v_mov_b32_e32 v0, 0x4100
	v_ashrrev_i32_e32 v12, 3, v12
	v_mad_u32_u24 v197, v59, s0, v0
	v_lshrrev_b32_e32 v0, 1, v2
	v_lshlrev_b32_e32 v12, 2, v12
	v_and_b32_e32 v0, 0xfc, v0
	v_lshlrev_b32_e32 v1, 4, v2
	v_add3_u32 v12, v12, v88, s19
	v_mov_b32_e32 v21, s3
	v_add3_u32 v198, v1, v0, s19
	v_mov_b32_e32 v0, 0x6180
	s_movk_i32 s5, 0xd2
	s_mov_b32 s9, 0
	v_addc_co_u32_e32 v95, vcc, 0, v21, vcc
	v_mul_u32_u24_e32 v193, 0x104, v59
	v_mad_u32_u24 v199, v59, s0, v0
	s_mov_b32 s11, 0xf0f0f0f
	s_mov_b32 s16, 0x30303030
	s_movk_i32 s17, 0x3f00
	s_movk_i32 s18, 0xe000
	v_add_u32_e32 v200, v12, v13
	v_add_u32_e32 v201, v14, v15
	v_mov_b32_e32 v202, 8
	v_mov_b32_e32 v97, 0
	;; [unrolled: 1-line block ×33, first 2 shown]
.LBB176_5:                              ; =>This Loop Header: Depth=1
                                        ;     Child Loop BB176_6 Depth 2
                                        ;     Child Loop BB176_8 Depth 2
	s_mul_i32 s0, s9, 0xd2
	s_mul_hi_u32 s1, s9, 0xd2
	s_add_u32 s0, s7, s0
	s_addc_u32 s1, s8, s1
	v_pk_mov_b32 v[0:1], s[0:1], s[0:1] op_sel:[0,1]
	v_mad_u64_u32 v[2:3], s[20:21], v16, s5, v[0:1]
	v_mad_i64_i32 v[4:5], s[20:21], v22, s5, v[2:3]
	v_add_co_u32_e32 v6, vcc, v4, v18
	v_addc_co_u32_e32 v7, vcc, 0, v5, vcc
	v_add_co_u32_e32 v4, vcc, v4, v20
	v_addc_co_u32_e32 v5, vcc, 0, v5, vcc
	v_mad_i64_i32 v[8:9], s[20:21], v26, s5, v[2:3]
	v_add_co_u32_e32 v10, vcc, v8, v18
	v_addc_co_u32_e32 v11, vcc, 0, v9, vcc
	global_load_dword v12, v[6:7], off
	global_load_dword v13, v[4:5], off offset:128
	s_nop 0
	global_load_dword v10, v[10:11], off
	v_add_co_u32_e32 v4, vcc, v8, v20
	v_addc_co_u32_e32 v5, vcc, 0, v9, vcc
	global_load_dword v8, v[4:5], off offset:128
	v_mad_i64_i32 v[4:5], s[20:21], v30, s5, v[2:3]
	v_add_co_u32_e32 v6, vcc, v4, v18
	v_addc_co_u32_e32 v7, vcc, 0, v5, vcc
	v_add_co_u32_e32 v4, vcc, v4, v20
	v_addc_co_u32_e32 v5, vcc, 0, v5, vcc
	global_load_dword v9, v[6:7], off
	global_load_dword v11, v[4:5], off offset:128
	v_mad_i64_i32 v[4:5], s[20:21], v34, s5, v[2:3]
	v_add_co_u32_e32 v6, vcc, v4, v18
	v_addc_co_u32_e32 v7, vcc, 0, v5, vcc
	v_add_co_u32_e32 v4, vcc, v4, v20
	v_addc_co_u32_e32 v5, vcc, 0, v5, vcc
	global_load_dword v14, v[6:7], off
	global_load_dword v15, v[4:5], off offset:128
	s_lshl_b32 s19, s9, 3
	v_mad_i64_i32 v[0:1], s[20:21], v86, s5, v[0:1]
	v_add_u32_e32 v203, s19, v96
	s_waitcnt vmcnt(7)
	v_and_b32_e32 v4, 0xf0f0f0f, v12
	s_waitcnt vmcnt(6)
	v_ashrrev_i32_e32 v6, v79, v13
	v_lshrrev_b32_e32 v5, 4, v12
	v_lshlrev_b32_e32 v12, 4, v6
	v_and_b32_e32 v6, 0x30303030, v6
	s_waitcnt vmcnt(5)
	v_and_b32_e32 v7, 0xf0f0f0f, v10
	v_and_or_b32 v4, v12, s16, v4
	s_waitcnt vmcnt(4)
	v_ashrrev_i32_e32 v8, v79, v8
	v_lshlrev_b32_e32 v13, 4, v8
	v_and_or_b32 v5, v5, s11, v6
	v_and_or_b32 v6, v13, s16, v7
	v_and_b32_e32 v7, 0x3f00, v4
	v_lshlrev_b16_e32 v12, 8, v4
	v_and_b32_sdwa v13, v4, s17 dst_sel:DWORD dst_unused:UNUSED_PAD src0_sel:WORD_1 src1_sel:DWORD
	v_lshlrev_b16_sdwa v4, v202, v4 dst_sel:DWORD dst_unused:UNUSED_PAD src0_sel:DWORD src1_sel:WORD_1
	v_and_b32_e32 v98, 0x3f00, v5
	v_lshlrev_b16_e32 v99, 8, v5
	v_and_b32_sdwa v100, v5, s17 dst_sel:DWORD dst_unused:UNUSED_PAD src0_sel:WORD_1 src1_sel:DWORD
	v_lshlrev_b16_sdwa v5, v202, v5 dst_sel:DWORD dst_unused:UNUSED_PAD src0_sel:DWORD src1_sel:WORD_1
	v_add_u16_e32 v12, 0xe000, v12
	v_add_u16_e32 v4, 0xe000, v4
	;; [unrolled: 1-line block ×4, first 2 shown]
	v_or_b32_sdwa v7, v7, v12 dst_sel:DWORD dst_unused:UNUSED_PAD src0_sel:DWORD src1_sel:BYTE_1
	v_or_b32_sdwa v4, v13, v4 dst_sel:DWORD dst_unused:UNUSED_PAD src0_sel:DWORD src1_sel:BYTE_1
	;; [unrolled: 1-line block ×4, first 2 shown]
	v_add_u16_e32 v7, 0xe000, v7
	v_add_u16_sdwa v4, v4, s18 dst_sel:WORD_1 dst_unused:UNUSED_PAD src0_sel:DWORD src1_sel:DWORD
	v_add_u16_e32 v12, 0xe000, v12
	v_add_u16_sdwa v5, v5, s18 dst_sel:WORD_1 dst_unused:UNUSED_PAD src0_sel:DWORD src1_sel:DWORD
	v_or_b32_e32 v4, v7, v4
	v_or_b32_e32 v5, v12, v5
	ds_write2_b32 v24, v4, v5 offset1:16
	v_lshlrev_b16_sdwa v5, v202, v6 dst_sel:DWORD dst_unused:UNUSED_PAD src0_sel:DWORD src1_sel:WORD_1
	v_lshrrev_b32_e32 v10, 4, v10
	v_and_b32_e32 v8, 0x30303030, v8
	v_and_b32_sdwa v4, v6, s17 dst_sel:DWORD dst_unused:UNUSED_PAD src0_sel:WORD_1 src1_sel:DWORD
	v_add_u16_e32 v5, 0xe000, v5
	v_or_b32_sdwa v4, v4, v5 dst_sel:DWORD dst_unused:UNUSED_PAD src0_sel:DWORD src1_sel:BYTE_1
	v_and_or_b32 v5, v10, s11, v8
	v_lshlrev_b16_e32 v7, 8, v5
	v_and_b32_e32 v101, 0x3f00, v6
	v_lshlrev_b16_e32 v102, 8, v6
	v_and_b32_e32 v6, 0x3f00, v5
	v_add_u16_e32 v7, 0xe000, v7
	v_or_b32_sdwa v6, v6, v7 dst_sel:DWORD dst_unused:UNUSED_PAD src0_sel:DWORD src1_sel:BYTE_1
	v_and_b32_sdwa v7, v5, s17 dst_sel:DWORD dst_unused:UNUSED_PAD src0_sel:WORD_1 src1_sel:DWORD
	v_lshlrev_b16_sdwa v5, v202, v5 dst_sel:DWORD dst_unused:UNUSED_PAD src0_sel:DWORD src1_sel:WORD_1
	v_add_u16_e32 v102, 0xe000, v102
	v_add_u16_e32 v5, 0xe000, v5
	v_or_b32_sdwa v13, v101, v102 dst_sel:DWORD dst_unused:UNUSED_PAD src0_sel:DWORD src1_sel:BYTE_1
	v_or_b32_sdwa v5, v7, v5 dst_sel:DWORD dst_unused:UNUSED_PAD src0_sel:DWORD src1_sel:BYTE_1
	v_add_u16_e32 v13, 0xe000, v13
	v_add_u16_sdwa v4, v4, s18 dst_sel:WORD_1 dst_unused:UNUSED_PAD src0_sel:DWORD src1_sel:DWORD
	v_add_u16_e32 v6, 0xe000, v6
	v_add_u16_sdwa v5, v5, s18 dst_sel:WORD_1 dst_unused:UNUSED_PAD src0_sel:DWORD src1_sel:DWORD
	v_or_b32_e32 v4, v13, v4
	v_or_b32_e32 v5, v6, v5
	s_waitcnt vmcnt(2)
	v_ashrrev_i32_e32 v6, v79, v11
	ds_write2_b32 v28, v4, v5 offset1:16
	v_and_b32_e32 v4, 0xf0f0f0f, v9
	v_lshlrev_b32_e32 v7, 4, v6
	v_and_or_b32 v4, v7, s16, v4
	v_lshlrev_b16_e32 v8, 8, v4
	v_and_b32_e32 v7, 0x3f00, v4
	v_add_u16_e32 v8, 0xe000, v8
	v_or_b32_sdwa v7, v7, v8 dst_sel:DWORD dst_unused:UNUSED_PAD src0_sel:DWORD src1_sel:BYTE_1
	v_and_b32_sdwa v8, v4, s17 dst_sel:DWORD dst_unused:UNUSED_PAD src0_sel:WORD_1 src1_sel:DWORD
	v_lshlrev_b16_sdwa v4, v202, v4 dst_sel:DWORD dst_unused:UNUSED_PAD src0_sel:DWORD src1_sel:WORD_1
	v_add_u16_e32 v4, 0xe000, v4
	v_or_b32_sdwa v4, v8, v4 dst_sel:DWORD dst_unused:UNUSED_PAD src0_sel:DWORD src1_sel:BYTE_1
	v_lshrrev_b32_e32 v5, 4, v9
	v_and_b32_e32 v6, 0x30303030, v6
	v_add_u16_e32 v7, 0xe000, v7
	v_add_u16_sdwa v4, v4, s18 dst_sel:WORD_1 dst_unused:UNUSED_PAD src0_sel:DWORD src1_sel:DWORD
	v_or_b32_e32 v8, v7, v4
	v_and_or_b32 v9, v5, s11, v6
	v_mad_i64_i32 v[4:5], s[20:21], v38, s5, v[2:3]
	v_add_co_u32_e32 v6, vcc, v4, v18
	v_addc_co_u32_e32 v7, vcc, 0, v5, vcc
	v_add_co_u32_e32 v4, vcc, v4, v20
	v_addc_co_u32_e32 v5, vcc, 0, v5, vcc
	global_load_dword v11, v[6:7], off
	global_load_dword v12, v[4:5], off offset:128
	v_lshlrev_b16_e32 v4, 8, v9
	v_lshlrev_b16_sdwa v6, v202, v9 dst_sel:DWORD dst_unused:UNUSED_PAD src0_sel:DWORD src1_sel:WORD_1
	v_and_b32_e32 v10, 0x3f00, v9
	v_add_u16_e32 v4, 0xe000, v4
	v_and_b32_sdwa v5, v9, s17 dst_sel:DWORD dst_unused:UNUSED_PAD src0_sel:WORD_1 src1_sel:DWORD
	v_add_u16_e32 v6, 0xe000, v6
	v_or_b32_sdwa v4, v10, v4 dst_sel:DWORD dst_unused:UNUSED_PAD src0_sel:DWORD src1_sel:BYTE_1
	v_or_b32_sdwa v5, v5, v6 dst_sel:DWORD dst_unused:UNUSED_PAD src0_sel:DWORD src1_sel:BYTE_1
	v_add_u16_e32 v4, 0xe000, v4
	v_add_u16_sdwa v5, v5, s18 dst_sel:WORD_1 dst_unused:UNUSED_PAD src0_sel:DWORD src1_sel:DWORD
	v_or_b32_e32 v4, v4, v5
	s_waitcnt vmcnt(2)
	v_ashrrev_i32_e32 v5, v79, v15
	ds_write2_b32 v32, v8, v4 offset1:16
	v_and_b32_e32 v4, 0xf0f0f0f, v14
	v_lshlrev_b32_e32 v6, 4, v5
	v_and_b32_e32 v9, 0x30303030, v5
	v_and_or_b32 v10, v6, s16, v4
	v_mad_i64_i32 v[4:5], s[20:21], v42, s5, v[2:3]
	v_add_co_u32_e32 v6, vcc, v4, v18
	v_addc_co_u32_e32 v7, vcc, 0, v5, vcc
	v_add_co_u32_e32 v4, vcc, v4, v20
	v_addc_co_u32_e32 v5, vcc, 0, v5, vcc
	v_lshrrev_b32_e32 v8, 4, v14
	global_load_dword v14, v[6:7], off
	global_load_dword v15, v[4:5], off offset:128
	v_lshlrev_b16_e32 v4, 8, v10
	v_lshlrev_b16_sdwa v6, v202, v10 dst_sel:DWORD dst_unused:UNUSED_PAD src0_sel:DWORD src1_sel:WORD_1
	v_and_b32_e32 v13, 0x3f00, v10
	v_add_u16_e32 v4, 0xe000, v4
	v_and_b32_sdwa v5, v10, s17 dst_sel:DWORD dst_unused:UNUSED_PAD src0_sel:WORD_1 src1_sel:DWORD
	v_add_u16_e32 v6, 0xe000, v6
	v_or_b32_sdwa v4, v13, v4 dst_sel:DWORD dst_unused:UNUSED_PAD src0_sel:DWORD src1_sel:BYTE_1
	v_or_b32_sdwa v5, v5, v6 dst_sel:DWORD dst_unused:UNUSED_PAD src0_sel:DWORD src1_sel:BYTE_1
	v_add_u16_e32 v4, 0xe000, v4
	v_add_u16_sdwa v5, v5, s18 dst_sel:WORD_1 dst_unused:UNUSED_PAD src0_sel:DWORD src1_sel:DWORD
	v_or_b32_e32 v10, v4, v5
	v_and_or_b32 v4, v8, s11, v9
	v_lshlrev_b16_e32 v6, 8, v4
	v_and_b32_e32 v5, 0x3f00, v4
	v_add_u16_e32 v6, 0xe000, v6
	v_or_b32_sdwa v5, v5, v6 dst_sel:DWORD dst_unused:UNUSED_PAD src0_sel:DWORD src1_sel:BYTE_1
	v_add_u16_e32 v8, 0xe000, v5
	v_and_b32_sdwa v9, v4, s17 dst_sel:DWORD dst_unused:UNUSED_PAD src0_sel:WORD_1 src1_sel:DWORD
	v_lshlrev_b16_sdwa v13, v202, v4 dst_sel:DWORD dst_unused:UNUSED_PAD src0_sel:DWORD src1_sel:WORD_1
	v_mad_i64_i32 v[4:5], s[20:21], v46, s5, v[2:3]
	v_add_co_u32_e32 v6, vcc, v4, v18
	v_addc_co_u32_e32 v7, vcc, 0, v5, vcc
	v_add_co_u32_e32 v4, vcc, v4, v20
	v_addc_co_u32_e32 v5, vcc, 0, v5, vcc
	global_load_dword v98, v[6:7], off
	global_load_dword v99, v[4:5], off offset:128
	v_add_u16_e32 v4, 0xe000, v13
	v_or_b32_sdwa v4, v9, v4 dst_sel:DWORD dst_unused:UNUSED_PAD src0_sel:DWORD src1_sel:BYTE_1
	v_add_u16_sdwa v4, v4, s18 dst_sel:WORD_1 dst_unused:UNUSED_PAD src0_sel:DWORD src1_sel:DWORD
	v_or_b32_e32 v4, v8, v4
	ds_write2_b32 v36, v10, v4 offset1:16
	v_mad_i64_i32 v[4:5], s[20:21], v50, s5, v[2:3]
	v_add_co_u32_e32 v6, vcc, v4, v18
	v_addc_co_u32_e32 v7, vcc, 0, v5, vcc
	v_add_co_u32_e32 v4, vcc, v4, v20
	v_addc_co_u32_e32 v5, vcc, 0, v5, vcc
	global_load_dword v8, v[6:7], off
	global_load_dword v9, v[4:5], off offset:128
	s_waitcnt vmcnt(7)
	v_and_b32_e32 v4, 0xf0f0f0f, v11
	s_waitcnt vmcnt(6)
	v_ashrrev_i32_e32 v6, v79, v12
	v_lshlrev_b32_e32 v7, 4, v6
	v_and_or_b32 v4, v7, s16, v4
	v_lshlrev_b16_e32 v10, 8, v4
	v_and_b32_e32 v7, 0x3f00, v4
	v_add_u16_e32 v10, 0xe000, v10
	v_or_b32_sdwa v7, v7, v10 dst_sel:DWORD dst_unused:UNUSED_PAD src0_sel:DWORD src1_sel:BYTE_1
	v_and_b32_sdwa v10, v4, s17 dst_sel:DWORD dst_unused:UNUSED_PAD src0_sel:WORD_1 src1_sel:DWORD
	v_lshlrev_b16_sdwa v4, v202, v4 dst_sel:DWORD dst_unused:UNUSED_PAD src0_sel:DWORD src1_sel:WORD_1
	v_add_u16_e32 v4, 0xe000, v4
	v_lshrrev_b32_e32 v5, 4, v11
	v_and_b32_e32 v6, 0x30303030, v6
	v_or_b32_sdwa v4, v10, v4 dst_sel:DWORD dst_unused:UNUSED_PAD src0_sel:DWORD src1_sel:BYTE_1
	v_add_u16_e32 v7, 0xe000, v7
	v_add_u16_sdwa v4, v4, s18 dst_sel:WORD_1 dst_unused:UNUSED_PAD src0_sel:DWORD src1_sel:DWORD
	v_and_or_b32 v5, v5, s11, v6
	v_or_b32_e32 v4, v7, v4
	v_lshlrev_b16_e32 v7, 8, v5
	v_and_b32_e32 v6, 0x3f00, v5
	v_add_u16_e32 v7, 0xe000, v7
	v_or_b32_sdwa v6, v6, v7 dst_sel:DWORD dst_unused:UNUSED_PAD src0_sel:DWORD src1_sel:BYTE_1
	v_and_b32_sdwa v7, v5, s17 dst_sel:DWORD dst_unused:UNUSED_PAD src0_sel:WORD_1 src1_sel:DWORD
	v_lshlrev_b16_sdwa v5, v202, v5 dst_sel:DWORD dst_unused:UNUSED_PAD src0_sel:DWORD src1_sel:WORD_1
	v_add_u16_e32 v5, 0xe000, v5
	v_or_b32_sdwa v5, v7, v5 dst_sel:DWORD dst_unused:UNUSED_PAD src0_sel:DWORD src1_sel:BYTE_1
	v_add_u16_e32 v6, 0xe000, v6
	v_add_u16_sdwa v5, v5, s18 dst_sel:WORD_1 dst_unused:UNUSED_PAD src0_sel:DWORD src1_sel:DWORD
	v_or_b32_e32 v5, v6, v5
	ds_write2_b32 v40, v4, v5 offset1:16
	s_waitcnt vmcnt(5)
	v_and_b32_e32 v4, 0xf0f0f0f, v14
	s_waitcnt vmcnt(4)
	v_ashrrev_i32_e32 v6, v79, v15
	v_lshlrev_b32_e32 v7, 4, v6
	v_and_or_b32 v4, v7, s16, v4
	v_lshlrev_b16_e32 v10, 8, v4
	v_and_b32_e32 v7, 0x3f00, v4
	v_add_u16_e32 v10, 0xe000, v10
	v_or_b32_sdwa v7, v7, v10 dst_sel:DWORD dst_unused:UNUSED_PAD src0_sel:DWORD src1_sel:BYTE_1
	v_and_b32_sdwa v10, v4, s17 dst_sel:DWORD dst_unused:UNUSED_PAD src0_sel:WORD_1 src1_sel:DWORD
	v_lshlrev_b16_sdwa v4, v202, v4 dst_sel:DWORD dst_unused:UNUSED_PAD src0_sel:DWORD src1_sel:WORD_1
	v_add_u16_e32 v4, 0xe000, v4
	v_lshrrev_b32_e32 v5, 4, v14
	v_and_b32_e32 v6, 0x30303030, v6
	v_or_b32_sdwa v4, v10, v4 dst_sel:DWORD dst_unused:UNUSED_PAD src0_sel:DWORD src1_sel:BYTE_1
	v_add_u16_e32 v7, 0xe000, v7
	v_add_u16_sdwa v4, v4, s18 dst_sel:WORD_1 dst_unused:UNUSED_PAD src0_sel:DWORD src1_sel:DWORD
	v_and_or_b32 v5, v5, s11, v6
	v_or_b32_e32 v4, v7, v4
	v_lshlrev_b16_e32 v7, 8, v5
	v_and_b32_e32 v6, 0x3f00, v5
	v_add_u16_e32 v7, 0xe000, v7
	v_or_b32_sdwa v6, v6, v7 dst_sel:DWORD dst_unused:UNUSED_PAD src0_sel:DWORD src1_sel:BYTE_1
	v_and_b32_sdwa v7, v5, s17 dst_sel:DWORD dst_unused:UNUSED_PAD src0_sel:WORD_1 src1_sel:DWORD
	v_lshlrev_b16_sdwa v5, v202, v5 dst_sel:DWORD dst_unused:UNUSED_PAD src0_sel:DWORD src1_sel:WORD_1
	v_add_u16_e32 v5, 0xe000, v5
	v_or_b32_sdwa v5, v7, v5 dst_sel:DWORD dst_unused:UNUSED_PAD src0_sel:DWORD src1_sel:BYTE_1
	v_add_u16_e32 v6, 0xe000, v6
	v_add_u16_sdwa v5, v5, s18 dst_sel:WORD_1 dst_unused:UNUSED_PAD src0_sel:DWORD src1_sel:DWORD
	v_or_b32_e32 v5, v6, v5
	ds_write2_b32 v44, v4, v5 offset1:16
	s_waitcnt vmcnt(3)
	v_and_b32_e32 v4, 0xf0f0f0f, v98
	s_waitcnt vmcnt(2)
	v_ashrrev_i32_e32 v6, v79, v99
	v_lshlrev_b32_e32 v7, 4, v6
	v_and_or_b32 v4, v7, s16, v4
	v_lshlrev_b16_e32 v10, 8, v4
	v_and_b32_e32 v7, 0x3f00, v4
	v_add_u16_e32 v10, 0xe000, v10
	v_or_b32_sdwa v7, v7, v10 dst_sel:DWORD dst_unused:UNUSED_PAD src0_sel:DWORD src1_sel:BYTE_1
	v_and_b32_sdwa v10, v4, s17 dst_sel:DWORD dst_unused:UNUSED_PAD src0_sel:WORD_1 src1_sel:DWORD
	v_lshlrev_b16_sdwa v4, v202, v4 dst_sel:DWORD dst_unused:UNUSED_PAD src0_sel:DWORD src1_sel:WORD_1
	v_add_u16_e32 v4, 0xe000, v4
	v_or_b32_sdwa v4, v10, v4 dst_sel:DWORD dst_unused:UNUSED_PAD src0_sel:DWORD src1_sel:BYTE_1
	v_lshrrev_b32_e32 v5, 4, v98
	v_and_b32_e32 v6, 0x30303030, v6
	v_add_u16_e32 v7, 0xe000, v7
	v_add_u16_sdwa v4, v4, s18 dst_sel:WORD_1 dst_unused:UNUSED_PAD src0_sel:DWORD src1_sel:DWORD
	v_or_b32_e32 v10, v7, v4
	v_and_or_b32 v11, v5, s11, v6
	v_mad_i64_i32 v[4:5], s[20:21], v54, s5, v[2:3]
	v_add_co_u32_e32 v6, vcc, v4, v18
	v_addc_co_u32_e32 v7, vcc, 0, v5, vcc
	v_add_co_u32_e32 v4, vcc, v4, v20
	v_addc_co_u32_e32 v5, vcc, 0, v5, vcc
	global_load_dword v13, v[6:7], off
	global_load_dword v14, v[4:5], off offset:128
	v_lshlrev_b16_e32 v4, 8, v11
	v_lshlrev_b16_sdwa v6, v202, v11 dst_sel:DWORD dst_unused:UNUSED_PAD src0_sel:DWORD src1_sel:WORD_1
	v_and_b32_e32 v12, 0x3f00, v11
	v_add_u16_e32 v4, 0xe000, v4
	v_and_b32_sdwa v5, v11, s17 dst_sel:DWORD dst_unused:UNUSED_PAD src0_sel:WORD_1 src1_sel:DWORD
	v_add_u16_e32 v6, 0xe000, v6
	v_or_b32_sdwa v4, v12, v4 dst_sel:DWORD dst_unused:UNUSED_PAD src0_sel:DWORD src1_sel:BYTE_1
	v_or_b32_sdwa v5, v5, v6 dst_sel:DWORD dst_unused:UNUSED_PAD src0_sel:DWORD src1_sel:BYTE_1
	v_add_u16_e32 v4, 0xe000, v4
	v_add_u16_sdwa v5, v5, s18 dst_sel:WORD_1 dst_unused:UNUSED_PAD src0_sel:DWORD src1_sel:DWORD
	v_or_b32_e32 v4, v4, v5
	s_waitcnt vmcnt(2)
	v_ashrrev_i32_e32 v5, v79, v9
	ds_write2_b32 v48, v10, v4 offset1:16
	v_and_b32_e32 v4, 0xf0f0f0f, v8
	v_lshlrev_b32_e32 v6, 4, v5
	v_and_b32_e32 v9, 0x30303030, v5
	v_and_or_b32 v10, v6, s16, v4
	v_mad_i64_i32 v[4:5], s[20:21], v58, s5, v[2:3]
	v_add_co_u32_e32 v6, vcc, v4, v18
	v_addc_co_u32_e32 v7, vcc, 0, v5, vcc
	v_add_co_u32_e32 v4, vcc, v4, v20
	v_addc_co_u32_e32 v5, vcc, 0, v5, vcc
	global_load_dword v12, v[6:7], off
	global_load_dword v15, v[4:5], off offset:128
	v_lshlrev_b16_e32 v4, 8, v10
	v_lshlrev_b16_sdwa v6, v202, v10 dst_sel:DWORD dst_unused:UNUSED_PAD src0_sel:DWORD src1_sel:WORD_1
	v_and_b32_e32 v11, 0x3f00, v10
	v_add_u16_e32 v4, 0xe000, v4
	v_and_b32_sdwa v5, v10, s17 dst_sel:DWORD dst_unused:UNUSED_PAD src0_sel:WORD_1 src1_sel:DWORD
	v_add_u16_e32 v6, 0xe000, v6
	v_or_b32_sdwa v4, v11, v4 dst_sel:DWORD dst_unused:UNUSED_PAD src0_sel:DWORD src1_sel:BYTE_1
	v_or_b32_sdwa v5, v5, v6 dst_sel:DWORD dst_unused:UNUSED_PAD src0_sel:DWORD src1_sel:BYTE_1
	v_lshrrev_b32_e32 v8, 4, v8
	v_add_u16_e32 v4, 0xe000, v4
	v_add_u16_sdwa v5, v5, s18 dst_sel:WORD_1 dst_unused:UNUSED_PAD src0_sel:DWORD src1_sel:DWORD
	v_or_b32_e32 v10, v4, v5
	v_and_or_b32 v4, v8, s11, v9
	v_lshlrev_b16_e32 v6, 8, v4
	v_and_b32_e32 v5, 0x3f00, v4
	v_add_u16_e32 v6, 0xe000, v6
	v_or_b32_sdwa v5, v5, v6 dst_sel:DWORD dst_unused:UNUSED_PAD src0_sel:DWORD src1_sel:BYTE_1
	v_add_u16_e32 v8, 0xe000, v5
	v_and_b32_sdwa v9, v4, s17 dst_sel:DWORD dst_unused:UNUSED_PAD src0_sel:WORD_1 src1_sel:DWORD
	v_lshlrev_b16_sdwa v11, v202, v4 dst_sel:DWORD dst_unused:UNUSED_PAD src0_sel:DWORD src1_sel:WORD_1
	v_mad_i64_i32 v[4:5], s[20:21], v62, s5, v[2:3]
	v_add_co_u32_e32 v6, vcc, v4, v18
	v_addc_co_u32_e32 v7, vcc, 0, v5, vcc
	v_add_co_u32_e32 v4, vcc, v4, v20
	v_addc_co_u32_e32 v5, vcc, 0, v5, vcc
	global_load_dword v98, v[6:7], off
	global_load_dword v99, v[4:5], off offset:128
	v_add_u16_e32 v4, 0xe000, v11
	v_or_b32_sdwa v4, v9, v4 dst_sel:DWORD dst_unused:UNUSED_PAD src0_sel:DWORD src1_sel:BYTE_1
	v_add_u16_sdwa v4, v4, s18 dst_sel:WORD_1 dst_unused:UNUSED_PAD src0_sel:DWORD src1_sel:DWORD
	v_or_b32_e32 v4, v8, v4
	ds_write2_b32 v52, v10, v4 offset1:16
	v_mad_i64_i32 v[4:5], s[20:21], v66, s5, v[2:3]
	v_add_co_u32_e32 v6, vcc, v4, v18
	v_addc_co_u32_e32 v7, vcc, 0, v5, vcc
	v_add_co_u32_e32 v4, vcc, v4, v20
	v_addc_co_u32_e32 v5, vcc, 0, v5, vcc
	global_load_dword v8, v[6:7], off
	global_load_dword v9, v[4:5], off offset:128
	s_waitcnt vmcnt(7)
	v_and_b32_e32 v4, 0xf0f0f0f, v13
	s_waitcnt vmcnt(6)
	v_ashrrev_i32_e32 v6, v79, v14
	v_lshlrev_b32_e32 v7, 4, v6
	v_and_or_b32 v4, v7, s16, v4
	v_lshlrev_b16_e32 v10, 8, v4
	v_and_b32_e32 v7, 0x3f00, v4
	v_add_u16_e32 v10, 0xe000, v10
	v_or_b32_sdwa v7, v7, v10 dst_sel:DWORD dst_unused:UNUSED_PAD src0_sel:DWORD src1_sel:BYTE_1
	v_and_b32_sdwa v10, v4, s17 dst_sel:DWORD dst_unused:UNUSED_PAD src0_sel:WORD_1 src1_sel:DWORD
	v_lshlrev_b16_sdwa v4, v202, v4 dst_sel:DWORD dst_unused:UNUSED_PAD src0_sel:DWORD src1_sel:WORD_1
	v_add_u16_e32 v4, 0xe000, v4
	v_lshrrev_b32_e32 v5, 4, v13
	v_and_b32_e32 v6, 0x30303030, v6
	v_or_b32_sdwa v4, v10, v4 dst_sel:DWORD dst_unused:UNUSED_PAD src0_sel:DWORD src1_sel:BYTE_1
	v_add_u16_e32 v7, 0xe000, v7
	v_add_u16_sdwa v4, v4, s18 dst_sel:WORD_1 dst_unused:UNUSED_PAD src0_sel:DWORD src1_sel:DWORD
	v_and_or_b32 v5, v5, s11, v6
	v_or_b32_e32 v4, v7, v4
	v_lshlrev_b16_e32 v7, 8, v5
	v_and_b32_e32 v6, 0x3f00, v5
	v_add_u16_e32 v7, 0xe000, v7
	v_or_b32_sdwa v6, v6, v7 dst_sel:DWORD dst_unused:UNUSED_PAD src0_sel:DWORD src1_sel:BYTE_1
	v_and_b32_sdwa v7, v5, s17 dst_sel:DWORD dst_unused:UNUSED_PAD src0_sel:WORD_1 src1_sel:DWORD
	v_lshlrev_b16_sdwa v5, v202, v5 dst_sel:DWORD dst_unused:UNUSED_PAD src0_sel:DWORD src1_sel:WORD_1
	v_add_u16_e32 v5, 0xe000, v5
	v_or_b32_sdwa v5, v7, v5 dst_sel:DWORD dst_unused:UNUSED_PAD src0_sel:DWORD src1_sel:BYTE_1
	v_add_u16_e32 v6, 0xe000, v6
	v_add_u16_sdwa v5, v5, s18 dst_sel:WORD_1 dst_unused:UNUSED_PAD src0_sel:DWORD src1_sel:DWORD
	v_or_b32_e32 v5, v6, v5
	ds_write2_b32 v56, v4, v5 offset1:16
	s_waitcnt vmcnt(4)
	v_ashrrev_i32_e32 v6, v79, v15
	v_and_b32_e32 v4, 0xf0f0f0f, v12
	v_lshlrev_b32_e32 v7, 4, v6
	v_and_or_b32 v4, v7, s16, v4
	v_lshlrev_b16_e32 v10, 8, v4
	v_and_b32_e32 v7, 0x3f00, v4
	v_add_u16_e32 v10, 0xe000, v10
	v_or_b32_sdwa v7, v7, v10 dst_sel:DWORD dst_unused:UNUSED_PAD src0_sel:DWORD src1_sel:BYTE_1
	v_and_b32_sdwa v10, v4, s17 dst_sel:DWORD dst_unused:UNUSED_PAD src0_sel:WORD_1 src1_sel:DWORD
	v_lshlrev_b16_sdwa v4, v202, v4 dst_sel:DWORD dst_unused:UNUSED_PAD src0_sel:DWORD src1_sel:WORD_1
	v_add_u16_e32 v4, 0xe000, v4
	v_lshrrev_b32_e32 v5, 4, v12
	v_and_b32_e32 v6, 0x30303030, v6
	v_or_b32_sdwa v4, v10, v4 dst_sel:DWORD dst_unused:UNUSED_PAD src0_sel:DWORD src1_sel:BYTE_1
	v_add_u16_e32 v7, 0xe000, v7
	v_add_u16_sdwa v4, v4, s18 dst_sel:WORD_1 dst_unused:UNUSED_PAD src0_sel:DWORD src1_sel:DWORD
	v_and_or_b32 v5, v5, s11, v6
	v_or_b32_e32 v4, v7, v4
	v_lshlrev_b16_e32 v7, 8, v5
	v_and_b32_e32 v6, 0x3f00, v5
	v_add_u16_e32 v7, 0xe000, v7
	v_or_b32_sdwa v6, v6, v7 dst_sel:DWORD dst_unused:UNUSED_PAD src0_sel:DWORD src1_sel:BYTE_1
	v_and_b32_sdwa v7, v5, s17 dst_sel:DWORD dst_unused:UNUSED_PAD src0_sel:WORD_1 src1_sel:DWORD
	v_lshlrev_b16_sdwa v5, v202, v5 dst_sel:DWORD dst_unused:UNUSED_PAD src0_sel:DWORD src1_sel:WORD_1
	v_add_u16_e32 v5, 0xe000, v5
	v_or_b32_sdwa v5, v7, v5 dst_sel:DWORD dst_unused:UNUSED_PAD src0_sel:DWORD src1_sel:BYTE_1
	v_add_u16_e32 v6, 0xe000, v6
	v_add_u16_sdwa v5, v5, s18 dst_sel:WORD_1 dst_unused:UNUSED_PAD src0_sel:DWORD src1_sel:DWORD
	v_or_b32_e32 v5, v6, v5
	ds_write2_b32 v60, v4, v5 offset1:16
	s_waitcnt vmcnt(3)
	v_and_b32_e32 v4, 0xf0f0f0f, v98
	s_waitcnt vmcnt(2)
	v_ashrrev_i32_e32 v6, v79, v99
	v_lshlrev_b32_e32 v7, 4, v6
	v_and_or_b32 v4, v7, s16, v4
	v_lshlrev_b16_e32 v10, 8, v4
	v_and_b32_e32 v7, 0x3f00, v4
	v_add_u16_e32 v10, 0xe000, v10
	v_or_b32_sdwa v7, v7, v10 dst_sel:DWORD dst_unused:UNUSED_PAD src0_sel:DWORD src1_sel:BYTE_1
	v_and_b32_sdwa v10, v4, s17 dst_sel:DWORD dst_unused:UNUSED_PAD src0_sel:WORD_1 src1_sel:DWORD
	v_lshlrev_b16_sdwa v4, v202, v4 dst_sel:DWORD dst_unused:UNUSED_PAD src0_sel:DWORD src1_sel:WORD_1
	v_add_u16_e32 v4, 0xe000, v4
	v_or_b32_sdwa v4, v10, v4 dst_sel:DWORD dst_unused:UNUSED_PAD src0_sel:DWORD src1_sel:BYTE_1
	v_lshrrev_b32_e32 v5, 4, v98
	v_and_b32_e32 v6, 0x30303030, v6
	v_add_u16_e32 v7, 0xe000, v7
	v_add_u16_sdwa v4, v4, s18 dst_sel:WORD_1 dst_unused:UNUSED_PAD src0_sel:DWORD src1_sel:DWORD
	v_or_b32_e32 v10, v7, v4
	v_and_or_b32 v11, v5, s11, v6
	v_mad_i64_i32 v[4:5], s[20:21], v70, s5, v[2:3]
	v_add_co_u32_e32 v6, vcc, v4, v18
	v_addc_co_u32_e32 v7, vcc, 0, v5, vcc
	v_add_co_u32_e32 v4, vcc, v4, v20
	v_addc_co_u32_e32 v5, vcc, 0, v5, vcc
	global_load_dword v13, v[6:7], off
	global_load_dword v14, v[4:5], off offset:128
	v_lshlrev_b16_e32 v4, 8, v11
	v_lshlrev_b16_sdwa v6, v202, v11 dst_sel:DWORD dst_unused:UNUSED_PAD src0_sel:DWORD src1_sel:WORD_1
	v_and_b32_e32 v12, 0x3f00, v11
	v_add_u16_e32 v4, 0xe000, v4
	v_and_b32_sdwa v5, v11, s17 dst_sel:DWORD dst_unused:UNUSED_PAD src0_sel:WORD_1 src1_sel:DWORD
	v_add_u16_e32 v6, 0xe000, v6
	v_or_b32_sdwa v4, v12, v4 dst_sel:DWORD dst_unused:UNUSED_PAD src0_sel:DWORD src1_sel:BYTE_1
	v_or_b32_sdwa v5, v5, v6 dst_sel:DWORD dst_unused:UNUSED_PAD src0_sel:DWORD src1_sel:BYTE_1
	v_add_u16_e32 v4, 0xe000, v4
	v_add_u16_sdwa v5, v5, s18 dst_sel:WORD_1 dst_unused:UNUSED_PAD src0_sel:DWORD src1_sel:DWORD
	v_or_b32_e32 v4, v4, v5
	s_waitcnt vmcnt(2)
	v_ashrrev_i32_e32 v5, v79, v9
	ds_write2_b32 v64, v10, v4 offset1:16
	v_and_b32_e32 v4, 0xf0f0f0f, v8
	v_lshlrev_b32_e32 v6, 4, v5
	v_and_b32_e32 v9, 0x30303030, v5
	v_and_or_b32 v10, v6, s16, v4
	v_mad_i64_i32 v[4:5], s[20:21], v74, s5, v[2:3]
	v_add_co_u32_e32 v6, vcc, v4, v18
	v_addc_co_u32_e32 v7, vcc, 0, v5, vcc
	v_add_co_u32_e32 v4, vcc, v4, v20
	v_addc_co_u32_e32 v5, vcc, 0, v5, vcc
	global_load_dword v12, v[6:7], off
	global_load_dword v15, v[4:5], off offset:128
	v_lshlrev_b16_e32 v4, 8, v10
	v_lshlrev_b16_sdwa v6, v202, v10 dst_sel:DWORD dst_unused:UNUSED_PAD src0_sel:DWORD src1_sel:WORD_1
	v_and_b32_e32 v11, 0x3f00, v10
	v_add_u16_e32 v4, 0xe000, v4
	v_and_b32_sdwa v5, v10, s17 dst_sel:DWORD dst_unused:UNUSED_PAD src0_sel:WORD_1 src1_sel:DWORD
	v_add_u16_e32 v6, 0xe000, v6
	v_or_b32_sdwa v4, v11, v4 dst_sel:DWORD dst_unused:UNUSED_PAD src0_sel:DWORD src1_sel:BYTE_1
	v_or_b32_sdwa v5, v5, v6 dst_sel:DWORD dst_unused:UNUSED_PAD src0_sel:DWORD src1_sel:BYTE_1
	v_lshrrev_b32_e32 v8, 4, v8
	v_add_u16_e32 v4, 0xe000, v4
	v_add_u16_sdwa v5, v5, s18 dst_sel:WORD_1 dst_unused:UNUSED_PAD src0_sel:DWORD src1_sel:DWORD
	v_or_b32_e32 v4, v4, v5
	v_and_or_b32 v5, v8, s11, v9
	v_lshlrev_b16_e32 v7, 8, v5
	v_and_b32_e32 v6, 0x3f00, v5
	v_add_u16_e32 v7, 0xe000, v7
	v_or_b32_sdwa v6, v6, v7 dst_sel:DWORD dst_unused:UNUSED_PAD src0_sel:DWORD src1_sel:BYTE_1
	v_and_b32_sdwa v7, v5, s17 dst_sel:DWORD dst_unused:UNUSED_PAD src0_sel:WORD_1 src1_sel:DWORD
	v_lshlrev_b16_sdwa v5, v202, v5 dst_sel:DWORD dst_unused:UNUSED_PAD src0_sel:DWORD src1_sel:WORD_1
	v_add_u16_e32 v5, 0xe000, v5
	v_or_b32_sdwa v5, v7, v5 dst_sel:DWORD dst_unused:UNUSED_PAD src0_sel:DWORD src1_sel:BYTE_1
	v_add_u16_e32 v6, 0xe000, v6
	v_add_u16_sdwa v5, v5, s18 dst_sel:WORD_1 dst_unused:UNUSED_PAD src0_sel:DWORD src1_sel:DWORD
	v_or_b32_e32 v5, v6, v5
	ds_write2_b32 v68, v4, v5 offset1:16
	v_mad_i64_i32 v[4:5], s[20:21], v78, s5, v[2:3]
	v_add_co_u32_e32 v6, vcc, v4, v18
	v_addc_co_u32_e32 v7, vcc, 0, v5, vcc
	v_add_co_u32_e32 v4, vcc, v4, v20
	v_addc_co_u32_e32 v5, vcc, 0, v5, vcc
	v_mad_i64_i32 v[2:3], s[20:21], v82, s5, v[2:3]
	v_add_co_u32_e32 v8, vcc, v2, v18
	v_addc_co_u32_e32 v9, vcc, 0, v3, vcc
	v_add_co_u32_e32 v2, vcc, v2, v20
	v_addc_co_u32_e32 v3, vcc, 0, v3, vcc
	global_load_dword v100, v[6:7], off
	global_load_dword v101, v[4:5], off offset:128
	global_load_dword v102, v[8:9], off
	global_load_dword v103, v[2:3], off offset:128
	s_mov_b32 s21, 0
	s_waitcnt vmcnt(7)
	v_and_b32_e32 v2, 0xf0f0f0f, v13
	s_waitcnt vmcnt(6)
	v_ashrrev_i32_e32 v4, v79, v14
	v_lshlrev_b32_e32 v5, 4, v4
	v_and_or_b32 v2, v5, s16, v2
	v_lshlrev_b16_e32 v6, 8, v2
	v_and_b32_e32 v5, 0x3f00, v2
	v_add_u16_e32 v6, 0xe000, v6
	v_or_b32_sdwa v5, v5, v6 dst_sel:DWORD dst_unused:UNUSED_PAD src0_sel:DWORD src1_sel:BYTE_1
	v_and_b32_sdwa v6, v2, s17 dst_sel:DWORD dst_unused:UNUSED_PAD src0_sel:WORD_1 src1_sel:DWORD
	v_lshlrev_b16_sdwa v2, v202, v2 dst_sel:DWORD dst_unused:UNUSED_PAD src0_sel:DWORD src1_sel:WORD_1
	v_add_u16_e32 v2, 0xe000, v2
	v_lshrrev_b32_e32 v3, 4, v13
	v_and_b32_e32 v4, 0x30303030, v4
	v_or_b32_sdwa v2, v6, v2 dst_sel:DWORD dst_unused:UNUSED_PAD src0_sel:DWORD src1_sel:BYTE_1
	v_add_u16_e32 v5, 0xe000, v5
	v_add_u16_sdwa v2, v2, s18 dst_sel:WORD_1 dst_unused:UNUSED_PAD src0_sel:DWORD src1_sel:DWORD
	v_and_or_b32 v3, v3, s11, v4
	v_or_b32_e32 v2, v5, v2
	v_lshlrev_b16_e32 v5, 8, v3
	v_and_b32_e32 v4, 0x3f00, v3
	v_add_u16_e32 v5, 0xe000, v5
	v_or_b32_sdwa v4, v4, v5 dst_sel:DWORD dst_unused:UNUSED_PAD src0_sel:DWORD src1_sel:BYTE_1
	v_and_b32_sdwa v5, v3, s17 dst_sel:DWORD dst_unused:UNUSED_PAD src0_sel:WORD_1 src1_sel:DWORD
	v_lshlrev_b16_sdwa v3, v202, v3 dst_sel:DWORD dst_unused:UNUSED_PAD src0_sel:DWORD src1_sel:WORD_1
	v_add_u16_e32 v3, 0xe000, v3
	v_or_b32_sdwa v3, v5, v3 dst_sel:DWORD dst_unused:UNUSED_PAD src0_sel:DWORD src1_sel:BYTE_1
	v_add_u16_e32 v4, 0xe000, v4
	v_add_u16_sdwa v3, v3, s18 dst_sel:WORD_1 dst_unused:UNUSED_PAD src0_sel:DWORD src1_sel:DWORD
	v_or_b32_e32 v3, v4, v3
	ds_write2_b32 v72, v2, v3 offset1:16
	s_waitcnt vmcnt(4)
	v_ashrrev_i32_e32 v4, v79, v15
	v_and_b32_e32 v2, 0xf0f0f0f, v12
	v_lshlrev_b32_e32 v5, 4, v4
	v_and_or_b32 v2, v5, s16, v2
	v_lshlrev_b16_e32 v6, 8, v2
	v_and_b32_e32 v5, 0x3f00, v2
	v_add_u16_e32 v6, 0xe000, v6
	v_or_b32_sdwa v5, v5, v6 dst_sel:DWORD dst_unused:UNUSED_PAD src0_sel:DWORD src1_sel:BYTE_1
	v_and_b32_sdwa v6, v2, s17 dst_sel:DWORD dst_unused:UNUSED_PAD src0_sel:WORD_1 src1_sel:DWORD
	v_lshlrev_b16_sdwa v2, v202, v2 dst_sel:DWORD dst_unused:UNUSED_PAD src0_sel:DWORD src1_sel:WORD_1
	v_lshrrev_b32_e32 v3, 4, v12
	v_and_b32_e32 v4, 0x30303030, v4
	v_add_u16_e32 v2, 0xe000, v2
	v_or_b32_sdwa v2, v6, v2 dst_sel:DWORD dst_unused:UNUSED_PAD src0_sel:DWORD src1_sel:BYTE_1
	v_and_or_b32 v105, v3, s11, v4
	v_add_u16_e32 v5, 0xe000, v5
	v_add_u16_sdwa v2, v2, s18 dst_sel:WORD_1 dst_unused:UNUSED_PAD src0_sel:DWORD src1_sel:DWORD
	v_lshlrev_b16_e32 v3, 8, v105
	v_or_b32_e32 v104, v5, v2
	v_and_b32_e32 v2, 0x3f00, v105
	v_add_u16_e32 v3, 0xe000, v3
	v_or_b32_sdwa v2, v2, v3 dst_sel:DWORD dst_unused:UNUSED_PAD src0_sel:DWORD src1_sel:BYTE_1
	v_add_u16_e32 v106, 0xe000, v2
	v_mov_b32_e32 v3, s1
	v_add_co_u32_e32 v2, vcc, s0, v88
	v_addc_co_u32_e32 v3, vcc, 0, v3, vcc
	v_mad_i64_i32 v[4:5], s[0:1], v90, s5, v[2:3]
	v_mad_i64_i32 v[2:3], s[0:1], v92, s5, v[2:3]
	v_add_u32_e32 v14, s19, v93
	global_load_ushort v107, v[0:1], off offset:208
	global_load_dword v108, v[4:5], off offset:192
	global_load_dword v109, v[2:3], off offset:192
	v_add_u32_e32 v0, v14, v164
	v_add_u32_e32 v2, v14, v166
	;; [unrolled: 1-line block ×5, first 2 shown]
	v_mad_i64_i32 v[0:1], s[0:1], v0, 36, v[94:95]
	v_mad_i64_i32 v[2:3], s[0:1], v2, 36, v[94:95]
	;; [unrolled: 1-line block ×5, first 2 shown]
	v_add_u32_e32 v10, v14, v178
	v_add_u32_e32 v12, v14, v181
	;; [unrolled: 1-line block ×3, first 2 shown]
	v_mad_i64_i32 v[10:11], s[0:1], v10, 36, v[94:95]
	v_mad_i64_i32 v[12:13], s[0:1], v12, 36, v[94:95]
	;; [unrolled: 1-line block ×3, first 2 shown]
	v_mad_u64_u32 v[98:99], s[0:1], v203, 36, s[2:3]
	global_load_dword v0, v[0:1], off offset:4
	s_nop 0
	global_load_dword v1, v[2:3], off offset:4
	s_nop 0
	global_load_dword v2, v[4:5], off offset:4
	global_load_dword v3, v[6:7], off offset:4
	s_nop 0
	global_load_dword v4, v[8:9], off offset:4
	global_load_dword v5, v[98:99], off
	global_load_dword v6, v[10:11], off offset:4
	global_load_dword v7, v[12:13], off offset:4
	s_nop 0
	global_load_dword v8, v[14:15], off offset:4
	v_lshlrev_b16_sdwa v10, v202, v105 dst_sel:DWORD dst_unused:UNUSED_PAD src0_sel:DWORD src1_sel:WORD_1
	v_and_b32_sdwa v9, v105, s17 dst_sel:DWORD dst_unused:UNUSED_PAD src0_sel:WORD_1 src1_sel:DWORD
	v_add_u16_e32 v10, 0xe000, v10
	v_or_b32_sdwa v9, v9, v10 dst_sel:DWORD dst_unused:UNUSED_PAD src0_sel:DWORD src1_sel:BYTE_1
	v_add_u16_sdwa v9, v9, s18 dst_sel:WORD_1 dst_unused:UNUSED_PAD src0_sel:DWORD src1_sel:DWORD
	v_or_b32_e32 v9, v106, v9
	s_waitcnt vmcnt(14)
	v_ashrrev_i32_e32 v11, v79, v101
	ds_write2_b32 v76, v104, v9 offset1:16
	v_and_b32_e32 v9, 0xf0f0f0f, v100
	v_lshlrev_b32_e32 v12, 4, v11
	v_and_or_b32 v9, v12, s16, v9
	v_lshlrev_b16_e32 v13, 8, v9
	v_and_b32_e32 v12, 0x3f00, v9
	v_add_u16_e32 v13, 0xe000, v13
	v_or_b32_sdwa v12, v12, v13 dst_sel:DWORD dst_unused:UNUSED_PAD src0_sel:DWORD src1_sel:BYTE_1
	v_and_b32_sdwa v13, v9, s17 dst_sel:DWORD dst_unused:UNUSED_PAD src0_sel:WORD_1 src1_sel:DWORD
	v_lshlrev_b16_sdwa v9, v202, v9 dst_sel:DWORD dst_unused:UNUSED_PAD src0_sel:DWORD src1_sel:WORD_1
	v_add_u16_e32 v9, 0xe000, v9
	v_lshrrev_b32_e32 v10, 4, v100
	v_and_b32_e32 v11, 0x30303030, v11
	v_or_b32_sdwa v9, v13, v9 dst_sel:DWORD dst_unused:UNUSED_PAD src0_sel:DWORD src1_sel:BYTE_1
	v_add_u16_e32 v12, 0xe000, v12
	v_add_u16_sdwa v9, v9, s18 dst_sel:WORD_1 dst_unused:UNUSED_PAD src0_sel:DWORD src1_sel:DWORD
	v_and_or_b32 v10, v10, s11, v11
	v_or_b32_e32 v9, v12, v9
	v_lshlrev_b16_e32 v12, 8, v10
	v_and_b32_e32 v11, 0x3f00, v10
	v_add_u16_e32 v12, 0xe000, v12
	v_or_b32_sdwa v11, v11, v12 dst_sel:DWORD dst_unused:UNUSED_PAD src0_sel:DWORD src1_sel:BYTE_1
	v_and_b32_sdwa v12, v10, s17 dst_sel:DWORD dst_unused:UNUSED_PAD src0_sel:WORD_1 src1_sel:DWORD
	v_lshlrev_b16_sdwa v10, v202, v10 dst_sel:DWORD dst_unused:UNUSED_PAD src0_sel:DWORD src1_sel:WORD_1
	v_add_u16_e32 v10, 0xe000, v10
	v_or_b32_sdwa v10, v12, v10 dst_sel:DWORD dst_unused:UNUSED_PAD src0_sel:DWORD src1_sel:BYTE_1
	v_add_u16_e32 v11, 0xe000, v11
	v_add_u16_sdwa v10, v10, s18 dst_sel:WORD_1 dst_unused:UNUSED_PAD src0_sel:DWORD src1_sel:DWORD
	v_or_b32_e32 v10, v11, v10
	s_waitcnt vmcnt(12)
	v_ashrrev_i32_e32 v11, v79, v103
	ds_write2_b32 v80, v9, v10 offset1:16
	v_and_b32_e32 v9, 0xf0f0f0f, v102
	v_lshlrev_b32_e32 v12, 4, v11
	v_and_or_b32 v9, v12, s16, v9
	v_lshlrev_b16_e32 v13, 8, v9
	v_and_b32_e32 v12, 0x3f00, v9
	v_add_u16_e32 v13, 0xe000, v13
	v_or_b32_sdwa v12, v12, v13 dst_sel:DWORD dst_unused:UNUSED_PAD src0_sel:DWORD src1_sel:BYTE_1
	v_and_b32_sdwa v13, v9, s17 dst_sel:DWORD dst_unused:UNUSED_PAD src0_sel:WORD_1 src1_sel:DWORD
	v_lshlrev_b16_sdwa v9, v202, v9 dst_sel:DWORD dst_unused:UNUSED_PAD src0_sel:DWORD src1_sel:WORD_1
	v_add_u16_e32 v9, 0xe000, v9
	v_lshrrev_b32_e32 v10, 4, v102
	v_and_b32_e32 v11, 0x30303030, v11
	v_or_b32_sdwa v9, v13, v9 dst_sel:DWORD dst_unused:UNUSED_PAD src0_sel:DWORD src1_sel:BYTE_1
	v_add_u16_e32 v12, 0xe000, v12
	v_add_u16_sdwa v9, v9, s18 dst_sel:WORD_1 dst_unused:UNUSED_PAD src0_sel:DWORD src1_sel:DWORD
	v_and_or_b32 v10, v10, s11, v11
	v_or_b32_e32 v9, v12, v9
	v_lshlrev_b16_e32 v12, 8, v10
	v_and_b32_e32 v11, 0x3f00, v10
	v_add_u16_e32 v12, 0xe000, v12
	v_or_b32_sdwa v11, v11, v12 dst_sel:DWORD dst_unused:UNUSED_PAD src0_sel:DWORD src1_sel:BYTE_1
	v_and_b32_sdwa v12, v10, s17 dst_sel:DWORD dst_unused:UNUSED_PAD src0_sel:WORD_1 src1_sel:DWORD
	v_lshlrev_b16_sdwa v10, v202, v10 dst_sel:DWORD dst_unused:UNUSED_PAD src0_sel:DWORD src1_sel:WORD_1
	v_add_u16_e32 v10, 0xe000, v10
	v_or_b32_sdwa v10, v12, v10 dst_sel:DWORD dst_unused:UNUSED_PAD src0_sel:DWORD src1_sel:BYTE_1
	s_waitcnt vmcnt(11)
	v_cvt_f32_f16_e32 v12, v107
	v_add_u16_e32 v11, 0xe000, v11
	v_add_u16_sdwa v10, v10, s18 dst_sel:WORD_1 dst_unused:UNUSED_PAD src0_sel:DWORD src1_sel:DWORD
	v_or_b32_e32 v10, v11, v10
	ds_write2_b32 v84, v9, v10 offset1:16
	ds_write_b32 v87, v12
	s_waitcnt vmcnt(10)
	ds_write_b32 v200, v108
	s_waitcnt vmcnt(9)
	;; [unrolled: 2-line block ×8, first 2 shown]
	v_cvt_f32_f16_e32 v0, v5
	s_waitcnt vmcnt(2)
	ds_write_b32 v180, v6
	s_waitcnt vmcnt(1)
	ds_write_b32 v183, v7
	;; [unrolled: 2-line block ×3, first 2 shown]
	ds_write_b32 v91, v0
	s_waitcnt lgkmcnt(0)
	s_barrier
	ds_read_b32 v204, v187
	ds_read_b32 v205, v189 offset:128
	ds_read_b32 v206, v190 offset:256
	;; [unrolled: 1-line block ×3, first 2 shown]
	s_mov_b64 s[0:1], -1
.LBB176_6:                              ;   Parent Loop BB176_5 Depth=1
                                        ; =>  This Inner Loop Header: Depth=2
	s_lshl_b32 s20, s21, 1
	v_or_b32_e32 v0, s20, v83
	v_lshlrev_b32_e32 v12, 2, v0
	s_lshr_b32 s22, s21, 1
	s_lshl_b32 s21, s21, 3
	v_lshrrev_b32_e32 v98, 1, v0
	ds_read_b128 v[0:3], v12 offset:33280
	ds_read_b128 v[4:7], v12 offset:33296
	;; [unrolled: 1-line block ×4, first 2 shown]
	ds_read_b64 v[162:163], v98 offset:43584
	v_add_u32_e32 v106, s22, v192
	v_add_u32_e32 v107, s21, v193
	ds_read2_b32 v[102:103], v107 offset0:6 offset1:7
	ds_read2_b32 v[104:105], v107 offset0:4 offset1:5
	;; [unrolled: 1-line block ×3, first 2 shown]
	ds_read2_b32 v[100:101], v107 offset1:1
	ds_read_b32 v108, v106
	ds_read2_b32 v[158:159], v107 offset0:14 offset1:15
	ds_read2_b32 v[160:161], v107 offset0:12 offset1:13
	v_mov_b32_e32 v106, 0
	ds_read2_b32 v[114:115], v107 offset0:10 offset1:11
	ds_read2_b32 v[116:117], v107 offset0:8 offset1:9
	s_waitcnt lgkmcnt(7)
	v_dot4c_i32_i8_e32 v106, v104, v4
	v_mov_b32_e32 v107, 0
	v_dot4c_i32_i8_e32 v106, v105, v5
	s_waitcnt lgkmcnt(5)
	v_dot4c_i32_i8_e32 v107, v100, v0
	v_dot4c_i32_i8_e32 v106, v102, v6
	;; [unrolled: 1-line block ×4, first 2 shown]
	s_waitcnt lgkmcnt(4)
	v_bfe_i32 v208, v108, 8, 8
	v_dot4c_i32_i8_e32 v107, v98, v2
	v_dot4c_i32_i8_e32 v107, v99, v3
	v_mul_lo_u32 v106, v106, v208
	v_bfe_i32 v209, v108, 0, 8
	v_mov_b32_e32 v109, 0
	v_mad_u64_u32 v[106:107], s[24:25], v107, v209, v[106:107]
	s_waitcnt lgkmcnt(2)
	v_dot4c_i32_i8_e32 v109, v160, v12
	v_mov_b32_e32 v110, 0
	v_cvt_f32_i32_e32 v106, v106
	v_dot4c_i32_i8_e32 v109, v161, v13
	s_waitcnt lgkmcnt(0)
	v_dot4c_i32_i8_e32 v110, v116, v8
	v_dot4c_i32_i8_e32 v109, v158, v14
	;; [unrolled: 1-line block ×5, first 2 shown]
	v_ashrrev_i32_e32 v211, 24, v108
	v_dot4c_i32_i8_e32 v110, v115, v11
	v_fma_f32 v111, v162, v106, 0
	v_bfe_i32 v210, v108, 16, 8
	v_mul_lo_u32 v106, v109, v211
	v_mad_u64_u32 v[106:107], s[24:25], v110, v210, v[106:107]
	v_cvt_f32_i32_e32 v106, v106
	v_add_u32_e32 v118, s22, v194
	v_add_u32_e32 v122, s21, v195
	v_mov_b32_e32 v123, 0
	v_fmac_f32_e32 v111, v163, v106
	v_fmac_f32_e32 v97, v204, v111
	ds_read2_b32 v[110:111], v122 offset0:6 offset1:7
	ds_read2_b32 v[112:113], v122 offset0:4 offset1:5
	ds_read2_b32 v[106:107], v122 offset0:2 offset1:3
	ds_read2_b32 v[108:109], v122 offset1:1
	ds_read_b32 v124, v118
	ds_read2_b32 v[118:119], v122 offset0:14 offset1:15
	ds_read2_b32 v[120:121], v122 offset0:12 offset1:13
	;; [unrolled: 1-line block ×4, first 2 shown]
	v_mov_b32_e32 v122, 0
	s_waitcnt lgkmcnt(7)
	v_dot4c_i32_i8_e32 v122, v112, v4
	v_dot4c_i32_i8_e32 v122, v113, v5
	s_waitcnt lgkmcnt(5)
	v_dot4c_i32_i8_e32 v123, v108, v0
	v_dot4c_i32_i8_e32 v122, v110, v6
	;; [unrolled: 1-line block ×4, first 2 shown]
	s_waitcnt lgkmcnt(4)
	v_bfe_i32 v212, v124, 8, 8
	v_dot4c_i32_i8_e32 v123, v106, v2
	v_dot4c_i32_i8_e32 v123, v107, v3
	v_mul_lo_u32 v122, v122, v212
	v_bfe_i32 v213, v124, 0, 8
	v_mov_b32_e32 v125, 0
	v_mad_u64_u32 v[122:123], s[24:25], v123, v213, v[122:123]
	s_waitcnt lgkmcnt(2)
	v_dot4c_i32_i8_e32 v125, v120, v12
	v_mov_b32_e32 v126, 0
	v_cvt_f32_i32_e32 v122, v122
	v_dot4c_i32_i8_e32 v125, v121, v13
	s_waitcnt lgkmcnt(0)
	v_dot4c_i32_i8_e32 v126, v136, v8
	v_dot4c_i32_i8_e32 v125, v118, v14
	;; [unrolled: 1-line block ×5, first 2 shown]
	v_ashrrev_i32_e32 v215, 24, v124
	v_dot4c_i32_i8_e32 v126, v133, v11
	v_fma_f32 v127, v162, v122, 0
	v_bfe_i32 v214, v124, 16, 8
	v_mul_lo_u32 v122, v125, v215
	v_mad_u64_u32 v[122:123], s[24:25], v126, v214, v[122:123]
	v_cvt_f32_i32_e32 v122, v122
	v_add_u32_e32 v130, s22, v196
	v_add_u32_e32 v131, s21, v197
	v_mov_b32_e32 v135, 0
	v_fmac_f32_e32 v127, v163, v122
	v_fmac_f32_e32 v89, v205, v127
	ds_read2_b32 v[126:127], v131 offset0:6 offset1:7
	ds_read2_b32 v[128:129], v131 offset0:4 offset1:5
	;; [unrolled: 1-line block ×3, first 2 shown]
	ds_read2_b32 v[124:125], v131 offset1:1
	ds_read_b32 v134, v130
	ds_read2_b32 v[138:139], v131 offset0:14 offset1:15
	ds_read2_b32 v[140:141], v131 offset0:12 offset1:13
	v_mov_b32_e32 v130, 0
	ds_read2_b32 v[148:149], v131 offset0:10 offset1:11
	ds_read2_b32 v[152:153], v131 offset0:8 offset1:9
	s_waitcnt lgkmcnt(7)
	v_dot4c_i32_i8_e32 v130, v128, v4
	v_mov_b32_e32 v131, 0
	v_dot4c_i32_i8_e32 v130, v129, v5
	s_waitcnt lgkmcnt(5)
	v_dot4c_i32_i8_e32 v131, v124, v0
	v_dot4c_i32_i8_e32 v130, v126, v6
	v_dot4c_i32_i8_e32 v131, v125, v1
	v_dot4c_i32_i8_e32 v130, v127, v7
	s_waitcnt lgkmcnt(4)
	v_bfe_i32 v216, v134, 8, 8
	v_dot4c_i32_i8_e32 v131, v122, v2
	v_dot4c_i32_i8_e32 v131, v123, v3
	v_mul_lo_u32 v130, v130, v216
	v_bfe_i32 v217, v134, 0, 8
	s_waitcnt lgkmcnt(2)
	v_dot4c_i32_i8_e32 v135, v140, v12
	v_mad_u64_u32 v[130:131], s[24:25], v131, v217, v[130:131]
	v_mov_b32_e32 v142, 0
	v_cvt_f32_i32_e32 v130, v130
	v_dot4c_i32_i8_e32 v135, v141, v13
	s_waitcnt lgkmcnt(0)
	v_dot4c_i32_i8_e32 v142, v152, v8
	v_dot4c_i32_i8_e32 v135, v138, v14
	v_dot4c_i32_i8_e32 v142, v153, v9
	v_dot4c_i32_i8_e32 v135, v139, v15
	v_dot4c_i32_i8_e32 v142, v148, v10
	v_ashrrev_i32_e32 v219, 24, v134
	v_dot4c_i32_i8_e32 v142, v149, v11
	v_fma_f32 v143, v162, v130, 0
	v_bfe_i32 v218, v134, 16, 8
	v_mul_lo_u32 v130, v135, v219
	v_mad_u64_u32 v[130:131], s[24:25], v142, v218, v[130:131]
	v_cvt_f32_i32_e32 v130, v130
	v_add_u32_e32 v146, s22, v198
	v_add_u32_e32 v156, s21, v199
	v_mov_b32_e32 v224, 0
	v_fmac_f32_e32 v143, v163, v130
	v_fmac_f32_e32 v85, v206, v143
	ds_read2_b32 v[142:143], v156 offset0:6 offset1:7
	ds_read2_b32 v[144:145], v156 offset0:4 offset1:5
	;; [unrolled: 1-line block ×3, first 2 shown]
	ds_read2_b32 v[134:135], v156 offset1:1
	ds_read_b32 v223, v146
	ds_read2_b32 v[146:147], v156 offset0:14 offset1:15
	ds_read2_b32 v[150:151], v156 offset0:12 offset1:13
	;; [unrolled: 1-line block ×4, first 2 shown]
	v_mov_b32_e32 v225, 0
	s_waitcnt lgkmcnt(4)
	v_bfe_i32 v220, v223, 8, 8
	v_bfe_i32 v221, v223, 0, 8
	s_waitcnt lgkmcnt(2)
	v_dot4c_i32_i8_e32 v224, v150, v12
	v_mov_b32_e32 v12, 0
	s_waitcnt lgkmcnt(0)
	v_dot4c_i32_i8_e32 v12, v156, v8
	v_mov_b32_e32 v8, 0
	v_dot4c_i32_i8_e32 v8, v144, v4
	v_dot4c_i32_i8_e32 v8, v145, v5
	v_mov_b32_e32 v5, 0
	v_dot4c_i32_i8_e32 v5, v134, v0
	v_dot4c_i32_i8_e32 v8, v142, v6
	;; [unrolled: 1-line block ×7, first 2 shown]
	v_mul_lo_u32 v4, v8, v220
	v_dot4c_i32_i8_e32 v224, v146, v14
	v_mad_u64_u32 v[0:1], s[22:23], v5, v221, v[4:5]
	v_cvt_f32_i32_e32 v0, v0
	v_dot4c_i32_i8_e32 v12, v157, v9
	v_dot4c_i32_i8_e32 v224, v147, v15
	;; [unrolled: 1-line block ×3, first 2 shown]
	v_bfe_i32 v222, v223, 16, 8
	v_ashrrev_i32_e32 v223, 24, v223
	v_dot4c_i32_i8_e32 v12, v155, v11
	v_fma_f32 v2, v162, v0, 0
	v_mul_lo_u32 v0, v224, v223
	v_mov_b32_e32 v224, 0
	v_mad_u64_u32 v[0:1], s[22:23], v12, v222, v[0:1]
	v_cvt_f32_i32_e32 v0, v0
	v_mov_b32_e32 v226, 0
	v_mov_b32_e32 v227, 0
	s_and_b64 vcc, exec, s[0:1]
	v_fmac_f32_e32 v2, v163, v0
	v_or_b32_e32 v0, s20, v167
	v_lshlrev_b32_e32 v12, 2, v0
	v_lshrrev_b32_e32 v162, 1, v0
	v_fmac_f32_e32 v81, v207, v2
	ds_read_b128 v[0:3], v12 offset:33280
	ds_read_b128 v[4:7], v12 offset:33296
	;; [unrolled: 1-line block ×4, first 2 shown]
	ds_read_b64 v[162:163], v162 offset:43584
	s_waitcnt lgkmcnt(4)
	v_dot4c_i32_i8_e32 v225, v100, v0
	s_waitcnt lgkmcnt(3)
	v_dot4c_i32_i8_e32 v224, v104, v4
	v_dot4c_i32_i8_e32 v224, v105, v5
	;; [unrolled: 1-line block ×7, first 2 shown]
	s_waitcnt lgkmcnt(1)
	v_dot4c_i32_i8_e32 v226, v160, v12
	v_mul_lo_u32 v224, v224, v208
	v_dot4c_i32_i8_e32 v226, v161, v13
	v_mad_u64_u32 v[224:225], s[22:23], v225, v209, v[224:225]
	v_cvt_f32_i32_e32 v224, v224
	v_dot4c_i32_i8_e32 v227, v116, v8
	v_dot4c_i32_i8_e32 v226, v158, v14
	v_dot4c_i32_i8_e32 v227, v117, v9
	v_dot4c_i32_i8_e32 v226, v159, v15
	v_dot4c_i32_i8_e32 v227, v114, v10
	v_dot4c_i32_i8_e32 v227, v115, v11
	s_waitcnt lgkmcnt(0)
	v_fma_f32 v228, v162, v224, 0
	v_mul_lo_u32 v224, v226, v211
	v_mov_b32_e32 v226, 0
	v_mad_u64_u32 v[224:225], s[22:23], v227, v210, v[224:225]
	v_cvt_f32_i32_e32 v224, v224
	v_mov_b32_e32 v225, 0
	v_dot4c_i32_i8_e32 v225, v108, v0
	v_dot4c_i32_i8_e32 v225, v109, v1
	v_fmac_f32_e32 v228, v163, v224
	v_mov_b32_e32 v224, 0
	v_dot4c_i32_i8_e32 v224, v112, v4
	v_dot4c_i32_i8_e32 v224, v113, v5
	;; [unrolled: 1-line block ×7, first 2 shown]
	v_mul_lo_u32 v224, v224, v212
	v_mov_b32_e32 v227, 0
	v_mad_u64_u32 v[224:225], s[22:23], v225, v213, v[224:225]
	v_cvt_f32_i32_e32 v224, v224
	v_dot4c_i32_i8_e32 v226, v121, v13
	v_dot4c_i32_i8_e32 v227, v136, v8
	;; [unrolled: 1-line block ×6, first 2 shown]
	v_fmac_f32_e32 v77, v204, v228
	v_dot4c_i32_i8_e32 v227, v133, v11
	v_fma_f32 v228, v162, v224, 0
	v_mul_lo_u32 v224, v226, v215
	v_mov_b32_e32 v226, 0
	v_mad_u64_u32 v[224:225], s[22:23], v227, v214, v[224:225]
	v_cvt_f32_i32_e32 v224, v224
	v_mov_b32_e32 v225, 0
	v_dot4c_i32_i8_e32 v225, v124, v0
	v_dot4c_i32_i8_e32 v225, v125, v1
	v_fmac_f32_e32 v228, v163, v224
	v_mov_b32_e32 v224, 0
	v_dot4c_i32_i8_e32 v224, v128, v4
	v_dot4c_i32_i8_e32 v224, v129, v5
	;; [unrolled: 1-line block ×7, first 2 shown]
	v_mul_lo_u32 v224, v224, v216
	v_mov_b32_e32 v227, 0
	v_mad_u64_u32 v[224:225], s[22:23], v225, v217, v[224:225]
	v_cvt_f32_i32_e32 v224, v224
	v_dot4c_i32_i8_e32 v226, v141, v13
	v_dot4c_i32_i8_e32 v227, v152, v8
	;; [unrolled: 1-line block ×6, first 2 shown]
	v_fmac_f32_e32 v75, v205, v228
	v_dot4c_i32_i8_e32 v227, v149, v11
	v_fma_f32 v228, v162, v224, 0
	v_mul_lo_u32 v224, v226, v219
	v_mov_b32_e32 v226, 0
	v_mad_u64_u32 v[224:225], s[22:23], v227, v218, v[224:225]
	v_cvt_f32_i32_e32 v224, v224
	v_mov_b32_e32 v225, 0
	v_mov_b32_e32 v227, 0
	s_mov_b64 s[0:1], 0
	v_fmac_f32_e32 v228, v163, v224
	v_mov_b32_e32 v224, 0
	v_dot4c_i32_i8_e32 v224, v150, v12
	v_mov_b32_e32 v12, 0
	v_dot4c_i32_i8_e32 v12, v156, v8
	;; [unrolled: 2-line block ×3, first 2 shown]
	v_dot4c_i32_i8_e32 v8, v145, v5
	v_mov_b32_e32 v5, 0
	v_dot4c_i32_i8_e32 v5, v134, v0
	v_dot4c_i32_i8_e32 v8, v142, v6
	;; [unrolled: 1-line block ×7, first 2 shown]
	v_mul_lo_u32 v4, v8, v220
	v_dot4c_i32_i8_e32 v224, v146, v14
	v_mad_u64_u32 v[0:1], s[22:23], v5, v221, v[4:5]
	v_cvt_f32_i32_e32 v0, v0
	v_dot4c_i32_i8_e32 v12, v157, v9
	v_dot4c_i32_i8_e32 v224, v147, v15
	;; [unrolled: 1-line block ×4, first 2 shown]
	v_fma_f32 v2, v162, v0, 0
	v_mul_lo_u32 v0, v224, v223
	v_mov_b32_e32 v224, 0
	v_mad_u64_u32 v[0:1], s[22:23], v12, v222, v[0:1]
	v_cvt_f32_i32_e32 v0, v0
	v_fmac_f32_e32 v71, v206, v228
	v_fmac_f32_e32 v2, v163, v0
	v_or_b32_e32 v0, s20, v170
	v_lshlrev_b32_e32 v12, 2, v0
	v_lshrrev_b32_e32 v162, 1, v0
	v_fmac_f32_e32 v69, v207, v2
	ds_read_b128 v[0:3], v12 offset:33280
	ds_read_b128 v[4:7], v12 offset:33296
	;; [unrolled: 1-line block ×4, first 2 shown]
	ds_read_b64 v[162:163], v162 offset:43584
	s_waitcnt lgkmcnt(4)
	v_dot4c_i32_i8_e32 v225, v100, v0
	s_waitcnt lgkmcnt(3)
	v_dot4c_i32_i8_e32 v224, v104, v4
	v_dot4c_i32_i8_e32 v224, v105, v5
	;; [unrolled: 1-line block ×7, first 2 shown]
	s_waitcnt lgkmcnt(1)
	v_dot4c_i32_i8_e32 v226, v160, v12
	v_mul_lo_u32 v224, v224, v208
	v_dot4c_i32_i8_e32 v226, v161, v13
	v_mad_u64_u32 v[224:225], s[22:23], v225, v209, v[224:225]
	v_cvt_f32_i32_e32 v224, v224
	v_dot4c_i32_i8_e32 v227, v116, v8
	v_dot4c_i32_i8_e32 v226, v158, v14
	;; [unrolled: 1-line block ×6, first 2 shown]
	s_waitcnt lgkmcnt(0)
	v_fma_f32 v228, v162, v224, 0
	v_mul_lo_u32 v224, v226, v211
	v_mov_b32_e32 v226, 0
	v_mad_u64_u32 v[224:225], s[22:23], v227, v210, v[224:225]
	v_cvt_f32_i32_e32 v224, v224
	v_mov_b32_e32 v225, 0
	v_dot4c_i32_i8_e32 v225, v108, v0
	v_dot4c_i32_i8_e32 v225, v109, v1
	v_fmac_f32_e32 v228, v163, v224
	v_mov_b32_e32 v224, 0
	v_dot4c_i32_i8_e32 v224, v112, v4
	v_dot4c_i32_i8_e32 v224, v113, v5
	;; [unrolled: 1-line block ×7, first 2 shown]
	v_mul_lo_u32 v224, v224, v212
	v_mov_b32_e32 v227, 0
	v_mad_u64_u32 v[224:225], s[22:23], v225, v213, v[224:225]
	v_cvt_f32_i32_e32 v224, v224
	v_dot4c_i32_i8_e32 v226, v121, v13
	v_dot4c_i32_i8_e32 v227, v136, v8
	;; [unrolled: 1-line block ×6, first 2 shown]
	v_fmac_f32_e32 v67, v204, v228
	v_dot4c_i32_i8_e32 v227, v133, v11
	v_fma_f32 v228, v162, v224, 0
	v_mul_lo_u32 v224, v226, v215
	v_mov_b32_e32 v226, 0
	v_mad_u64_u32 v[224:225], s[22:23], v227, v214, v[224:225]
	v_cvt_f32_i32_e32 v224, v224
	v_mov_b32_e32 v225, 0
	v_dot4c_i32_i8_e32 v225, v124, v0
	v_dot4c_i32_i8_e32 v225, v125, v1
	v_fmac_f32_e32 v228, v163, v224
	v_mov_b32_e32 v224, 0
	v_dot4c_i32_i8_e32 v224, v128, v4
	v_dot4c_i32_i8_e32 v224, v129, v5
	;; [unrolled: 1-line block ×7, first 2 shown]
	v_mul_lo_u32 v224, v224, v216
	v_mov_b32_e32 v227, 0
	v_mad_u64_u32 v[224:225], s[22:23], v225, v217, v[224:225]
	v_cvt_f32_i32_e32 v224, v224
	v_dot4c_i32_i8_e32 v226, v141, v13
	v_dot4c_i32_i8_e32 v227, v152, v8
	;; [unrolled: 1-line block ×6, first 2 shown]
	v_fmac_f32_e32 v65, v205, v228
	v_dot4c_i32_i8_e32 v227, v149, v11
	v_fma_f32 v228, v162, v224, 0
	v_mul_lo_u32 v224, v226, v219
	v_mov_b32_e32 v226, 0
	v_mad_u64_u32 v[224:225], s[22:23], v227, v218, v[224:225]
	v_cvt_f32_i32_e32 v224, v224
	v_mov_b32_e32 v225, 0
	v_mov_b32_e32 v227, 0
	v_fmac_f32_e32 v228, v163, v224
	v_mov_b32_e32 v224, 0
	v_dot4c_i32_i8_e32 v224, v150, v12
	v_mov_b32_e32 v12, 0
	v_dot4c_i32_i8_e32 v12, v156, v8
	;; [unrolled: 2-line block ×3, first 2 shown]
	v_dot4c_i32_i8_e32 v8, v145, v5
	v_mov_b32_e32 v5, 0
	v_dot4c_i32_i8_e32 v5, v134, v0
	v_dot4c_i32_i8_e32 v8, v142, v6
	;; [unrolled: 1-line block ×7, first 2 shown]
	v_mul_lo_u32 v4, v8, v220
	v_dot4c_i32_i8_e32 v224, v146, v14
	v_mad_u64_u32 v[0:1], s[22:23], v5, v221, v[4:5]
	v_cvt_f32_i32_e32 v0, v0
	v_dot4c_i32_i8_e32 v12, v157, v9
	v_dot4c_i32_i8_e32 v224, v147, v15
	;; [unrolled: 1-line block ×4, first 2 shown]
	v_fma_f32 v2, v162, v0, 0
	v_mul_lo_u32 v0, v224, v223
	v_mov_b32_e32 v224, 0
	v_mad_u64_u32 v[0:1], s[22:23], v12, v222, v[0:1]
	v_cvt_f32_i32_e32 v0, v0
	v_fmac_f32_e32 v61, v206, v228
	v_fmac_f32_e32 v2, v163, v0
	v_or_b32_e32 v0, s20, v173
	v_lshlrev_b32_e32 v12, 2, v0
	v_lshrrev_b32_e32 v162, 1, v0
	v_fmac_f32_e32 v57, v207, v2
	ds_read_b128 v[0:3], v12 offset:33280
	ds_read_b128 v[4:7], v12 offset:33296
	;; [unrolled: 1-line block ×4, first 2 shown]
	ds_read_b64 v[162:163], v162 offset:43584
	s_waitcnt lgkmcnt(4)
	v_dot4c_i32_i8_e32 v225, v100, v0
	s_waitcnt lgkmcnt(3)
	v_dot4c_i32_i8_e32 v224, v104, v4
	v_dot4c_i32_i8_e32 v224, v105, v5
	;; [unrolled: 1-line block ×7, first 2 shown]
	s_waitcnt lgkmcnt(1)
	v_dot4c_i32_i8_e32 v226, v160, v12
	v_mul_lo_u32 v224, v224, v208
	v_dot4c_i32_i8_e32 v226, v161, v13
	v_mad_u64_u32 v[224:225], s[22:23], v225, v209, v[224:225]
	v_cvt_f32_i32_e32 v224, v224
	v_dot4c_i32_i8_e32 v227, v116, v8
	v_dot4c_i32_i8_e32 v226, v158, v14
	;; [unrolled: 1-line block ×6, first 2 shown]
	s_waitcnt lgkmcnt(0)
	v_fma_f32 v228, v162, v224, 0
	v_mul_lo_u32 v224, v226, v211
	v_mov_b32_e32 v226, 0
	v_mad_u64_u32 v[224:225], s[22:23], v227, v210, v[224:225]
	v_cvt_f32_i32_e32 v224, v224
	v_mov_b32_e32 v225, 0
	v_dot4c_i32_i8_e32 v225, v108, v0
	v_dot4c_i32_i8_e32 v225, v109, v1
	v_fmac_f32_e32 v228, v163, v224
	v_mov_b32_e32 v224, 0
	v_dot4c_i32_i8_e32 v224, v112, v4
	v_dot4c_i32_i8_e32 v224, v113, v5
	;; [unrolled: 1-line block ×7, first 2 shown]
	v_mul_lo_u32 v224, v224, v212
	v_mov_b32_e32 v227, 0
	v_mad_u64_u32 v[224:225], s[22:23], v225, v213, v[224:225]
	v_cvt_f32_i32_e32 v224, v224
	v_dot4c_i32_i8_e32 v226, v121, v13
	v_dot4c_i32_i8_e32 v227, v136, v8
	;; [unrolled: 1-line block ×6, first 2 shown]
	v_fmac_f32_e32 v55, v204, v228
	v_dot4c_i32_i8_e32 v227, v133, v11
	v_fma_f32 v228, v162, v224, 0
	v_mul_lo_u32 v224, v226, v215
	v_mov_b32_e32 v226, 0
	v_mad_u64_u32 v[224:225], s[22:23], v227, v214, v[224:225]
	v_cvt_f32_i32_e32 v224, v224
	v_mov_b32_e32 v225, 0
	v_dot4c_i32_i8_e32 v225, v124, v0
	v_dot4c_i32_i8_e32 v225, v125, v1
	v_fmac_f32_e32 v228, v163, v224
	v_mov_b32_e32 v224, 0
	v_dot4c_i32_i8_e32 v224, v128, v4
	v_dot4c_i32_i8_e32 v224, v129, v5
	;; [unrolled: 1-line block ×7, first 2 shown]
	v_mul_lo_u32 v224, v224, v216
	v_mov_b32_e32 v227, 0
	v_mad_u64_u32 v[224:225], s[22:23], v225, v217, v[224:225]
	v_cvt_f32_i32_e32 v224, v224
	v_dot4c_i32_i8_e32 v226, v141, v13
	v_dot4c_i32_i8_e32 v227, v152, v8
	;; [unrolled: 1-line block ×6, first 2 shown]
	v_fmac_f32_e32 v53, v205, v228
	v_dot4c_i32_i8_e32 v227, v149, v11
	v_fma_f32 v228, v162, v224, 0
	v_mul_lo_u32 v224, v226, v219
	v_mov_b32_e32 v226, 0
	v_mad_u64_u32 v[224:225], s[22:23], v227, v218, v[224:225]
	v_cvt_f32_i32_e32 v224, v224
	v_mov_b32_e32 v225, 0
	v_mov_b32_e32 v227, 0
	v_fmac_f32_e32 v228, v163, v224
	v_mov_b32_e32 v224, 0
	v_dot4c_i32_i8_e32 v224, v150, v12
	v_mov_b32_e32 v12, 0
	v_dot4c_i32_i8_e32 v12, v156, v8
	;; [unrolled: 2-line block ×3, first 2 shown]
	v_dot4c_i32_i8_e32 v8, v145, v5
	v_mov_b32_e32 v5, 0
	v_dot4c_i32_i8_e32 v5, v134, v0
	v_dot4c_i32_i8_e32 v8, v142, v6
	;; [unrolled: 1-line block ×7, first 2 shown]
	v_mul_lo_u32 v4, v8, v220
	v_dot4c_i32_i8_e32 v224, v146, v14
	v_mad_u64_u32 v[0:1], s[22:23], v5, v221, v[4:5]
	v_cvt_f32_i32_e32 v0, v0
	v_dot4c_i32_i8_e32 v12, v157, v9
	v_dot4c_i32_i8_e32 v224, v147, v15
	;; [unrolled: 1-line block ×4, first 2 shown]
	v_fma_f32 v2, v162, v0, 0
	v_mul_lo_u32 v0, v224, v223
	v_mov_b32_e32 v224, 0
	v_mad_u64_u32 v[0:1], s[22:23], v12, v222, v[0:1]
	v_cvt_f32_i32_e32 v0, v0
	v_fmac_f32_e32 v51, v206, v228
	v_fmac_f32_e32 v2, v163, v0
	v_or_b32_e32 v0, s20, v176
	v_lshlrev_b32_e32 v12, 2, v0
	v_lshrrev_b32_e32 v162, 1, v0
	v_fmac_f32_e32 v49, v207, v2
	ds_read_b128 v[0:3], v12 offset:33280
	ds_read_b128 v[4:7], v12 offset:33296
	ds_read_b128 v[8:11], v12 offset:33312
	ds_read_b128 v[12:15], v12 offset:33328
	ds_read_b64 v[162:163], v162 offset:43584
	s_waitcnt lgkmcnt(4)
	v_dot4c_i32_i8_e32 v225, v100, v0
	s_waitcnt lgkmcnt(3)
	v_dot4c_i32_i8_e32 v224, v104, v4
	v_dot4c_i32_i8_e32 v224, v105, v5
	;; [unrolled: 1-line block ×7, first 2 shown]
	s_waitcnt lgkmcnt(1)
	v_dot4c_i32_i8_e32 v226, v160, v12
	v_mul_lo_u32 v224, v224, v208
	v_dot4c_i32_i8_e32 v226, v161, v13
	v_mad_u64_u32 v[224:225], s[22:23], v225, v209, v[224:225]
	v_cvt_f32_i32_e32 v224, v224
	v_dot4c_i32_i8_e32 v227, v116, v8
	v_dot4c_i32_i8_e32 v226, v158, v14
	;; [unrolled: 1-line block ×6, first 2 shown]
	s_waitcnt lgkmcnt(0)
	v_fma_f32 v228, v162, v224, 0
	v_mul_lo_u32 v224, v226, v211
	v_mov_b32_e32 v226, 0
	v_mad_u64_u32 v[224:225], s[22:23], v227, v210, v[224:225]
	v_cvt_f32_i32_e32 v224, v224
	v_mov_b32_e32 v225, 0
	v_dot4c_i32_i8_e32 v225, v108, v0
	v_dot4c_i32_i8_e32 v225, v109, v1
	v_fmac_f32_e32 v228, v163, v224
	v_mov_b32_e32 v224, 0
	v_dot4c_i32_i8_e32 v224, v112, v4
	v_dot4c_i32_i8_e32 v224, v113, v5
	;; [unrolled: 1-line block ×7, first 2 shown]
	v_mul_lo_u32 v224, v224, v212
	v_mov_b32_e32 v227, 0
	v_mad_u64_u32 v[224:225], s[22:23], v225, v213, v[224:225]
	v_cvt_f32_i32_e32 v224, v224
	v_dot4c_i32_i8_e32 v226, v121, v13
	v_dot4c_i32_i8_e32 v227, v136, v8
	;; [unrolled: 1-line block ×6, first 2 shown]
	v_fmac_f32_e32 v47, v204, v228
	v_dot4c_i32_i8_e32 v227, v133, v11
	v_fma_f32 v228, v162, v224, 0
	v_mul_lo_u32 v224, v226, v215
	v_mov_b32_e32 v226, 0
	v_mad_u64_u32 v[224:225], s[22:23], v227, v214, v[224:225]
	v_cvt_f32_i32_e32 v224, v224
	v_mov_b32_e32 v225, 0
	v_dot4c_i32_i8_e32 v225, v124, v0
	v_dot4c_i32_i8_e32 v225, v125, v1
	v_fmac_f32_e32 v228, v163, v224
	v_mov_b32_e32 v224, 0
	v_dot4c_i32_i8_e32 v224, v128, v4
	v_dot4c_i32_i8_e32 v224, v129, v5
	;; [unrolled: 1-line block ×7, first 2 shown]
	v_mul_lo_u32 v224, v224, v216
	v_mov_b32_e32 v227, 0
	v_mad_u64_u32 v[224:225], s[22:23], v225, v217, v[224:225]
	v_cvt_f32_i32_e32 v224, v224
	v_dot4c_i32_i8_e32 v226, v141, v13
	v_dot4c_i32_i8_e32 v227, v152, v8
	v_dot4c_i32_i8_e32 v226, v138, v14
	v_dot4c_i32_i8_e32 v227, v153, v9
	v_dot4c_i32_i8_e32 v226, v139, v15
	v_dot4c_i32_i8_e32 v227, v148, v10
	v_fmac_f32_e32 v45, v205, v228
	v_dot4c_i32_i8_e32 v227, v149, v11
	v_fma_f32 v228, v162, v224, 0
	v_mul_lo_u32 v224, v226, v219
	v_mov_b32_e32 v226, 0
	v_mad_u64_u32 v[224:225], s[22:23], v227, v218, v[224:225]
	v_cvt_f32_i32_e32 v224, v224
	v_mov_b32_e32 v225, 0
	v_mov_b32_e32 v227, 0
	v_fmac_f32_e32 v228, v163, v224
	v_mov_b32_e32 v224, 0
	v_dot4c_i32_i8_e32 v224, v150, v12
	v_mov_b32_e32 v12, 0
	v_dot4c_i32_i8_e32 v12, v156, v8
	;; [unrolled: 2-line block ×3, first 2 shown]
	v_dot4c_i32_i8_e32 v8, v145, v5
	v_mov_b32_e32 v5, 0
	v_dot4c_i32_i8_e32 v5, v134, v0
	v_dot4c_i32_i8_e32 v8, v142, v6
	;; [unrolled: 1-line block ×7, first 2 shown]
	v_mul_lo_u32 v4, v8, v220
	v_dot4c_i32_i8_e32 v224, v146, v14
	v_mad_u64_u32 v[0:1], s[22:23], v5, v221, v[4:5]
	v_cvt_f32_i32_e32 v0, v0
	v_dot4c_i32_i8_e32 v12, v157, v9
	v_dot4c_i32_i8_e32 v224, v147, v15
	;; [unrolled: 1-line block ×4, first 2 shown]
	v_fma_f32 v2, v162, v0, 0
	v_mul_lo_u32 v0, v224, v223
	v_mov_b32_e32 v224, 0
	v_mad_u64_u32 v[0:1], s[22:23], v12, v222, v[0:1]
	v_cvt_f32_i32_e32 v0, v0
	v_fmac_f32_e32 v43, v206, v228
	v_fmac_f32_e32 v2, v163, v0
	v_or_b32_e32 v0, s20, v179
	v_lshlrev_b32_e32 v12, 2, v0
	v_lshrrev_b32_e32 v162, 1, v0
	v_fmac_f32_e32 v41, v207, v2
	ds_read_b128 v[0:3], v12 offset:33280
	ds_read_b128 v[4:7], v12 offset:33296
	;; [unrolled: 1-line block ×4, first 2 shown]
	ds_read_b64 v[162:163], v162 offset:43584
	s_waitcnt lgkmcnt(4)
	v_dot4c_i32_i8_e32 v225, v100, v0
	s_waitcnt lgkmcnt(3)
	v_dot4c_i32_i8_e32 v224, v104, v4
	v_dot4c_i32_i8_e32 v224, v105, v5
	;; [unrolled: 1-line block ×7, first 2 shown]
	s_waitcnt lgkmcnt(1)
	v_dot4c_i32_i8_e32 v226, v160, v12
	v_mul_lo_u32 v224, v224, v208
	v_dot4c_i32_i8_e32 v226, v161, v13
	v_mad_u64_u32 v[224:225], s[22:23], v225, v209, v[224:225]
	v_cvt_f32_i32_e32 v224, v224
	v_dot4c_i32_i8_e32 v227, v116, v8
	v_dot4c_i32_i8_e32 v226, v158, v14
	;; [unrolled: 1-line block ×6, first 2 shown]
	s_waitcnt lgkmcnt(0)
	v_fma_f32 v228, v162, v224, 0
	v_mul_lo_u32 v224, v226, v211
	v_mov_b32_e32 v226, 0
	v_mad_u64_u32 v[224:225], s[22:23], v227, v210, v[224:225]
	v_cvt_f32_i32_e32 v224, v224
	v_mov_b32_e32 v225, 0
	v_dot4c_i32_i8_e32 v225, v108, v0
	v_dot4c_i32_i8_e32 v225, v109, v1
	v_fmac_f32_e32 v228, v163, v224
	v_mov_b32_e32 v224, 0
	v_dot4c_i32_i8_e32 v224, v112, v4
	v_dot4c_i32_i8_e32 v224, v113, v5
	;; [unrolled: 1-line block ×7, first 2 shown]
	v_mul_lo_u32 v224, v224, v212
	v_mov_b32_e32 v227, 0
	v_mad_u64_u32 v[224:225], s[22:23], v225, v213, v[224:225]
	v_cvt_f32_i32_e32 v224, v224
	v_dot4c_i32_i8_e32 v226, v121, v13
	v_dot4c_i32_i8_e32 v227, v136, v8
	;; [unrolled: 1-line block ×6, first 2 shown]
	v_fmac_f32_e32 v39, v204, v228
	v_dot4c_i32_i8_e32 v227, v133, v11
	v_fma_f32 v228, v162, v224, 0
	v_mul_lo_u32 v224, v226, v215
	v_mov_b32_e32 v226, 0
	v_mad_u64_u32 v[224:225], s[22:23], v227, v214, v[224:225]
	v_cvt_f32_i32_e32 v224, v224
	v_mov_b32_e32 v225, 0
	v_dot4c_i32_i8_e32 v225, v124, v0
	v_dot4c_i32_i8_e32 v225, v125, v1
	v_fmac_f32_e32 v228, v163, v224
	v_mov_b32_e32 v224, 0
	v_dot4c_i32_i8_e32 v224, v128, v4
	v_dot4c_i32_i8_e32 v224, v129, v5
	;; [unrolled: 1-line block ×7, first 2 shown]
	v_mul_lo_u32 v224, v224, v216
	v_mov_b32_e32 v227, 0
	v_mad_u64_u32 v[224:225], s[22:23], v225, v217, v[224:225]
	v_cvt_f32_i32_e32 v224, v224
	v_dot4c_i32_i8_e32 v226, v141, v13
	v_dot4c_i32_i8_e32 v227, v152, v8
	;; [unrolled: 1-line block ×6, first 2 shown]
	v_fmac_f32_e32 v37, v205, v228
	v_dot4c_i32_i8_e32 v227, v149, v11
	v_fma_f32 v228, v162, v224, 0
	v_mul_lo_u32 v224, v226, v219
	v_mov_b32_e32 v226, 0
	v_mad_u64_u32 v[224:225], s[22:23], v227, v218, v[224:225]
	v_cvt_f32_i32_e32 v224, v224
	v_mov_b32_e32 v225, 0
	v_mov_b32_e32 v227, 0
	v_fmac_f32_e32 v228, v163, v224
	v_mov_b32_e32 v224, 0
	v_dot4c_i32_i8_e32 v224, v150, v12
	v_mov_b32_e32 v12, 0
	v_dot4c_i32_i8_e32 v12, v156, v8
	;; [unrolled: 2-line block ×3, first 2 shown]
	v_dot4c_i32_i8_e32 v8, v145, v5
	v_mov_b32_e32 v5, 0
	v_dot4c_i32_i8_e32 v5, v134, v0
	v_dot4c_i32_i8_e32 v8, v142, v6
	;; [unrolled: 1-line block ×7, first 2 shown]
	v_mul_lo_u32 v4, v8, v220
	v_dot4c_i32_i8_e32 v224, v146, v14
	v_mad_u64_u32 v[0:1], s[22:23], v5, v221, v[4:5]
	v_cvt_f32_i32_e32 v0, v0
	v_dot4c_i32_i8_e32 v12, v157, v9
	v_dot4c_i32_i8_e32 v224, v147, v15
	;; [unrolled: 1-line block ×4, first 2 shown]
	v_fma_f32 v2, v162, v0, 0
	v_mul_lo_u32 v0, v224, v223
	v_mov_b32_e32 v224, 0
	v_mad_u64_u32 v[0:1], s[22:23], v12, v222, v[0:1]
	v_cvt_f32_i32_e32 v0, v0
	v_fmac_f32_e32 v35, v206, v228
	v_fmac_f32_e32 v2, v163, v0
	v_or_b32_e32 v0, s20, v182
	v_lshlrev_b32_e32 v12, 2, v0
	v_lshrrev_b32_e32 v162, 1, v0
	v_fmac_f32_e32 v33, v207, v2
	ds_read_b128 v[0:3], v12 offset:33280
	ds_read_b128 v[4:7], v12 offset:33296
	;; [unrolled: 1-line block ×4, first 2 shown]
	ds_read_b64 v[162:163], v162 offset:43584
	s_waitcnt lgkmcnt(4)
	v_dot4c_i32_i8_e32 v225, v100, v0
	s_waitcnt lgkmcnt(3)
	v_dot4c_i32_i8_e32 v224, v104, v4
	v_dot4c_i32_i8_e32 v224, v105, v5
	;; [unrolled: 1-line block ×7, first 2 shown]
	s_waitcnt lgkmcnt(1)
	v_dot4c_i32_i8_e32 v226, v160, v12
	v_mul_lo_u32 v224, v224, v208
	v_dot4c_i32_i8_e32 v226, v161, v13
	v_mad_u64_u32 v[224:225], s[22:23], v225, v209, v[224:225]
	v_cvt_f32_i32_e32 v224, v224
	v_dot4c_i32_i8_e32 v227, v116, v8
	v_dot4c_i32_i8_e32 v226, v158, v14
	;; [unrolled: 1-line block ×6, first 2 shown]
	s_waitcnt lgkmcnt(0)
	v_fma_f32 v228, v162, v224, 0
	v_mul_lo_u32 v224, v226, v211
	v_mov_b32_e32 v226, 0
	v_mad_u64_u32 v[224:225], s[22:23], v227, v210, v[224:225]
	v_cvt_f32_i32_e32 v224, v224
	v_mov_b32_e32 v225, 0
	v_dot4c_i32_i8_e32 v225, v108, v0
	v_dot4c_i32_i8_e32 v225, v109, v1
	v_fmac_f32_e32 v228, v163, v224
	v_mov_b32_e32 v224, 0
	v_dot4c_i32_i8_e32 v224, v112, v4
	v_dot4c_i32_i8_e32 v224, v113, v5
	;; [unrolled: 1-line block ×7, first 2 shown]
	v_mul_lo_u32 v224, v224, v212
	v_mov_b32_e32 v227, 0
	v_mad_u64_u32 v[224:225], s[22:23], v225, v213, v[224:225]
	v_cvt_f32_i32_e32 v224, v224
	v_dot4c_i32_i8_e32 v226, v121, v13
	v_dot4c_i32_i8_e32 v227, v136, v8
	;; [unrolled: 1-line block ×6, first 2 shown]
	v_fmac_f32_e32 v31, v204, v228
	v_dot4c_i32_i8_e32 v227, v133, v11
	v_fma_f32 v228, v162, v224, 0
	v_mul_lo_u32 v224, v226, v215
	v_mov_b32_e32 v226, 0
	v_mad_u64_u32 v[224:225], s[22:23], v227, v214, v[224:225]
	v_cvt_f32_i32_e32 v224, v224
	v_mov_b32_e32 v225, 0
	v_dot4c_i32_i8_e32 v225, v124, v0
	v_dot4c_i32_i8_e32 v225, v125, v1
	v_fmac_f32_e32 v228, v163, v224
	v_mov_b32_e32 v224, 0
	v_dot4c_i32_i8_e32 v224, v128, v4
	v_dot4c_i32_i8_e32 v224, v129, v5
	;; [unrolled: 1-line block ×7, first 2 shown]
	v_mul_lo_u32 v224, v224, v216
	v_mov_b32_e32 v227, 0
	v_mad_u64_u32 v[224:225], s[22:23], v225, v217, v[224:225]
	v_cvt_f32_i32_e32 v224, v224
	v_dot4c_i32_i8_e32 v226, v141, v13
	v_dot4c_i32_i8_e32 v227, v152, v8
	v_dot4c_i32_i8_e32 v226, v138, v14
	v_dot4c_i32_i8_e32 v227, v153, v9
	v_dot4c_i32_i8_e32 v226, v139, v15
	v_dot4c_i32_i8_e32 v227, v148, v10
	v_fmac_f32_e32 v29, v205, v228
	v_dot4c_i32_i8_e32 v227, v149, v11
	v_fma_f32 v228, v162, v224, 0
	v_mul_lo_u32 v224, v226, v219
	s_nop 0
	v_mad_u64_u32 v[224:225], s[22:23], v227, v218, v[224:225]
	v_cvt_f32_i32_e32 v224, v224
	v_fmac_f32_e32 v228, v163, v224
	v_mov_b32_e32 v224, 0
	v_dot4c_i32_i8_e32 v224, v150, v12
	v_mov_b32_e32 v12, 0
	v_dot4c_i32_i8_e32 v12, v156, v8
	;; [unrolled: 2-line block ×3, first 2 shown]
	v_dot4c_i32_i8_e32 v8, v145, v5
	v_mov_b32_e32 v5, 0
	v_dot4c_i32_i8_e32 v5, v134, v0
	v_dot4c_i32_i8_e32 v8, v142, v6
	;; [unrolled: 1-line block ×7, first 2 shown]
	v_mul_lo_u32 v4, v8, v220
	v_dot4c_i32_i8_e32 v224, v146, v14
	v_mad_u64_u32 v[0:1], s[22:23], v5, v221, v[4:5]
	v_cvt_f32_i32_e32 v0, v0
	v_dot4c_i32_i8_e32 v12, v157, v9
	v_dot4c_i32_i8_e32 v224, v147, v15
	;; [unrolled: 1-line block ×4, first 2 shown]
	v_fma_f32 v2, v162, v0, 0
	v_mul_lo_u32 v0, v224, v223
	v_mov_b32_e32 v224, 0
	v_mad_u64_u32 v[0:1], s[22:23], v12, v222, v[0:1]
	v_cvt_f32_i32_e32 v0, v0
	v_fmac_f32_e32 v27, v206, v228
	v_fmac_f32_e32 v2, v163, v0
	v_or_b32_e32 v0, s20, v185
	v_lshlrev_b32_e32 v12, 2, v0
	v_lshrrev_b32_e32 v162, 1, v0
	v_fmac_f32_e32 v25, v207, v2
	ds_read_b128 v[0:3], v12 offset:33280
	ds_read_b128 v[4:7], v12 offset:33296
	;; [unrolled: 1-line block ×4, first 2 shown]
	ds_read_b64 v[162:163], v162 offset:43584
	s_waitcnt lgkmcnt(1)
	v_dot4c_i32_i8_e32 v224, v160, v12
	v_dot4c_i32_i8_e32 v224, v161, v13
	;; [unrolled: 1-line block ×3, first 2 shown]
	v_mov_b32_e32 v158, 0
	v_dot4c_i32_i8_e32 v158, v116, v8
	v_dot4c_i32_i8_e32 v158, v117, v9
	;; [unrolled: 1-line block ×3, first 2 shown]
	v_mov_b32_e32 v114, 0
	v_dot4c_i32_i8_e32 v114, v104, v4
	v_dot4c_i32_i8_e32 v114, v105, v5
	;; [unrolled: 1-line block ×4, first 2 shown]
	v_mov_b32_e32 v103, 0
	v_dot4c_i32_i8_e32 v103, v100, v0
	v_dot4c_i32_i8_e32 v103, v101, v1
	;; [unrolled: 1-line block ×3, first 2 shown]
	v_mul_lo_u32 v102, v114, v208
	v_dot4c_i32_i8_e32 v103, v99, v3
	v_dot4c_i32_i8_e32 v224, v159, v15
	;; [unrolled: 1-line block ×3, first 2 shown]
	v_mov_b32_e32 v101, 0
	v_mad_u64_u32 v[98:99], s[20:21], v103, v209, v[102:103]
	v_cvt_f32_i32_e32 v98, v98
	v_dot4c_i32_i8_e32 v101, v136, v8
	v_dot4c_i32_i8_e32 v101, v137, v9
	;; [unrolled: 1-line block ×3, first 2 shown]
	s_waitcnt lgkmcnt(0)
	v_fma_f32 v100, v162, v98, 0
	v_mul_lo_u32 v98, v224, v211
	v_mad_u64_u32 v[98:99], s[20:21], v158, v210, v[98:99]
	v_cvt_f32_i32_e32 v98, v98
	v_mov_b32_e32 v99, 0
	v_dot4c_i32_i8_e32 v99, v108, v0
	v_dot4c_i32_i8_e32 v99, v109, v1
	v_fmac_f32_e32 v100, v163, v98
	v_mov_b32_e32 v98, 0
	v_dot4c_i32_i8_e32 v98, v112, v4
	v_dot4c_i32_i8_e32 v98, v113, v5
	;; [unrolled: 1-line block ×6, first 2 shown]
	v_fmac_f32_e32 v23, v204, v100
	v_mul_lo_u32 v98, v98, v212
	v_mov_b32_e32 v100, 0
	v_mad_u64_u32 v[98:99], s[20:21], v99, v213, v[98:99]
	v_dot4c_i32_i8_e32 v100, v120, v12
	v_cvt_f32_i32_e32 v98, v98
	v_dot4c_i32_i8_e32 v100, v121, v13
	v_dot4c_i32_i8_e32 v100, v118, v14
	;; [unrolled: 1-line block ×4, first 2 shown]
	v_fma_f32 v102, v162, v98, 0
	s_nop 0
	v_mul_lo_u32 v98, v100, v215
	v_mad_u64_u32 v[98:99], s[20:21], v101, v214, v[98:99]
	v_cvt_f32_i32_e32 v98, v98
	v_mov_b32_e32 v99, 0
	v_dot4c_i32_i8_e32 v99, v124, v0
	v_dot4c_i32_i8_e32 v99, v125, v1
	v_fmac_f32_e32 v102, v163, v98
	v_mov_b32_e32 v98, 0
	v_dot4c_i32_i8_e32 v98, v128, v4
	v_dot4c_i32_i8_e32 v98, v129, v5
	;; [unrolled: 1-line block ×6, first 2 shown]
	v_mov_b32_e32 v100, 0
	v_mul_lo_u32 v98, v98, v216
	v_dot4c_i32_i8_e32 v100, v140, v12
	v_mad_u64_u32 v[98:99], s[20:21], v99, v217, v[98:99]
	v_mov_b32_e32 v101, 0
	v_cvt_f32_i32_e32 v98, v98
	v_dot4c_i32_i8_e32 v100, v141, v13
	v_dot4c_i32_i8_e32 v101, v152, v8
	;; [unrolled: 1-line block ×6, first 2 shown]
	v_fmac_f32_e32 v21, v205, v102
	v_dot4c_i32_i8_e32 v101, v149, v11
	v_fma_f32 v102, v162, v98, 0
	v_mul_lo_u32 v98, v100, v219
	s_nop 0
	v_mad_u64_u32 v[98:99], s[20:21], v101, v218, v[98:99]
	v_cvt_f32_i32_e32 v98, v98
	v_fmac_f32_e32 v102, v163, v98
	v_mov_b32_e32 v98, 0
	v_dot4c_i32_i8_e32 v98, v150, v12
	v_mov_b32_e32 v12, 0
	v_dot4c_i32_i8_e32 v12, v156, v8
	;; [unrolled: 2-line block ×3, first 2 shown]
	v_dot4c_i32_i8_e32 v8, v145, v5
	v_mov_b32_e32 v5, 0
	v_dot4c_i32_i8_e32 v5, v134, v0
	v_dot4c_i32_i8_e32 v8, v142, v6
	;; [unrolled: 1-line block ×7, first 2 shown]
	v_mul_lo_u32 v4, v8, v220
	v_dot4c_i32_i8_e32 v98, v146, v14
	v_mad_u64_u32 v[0:1], s[20:21], v5, v221, v[4:5]
	v_cvt_f32_i32_e32 v0, v0
	v_dot4c_i32_i8_e32 v12, v157, v9
	v_dot4c_i32_i8_e32 v98, v147, v15
	;; [unrolled: 1-line block ×4, first 2 shown]
	v_fma_f32 v2, v162, v0, 0
	v_mul_lo_u32 v0, v98, v223
	v_fmac_f32_e32 v19, v206, v102
	v_mad_u64_u32 v[0:1], s[20:21], v12, v222, v[0:1]
	v_cvt_f32_i32_e32 v0, v0
	s_mov_b32 s21, 8
	v_fmac_f32_e32 v2, v163, v0
	v_fmac_f32_e32 v17, v207, v2
	s_cbranch_vccnz .LBB176_6
; %bb.7:                                ;   in Loop: Header=BB176_5 Depth=1
	v_add_u32_e32 v14, s19, v188
	v_add_u32_e32 v0, v14, v164
	;; [unrolled: 1-line block ×6, first 2 shown]
	v_mad_i64_i32 v[0:1], s[0:1], v0, 36, v[94:95]
	v_mad_i64_i32 v[2:3], s[0:1], v2, 36, v[94:95]
	v_mad_i64_i32 v[4:5], s[0:1], v4, 36, v[94:95]
	v_mad_i64_i32 v[6:7], s[0:1], v6, 36, v[94:95]
	v_add_u32_e32 v8, v14, v175
	v_add_u32_e32 v10, v14, v178
	;; [unrolled: 1-line block ×4, first 2 shown]
	v_mad_u64_u32 v[98:99], s[0:1], v98, 36, s[2:3]
	s_barrier
	v_mad_i64_i32 v[8:9], s[0:1], v8, 36, v[94:95]
	v_mad_i64_i32 v[10:11], s[0:1], v10, 36, v[94:95]
	v_mad_i64_i32 v[12:13], s[0:1], v12, 36, v[94:95]
	v_mad_i64_i32 v[14:15], s[0:1], v14, 36, v[94:95]
	global_load_dword v98, v[98:99], off
	s_nop 0
	global_load_dword v0, v[0:1], off offset:4
	s_nop 0
	global_load_dword v1, v[2:3], off offset:4
	;; [unrolled: 2-line block ×3, first 2 shown]
	global_load_dword v3, v[6:7], off offset:4
	s_nop 0
	global_load_dword v4, v[8:9], off offset:4
	global_load_dword v5, v[10:11], off offset:4
	;; [unrolled: 1-line block ×4, first 2 shown]
	s_mov_b32 s0, 16
	s_waitcnt vmcnt(8)
	v_cvt_f32_f16_e32 v8, v98
	s_waitcnt vmcnt(7)
	ds_write_b32 v165, v0
	s_waitcnt vmcnt(6)
	ds_write_b32 v168, v1
	;; [unrolled: 2-line block ×8, first 2 shown]
	ds_write_b32 v91, v8
	s_waitcnt lgkmcnt(0)
	s_barrier
	ds_read_b32 v203, v187
	ds_read_b32 v204, v189 offset:128
	ds_read_b32 v205, v190 offset:256
	;; [unrolled: 1-line block ×3, first 2 shown]
.LBB176_8:                              ;   Parent Loop BB176_5 Depth=1
                                        ; =>  This Inner Loop Header: Depth=2
	s_lshl_b32 s1, s0, 1
	s_and_b32 s1, s1, 16
	v_or_b32_e32 v0, s1, v83
	v_lshlrev_b32_e32 v12, 2, v0
	s_lshr_b32 s19, s0, 1
	s_lshl_b32 s20, s0, 3
	v_lshrrev_b32_e32 v98, 1, v0
	ds_read_b128 v[0:3], v12 offset:33280
	ds_read_b128 v[4:7], v12 offset:33296
	;; [unrolled: 1-line block ×4, first 2 shown]
	ds_read_b64 v[162:163], v98 offset:43584
	v_add_u32_e32 v106, s19, v192
	v_add_u32_e32 v107, s20, v193
	ds_read2_b32 v[102:103], v107 offset0:6 offset1:7
	ds_read2_b32 v[104:105], v107 offset0:4 offset1:5
	;; [unrolled: 1-line block ×3, first 2 shown]
	ds_read2_b32 v[100:101], v107 offset1:1
	ds_read_b32 v108, v106
	ds_read2_b32 v[158:159], v107 offset0:14 offset1:15
	ds_read2_b32 v[160:161], v107 offset0:12 offset1:13
	v_mov_b32_e32 v106, 0
	ds_read2_b32 v[114:115], v107 offset0:10 offset1:11
	ds_read2_b32 v[116:117], v107 offset0:8 offset1:9
	s_waitcnt lgkmcnt(7)
	v_dot4c_i32_i8_e32 v106, v104, v4
	v_mov_b32_e32 v107, 0
	v_dot4c_i32_i8_e32 v106, v105, v5
	s_waitcnt lgkmcnt(5)
	v_dot4c_i32_i8_e32 v107, v100, v0
	v_dot4c_i32_i8_e32 v106, v102, v6
	v_dot4c_i32_i8_e32 v107, v101, v1
	v_dot4c_i32_i8_e32 v106, v103, v7
	s_waitcnt lgkmcnt(4)
	v_bfe_i32 v207, v108, 8, 8
	v_dot4c_i32_i8_e32 v107, v98, v2
	v_dot4c_i32_i8_e32 v107, v99, v3
	v_mul_lo_u32 v106, v106, v207
	v_bfe_i32 v208, v108, 0, 8
	v_mov_b32_e32 v109, 0
	v_mad_u64_u32 v[106:107], s[22:23], v107, v208, v[106:107]
	s_waitcnt lgkmcnt(2)
	v_dot4c_i32_i8_e32 v109, v160, v12
	v_mov_b32_e32 v110, 0
	v_cvt_f32_i32_e32 v106, v106
	v_dot4c_i32_i8_e32 v109, v161, v13
	s_waitcnt lgkmcnt(0)
	v_dot4c_i32_i8_e32 v110, v116, v8
	v_dot4c_i32_i8_e32 v109, v158, v14
	;; [unrolled: 1-line block ×5, first 2 shown]
	v_ashrrev_i32_e32 v210, 24, v108
	v_dot4c_i32_i8_e32 v110, v115, v11
	v_fma_f32 v111, v162, v106, 0
	v_bfe_i32 v209, v108, 16, 8
	v_mul_lo_u32 v106, v109, v210
	v_mad_u64_u32 v[106:107], s[22:23], v110, v209, v[106:107]
	v_cvt_f32_i32_e32 v106, v106
	v_add_u32_e32 v118, s19, v194
	v_add_u32_e32 v122, s20, v195
	v_mov_b32_e32 v123, 0
	v_fmac_f32_e32 v111, v163, v106
	v_fmac_f32_e32 v97, v203, v111
	ds_read2_b32 v[110:111], v122 offset0:6 offset1:7
	ds_read2_b32 v[112:113], v122 offset0:4 offset1:5
	;; [unrolled: 1-line block ×3, first 2 shown]
	ds_read2_b32 v[108:109], v122 offset1:1
	ds_read_b32 v124, v118
	ds_read2_b32 v[118:119], v122 offset0:14 offset1:15
	ds_read2_b32 v[120:121], v122 offset0:12 offset1:13
	;; [unrolled: 1-line block ×4, first 2 shown]
	v_mov_b32_e32 v122, 0
	s_waitcnt lgkmcnt(7)
	v_dot4c_i32_i8_e32 v122, v112, v4
	v_dot4c_i32_i8_e32 v122, v113, v5
	s_waitcnt lgkmcnt(5)
	v_dot4c_i32_i8_e32 v123, v108, v0
	v_dot4c_i32_i8_e32 v122, v110, v6
	;; [unrolled: 1-line block ×4, first 2 shown]
	s_waitcnt lgkmcnt(4)
	v_bfe_i32 v211, v124, 8, 8
	v_dot4c_i32_i8_e32 v123, v106, v2
	v_dot4c_i32_i8_e32 v123, v107, v3
	v_mul_lo_u32 v122, v122, v211
	v_bfe_i32 v212, v124, 0, 8
	v_mov_b32_e32 v125, 0
	v_mad_u64_u32 v[122:123], s[22:23], v123, v212, v[122:123]
	s_waitcnt lgkmcnt(2)
	v_dot4c_i32_i8_e32 v125, v120, v12
	v_mov_b32_e32 v126, 0
	v_cvt_f32_i32_e32 v122, v122
	v_dot4c_i32_i8_e32 v125, v121, v13
	s_waitcnt lgkmcnt(0)
	v_dot4c_i32_i8_e32 v126, v136, v8
	v_dot4c_i32_i8_e32 v125, v118, v14
	;; [unrolled: 1-line block ×5, first 2 shown]
	v_ashrrev_i32_e32 v214, 24, v124
	v_dot4c_i32_i8_e32 v126, v133, v11
	v_fma_f32 v127, v162, v122, 0
	v_bfe_i32 v213, v124, 16, 8
	v_mul_lo_u32 v122, v125, v214
	v_mad_u64_u32 v[122:123], s[22:23], v126, v213, v[122:123]
	v_cvt_f32_i32_e32 v122, v122
	v_add_u32_e32 v130, s19, v196
	v_add_u32_e32 v131, s20, v197
	v_mov_b32_e32 v135, 0
	v_fmac_f32_e32 v127, v163, v122
	v_fmac_f32_e32 v89, v204, v127
	ds_read2_b32 v[126:127], v131 offset0:6 offset1:7
	ds_read2_b32 v[128:129], v131 offset0:4 offset1:5
	;; [unrolled: 1-line block ×3, first 2 shown]
	ds_read2_b32 v[124:125], v131 offset1:1
	ds_read_b32 v134, v130
	ds_read2_b32 v[138:139], v131 offset0:14 offset1:15
	ds_read2_b32 v[140:141], v131 offset0:12 offset1:13
	v_mov_b32_e32 v130, 0
	ds_read2_b32 v[148:149], v131 offset0:10 offset1:11
	ds_read2_b32 v[152:153], v131 offset0:8 offset1:9
	s_waitcnt lgkmcnt(7)
	v_dot4c_i32_i8_e32 v130, v128, v4
	v_mov_b32_e32 v131, 0
	v_dot4c_i32_i8_e32 v130, v129, v5
	s_waitcnt lgkmcnt(5)
	v_dot4c_i32_i8_e32 v131, v124, v0
	v_dot4c_i32_i8_e32 v130, v126, v6
	;; [unrolled: 1-line block ×4, first 2 shown]
	s_waitcnt lgkmcnt(4)
	v_bfe_i32 v215, v134, 8, 8
	v_dot4c_i32_i8_e32 v131, v122, v2
	v_dot4c_i32_i8_e32 v131, v123, v3
	v_mul_lo_u32 v130, v130, v215
	v_bfe_i32 v216, v134, 0, 8
	s_waitcnt lgkmcnt(2)
	v_dot4c_i32_i8_e32 v135, v140, v12
	v_mad_u64_u32 v[130:131], s[22:23], v131, v216, v[130:131]
	v_mov_b32_e32 v142, 0
	v_cvt_f32_i32_e32 v130, v130
	v_dot4c_i32_i8_e32 v135, v141, v13
	s_waitcnt lgkmcnt(0)
	v_dot4c_i32_i8_e32 v142, v152, v8
	v_dot4c_i32_i8_e32 v135, v138, v14
	;; [unrolled: 1-line block ×5, first 2 shown]
	v_ashrrev_i32_e32 v218, 24, v134
	v_dot4c_i32_i8_e32 v142, v149, v11
	v_fma_f32 v143, v162, v130, 0
	v_bfe_i32 v217, v134, 16, 8
	v_mul_lo_u32 v130, v135, v218
	v_mad_u64_u32 v[130:131], s[22:23], v142, v217, v[130:131]
	v_cvt_f32_i32_e32 v130, v130
	v_add_u32_e32 v146, s19, v198
	v_add_u32_e32 v156, s20, v199
	v_mov_b32_e32 v223, 0
	v_fmac_f32_e32 v143, v163, v130
	v_fmac_f32_e32 v85, v205, v143
	ds_read2_b32 v[142:143], v156 offset0:6 offset1:7
	ds_read2_b32 v[144:145], v156 offset0:4 offset1:5
	;; [unrolled: 1-line block ×3, first 2 shown]
	ds_read2_b32 v[134:135], v156 offset1:1
	ds_read_b32 v222, v146
	ds_read2_b32 v[146:147], v156 offset0:14 offset1:15
	ds_read2_b32 v[150:151], v156 offset0:12 offset1:13
	;; [unrolled: 1-line block ×4, first 2 shown]
	v_mov_b32_e32 v224, 0
	s_waitcnt lgkmcnt(4)
	v_bfe_i32 v219, v222, 8, 8
	v_bfe_i32 v220, v222, 0, 8
	s_waitcnt lgkmcnt(2)
	v_dot4c_i32_i8_e32 v223, v150, v12
	v_mov_b32_e32 v12, 0
	s_waitcnt lgkmcnt(0)
	v_dot4c_i32_i8_e32 v12, v156, v8
	v_mov_b32_e32 v8, 0
	v_dot4c_i32_i8_e32 v8, v144, v4
	v_dot4c_i32_i8_e32 v8, v145, v5
	v_mov_b32_e32 v5, 0
	v_dot4c_i32_i8_e32 v5, v134, v0
	v_dot4c_i32_i8_e32 v8, v142, v6
	;; [unrolled: 1-line block ×7, first 2 shown]
	v_mul_lo_u32 v4, v8, v219
	v_dot4c_i32_i8_e32 v223, v146, v14
	v_mad_u64_u32 v[0:1], s[20:21], v5, v220, v[4:5]
	v_cvt_f32_i32_e32 v0, v0
	v_dot4c_i32_i8_e32 v12, v157, v9
	v_dot4c_i32_i8_e32 v223, v147, v15
	;; [unrolled: 1-line block ×3, first 2 shown]
	v_bfe_i32 v221, v222, 16, 8
	v_ashrrev_i32_e32 v222, 24, v222
	v_dot4c_i32_i8_e32 v12, v155, v11
	v_fma_f32 v2, v162, v0, 0
	v_mul_lo_u32 v0, v223, v222
	v_mov_b32_e32 v225, 0
	v_mad_u64_u32 v[0:1], s[20:21], v12, v221, v[0:1]
	v_cvt_f32_i32_e32 v0, v0
	v_mov_b32_e32 v223, 0
	v_mov_b32_e32 v226, 0
	v_fmac_f32_e32 v2, v163, v0
	v_or_b32_e32 v0, s1, v167
	v_lshlrev_b32_e32 v12, 2, v0
	v_lshrrev_b32_e32 v162, 1, v0
	v_fmac_f32_e32 v81, v206, v2
	ds_read_b128 v[0:3], v12 offset:33280
	ds_read_b128 v[4:7], v12 offset:33296
	;; [unrolled: 1-line block ×4, first 2 shown]
	ds_read_b64 v[162:163], v162 offset:43584
	s_waitcnt lgkmcnt(4)
	v_dot4c_i32_i8_e32 v225, v100, v0
	s_waitcnt lgkmcnt(3)
	v_dot4c_i32_i8_e32 v224, v104, v4
	v_dot4c_i32_i8_e32 v224, v105, v5
	;; [unrolled: 1-line block ×7, first 2 shown]
	s_waitcnt lgkmcnt(1)
	v_dot4c_i32_i8_e32 v223, v160, v12
	v_mul_lo_u32 v224, v224, v207
	v_dot4c_i32_i8_e32 v223, v161, v13
	v_mad_u64_u32 v[224:225], s[20:21], v225, v208, v[224:225]
	v_cvt_f32_i32_e32 v224, v224
	v_dot4c_i32_i8_e32 v226, v116, v8
	v_dot4c_i32_i8_e32 v223, v158, v14
	;; [unrolled: 1-line block ×6, first 2 shown]
	s_waitcnt lgkmcnt(0)
	v_fma_f32 v227, v162, v224, 0
	v_mul_lo_u32 v224, v223, v210
	v_mad_u64_u32 v[224:225], s[20:21], v226, v209, v[224:225]
	v_cvt_f32_i32_e32 v223, v224
	v_mov_b32_e32 v224, 0
	v_dot4c_i32_i8_e32 v224, v112, v4
	v_mov_b32_e32 v225, 0
	v_dot4c_i32_i8_e32 v224, v113, v5
	v_dot4c_i32_i8_e32 v225, v108, v0
	;; [unrolled: 1-line block ×7, first 2 shown]
	v_fmac_f32_e32 v227, v163, v223
	v_mul_lo_u32 v224, v224, v211
	v_mov_b32_e32 v223, 0
	v_mad_u64_u32 v[224:225], s[20:21], v225, v212, v[224:225]
	v_dot4c_i32_i8_e32 v223, v120, v12
	v_mov_b32_e32 v226, 0
	v_cvt_f32_i32_e32 v224, v224
	v_dot4c_i32_i8_e32 v223, v121, v13
	v_dot4c_i32_i8_e32 v226, v136, v8
	;; [unrolled: 1-line block ×6, first 2 shown]
	v_fmac_f32_e32 v77, v203, v227
	v_dot4c_i32_i8_e32 v226, v133, v11
	v_fma_f32 v227, v162, v224, 0
	v_mul_lo_u32 v224, v223, v214
	s_nop 0
	v_mad_u64_u32 v[224:225], s[20:21], v226, v213, v[224:225]
	v_cvt_f32_i32_e32 v223, v224
	v_mov_b32_e32 v224, 0
	v_dot4c_i32_i8_e32 v224, v128, v4
	v_mov_b32_e32 v225, 0
	v_dot4c_i32_i8_e32 v224, v129, v5
	v_dot4c_i32_i8_e32 v225, v124, v0
	;; [unrolled: 1-line block ×7, first 2 shown]
	v_fmac_f32_e32 v227, v163, v223
	v_mul_lo_u32 v224, v224, v215
	v_mov_b32_e32 v223, 0
	v_mad_u64_u32 v[224:225], s[20:21], v225, v216, v[224:225]
	v_dot4c_i32_i8_e32 v223, v140, v12
	v_mov_b32_e32 v226, 0
	v_cvt_f32_i32_e32 v224, v224
	v_dot4c_i32_i8_e32 v223, v141, v13
	v_dot4c_i32_i8_e32 v226, v152, v8
	;; [unrolled: 1-line block ×6, first 2 shown]
	v_fmac_f32_e32 v75, v204, v227
	v_dot4c_i32_i8_e32 v226, v149, v11
	v_fma_f32 v227, v162, v224, 0
	v_mul_lo_u32 v224, v223, v218
	s_nop 0
	v_mad_u64_u32 v[224:225], s[20:21], v226, v217, v[224:225]
	v_cvt_f32_i32_e32 v223, v224
	v_mov_b32_e32 v224, 0
	v_mov_b32_e32 v225, 0
	;; [unrolled: 1-line block ×3, first 2 shown]
	v_fmac_f32_e32 v227, v163, v223
	v_mov_b32_e32 v223, 0
	v_dot4c_i32_i8_e32 v223, v150, v12
	v_mov_b32_e32 v12, 0
	v_dot4c_i32_i8_e32 v12, v156, v8
	;; [unrolled: 2-line block ×3, first 2 shown]
	v_dot4c_i32_i8_e32 v8, v145, v5
	v_mov_b32_e32 v5, 0
	v_dot4c_i32_i8_e32 v5, v134, v0
	v_dot4c_i32_i8_e32 v8, v142, v6
	;; [unrolled: 1-line block ×7, first 2 shown]
	v_mul_lo_u32 v4, v8, v219
	v_dot4c_i32_i8_e32 v223, v146, v14
	v_mad_u64_u32 v[0:1], s[20:21], v5, v220, v[4:5]
	v_cvt_f32_i32_e32 v0, v0
	v_dot4c_i32_i8_e32 v12, v157, v9
	v_dot4c_i32_i8_e32 v223, v147, v15
	v_dot4c_i32_i8_e32 v12, v154, v10
	v_dot4c_i32_i8_e32 v12, v155, v11
	v_fma_f32 v2, v162, v0, 0
	v_mul_lo_u32 v0, v223, v222
	v_mov_b32_e32 v223, 0
	v_mad_u64_u32 v[0:1], s[20:21], v12, v221, v[0:1]
	v_cvt_f32_i32_e32 v0, v0
	v_fmac_f32_e32 v71, v205, v227
	v_fmac_f32_e32 v2, v163, v0
	v_or_b32_e32 v0, s1, v170
	v_lshlrev_b32_e32 v12, 2, v0
	v_lshrrev_b32_e32 v162, 1, v0
	v_fmac_f32_e32 v69, v206, v2
	ds_read_b128 v[0:3], v12 offset:33280
	ds_read_b128 v[4:7], v12 offset:33296
	;; [unrolled: 1-line block ×4, first 2 shown]
	ds_read_b64 v[162:163], v162 offset:43584
	s_waitcnt lgkmcnt(4)
	v_dot4c_i32_i8_e32 v225, v100, v0
	s_waitcnt lgkmcnt(3)
	v_dot4c_i32_i8_e32 v224, v104, v4
	v_dot4c_i32_i8_e32 v224, v105, v5
	;; [unrolled: 1-line block ×7, first 2 shown]
	s_waitcnt lgkmcnt(1)
	v_dot4c_i32_i8_e32 v223, v160, v12
	v_mul_lo_u32 v224, v224, v207
	v_dot4c_i32_i8_e32 v223, v161, v13
	v_mad_u64_u32 v[224:225], s[20:21], v225, v208, v[224:225]
	v_cvt_f32_i32_e32 v224, v224
	v_dot4c_i32_i8_e32 v226, v116, v8
	v_dot4c_i32_i8_e32 v223, v158, v14
	;; [unrolled: 1-line block ×6, first 2 shown]
	s_waitcnt lgkmcnt(0)
	v_fma_f32 v227, v162, v224, 0
	v_mul_lo_u32 v224, v223, v210
	v_mad_u64_u32 v[224:225], s[20:21], v226, v209, v[224:225]
	v_cvt_f32_i32_e32 v223, v224
	v_mov_b32_e32 v224, 0
	v_dot4c_i32_i8_e32 v224, v112, v4
	v_mov_b32_e32 v225, 0
	v_dot4c_i32_i8_e32 v224, v113, v5
	v_dot4c_i32_i8_e32 v225, v108, v0
	;; [unrolled: 1-line block ×7, first 2 shown]
	v_fmac_f32_e32 v227, v163, v223
	v_mul_lo_u32 v224, v224, v211
	v_mov_b32_e32 v223, 0
	v_mad_u64_u32 v[224:225], s[20:21], v225, v212, v[224:225]
	v_dot4c_i32_i8_e32 v223, v120, v12
	v_mov_b32_e32 v226, 0
	v_cvt_f32_i32_e32 v224, v224
	v_dot4c_i32_i8_e32 v223, v121, v13
	v_dot4c_i32_i8_e32 v226, v136, v8
	;; [unrolled: 1-line block ×6, first 2 shown]
	v_fmac_f32_e32 v67, v203, v227
	v_dot4c_i32_i8_e32 v226, v133, v11
	v_fma_f32 v227, v162, v224, 0
	v_mul_lo_u32 v224, v223, v214
	s_nop 0
	v_mad_u64_u32 v[224:225], s[20:21], v226, v213, v[224:225]
	v_cvt_f32_i32_e32 v223, v224
	v_mov_b32_e32 v224, 0
	v_dot4c_i32_i8_e32 v224, v128, v4
	v_mov_b32_e32 v225, 0
	v_dot4c_i32_i8_e32 v224, v129, v5
	v_dot4c_i32_i8_e32 v225, v124, v0
	;; [unrolled: 1-line block ×7, first 2 shown]
	v_fmac_f32_e32 v227, v163, v223
	v_mul_lo_u32 v224, v224, v215
	v_mov_b32_e32 v223, 0
	v_mad_u64_u32 v[224:225], s[20:21], v225, v216, v[224:225]
	v_dot4c_i32_i8_e32 v223, v140, v12
	v_mov_b32_e32 v226, 0
	v_cvt_f32_i32_e32 v224, v224
	v_dot4c_i32_i8_e32 v223, v141, v13
	v_dot4c_i32_i8_e32 v226, v152, v8
	;; [unrolled: 1-line block ×6, first 2 shown]
	v_fmac_f32_e32 v65, v204, v227
	v_dot4c_i32_i8_e32 v226, v149, v11
	v_fma_f32 v227, v162, v224, 0
	v_mul_lo_u32 v224, v223, v218
	s_nop 0
	v_mad_u64_u32 v[224:225], s[20:21], v226, v217, v[224:225]
	v_cvt_f32_i32_e32 v223, v224
	v_mov_b32_e32 v224, 0
	v_mov_b32_e32 v225, 0
	;; [unrolled: 1-line block ×3, first 2 shown]
	v_fmac_f32_e32 v227, v163, v223
	v_mov_b32_e32 v223, 0
	v_dot4c_i32_i8_e32 v223, v150, v12
	v_mov_b32_e32 v12, 0
	v_dot4c_i32_i8_e32 v12, v156, v8
	;; [unrolled: 2-line block ×3, first 2 shown]
	v_dot4c_i32_i8_e32 v8, v145, v5
	v_mov_b32_e32 v5, 0
	v_dot4c_i32_i8_e32 v5, v134, v0
	v_dot4c_i32_i8_e32 v8, v142, v6
	;; [unrolled: 1-line block ×7, first 2 shown]
	v_mul_lo_u32 v4, v8, v219
	v_dot4c_i32_i8_e32 v223, v146, v14
	v_mad_u64_u32 v[0:1], s[20:21], v5, v220, v[4:5]
	v_cvt_f32_i32_e32 v0, v0
	v_dot4c_i32_i8_e32 v12, v157, v9
	v_dot4c_i32_i8_e32 v223, v147, v15
	;; [unrolled: 1-line block ×4, first 2 shown]
	v_fma_f32 v2, v162, v0, 0
	v_mul_lo_u32 v0, v223, v222
	v_mov_b32_e32 v223, 0
	v_mad_u64_u32 v[0:1], s[20:21], v12, v221, v[0:1]
	v_cvt_f32_i32_e32 v0, v0
	v_fmac_f32_e32 v61, v205, v227
	v_fmac_f32_e32 v2, v163, v0
	v_or_b32_e32 v0, s1, v173
	v_lshlrev_b32_e32 v12, 2, v0
	v_lshrrev_b32_e32 v162, 1, v0
	v_fmac_f32_e32 v57, v206, v2
	ds_read_b128 v[0:3], v12 offset:33280
	ds_read_b128 v[4:7], v12 offset:33296
	;; [unrolled: 1-line block ×4, first 2 shown]
	ds_read_b64 v[162:163], v162 offset:43584
	s_waitcnt lgkmcnt(4)
	v_dot4c_i32_i8_e32 v225, v100, v0
	s_waitcnt lgkmcnt(3)
	v_dot4c_i32_i8_e32 v224, v104, v4
	v_dot4c_i32_i8_e32 v224, v105, v5
	;; [unrolled: 1-line block ×7, first 2 shown]
	s_waitcnt lgkmcnt(1)
	v_dot4c_i32_i8_e32 v223, v160, v12
	v_mul_lo_u32 v224, v224, v207
	v_dot4c_i32_i8_e32 v223, v161, v13
	v_mad_u64_u32 v[224:225], s[20:21], v225, v208, v[224:225]
	v_cvt_f32_i32_e32 v224, v224
	v_dot4c_i32_i8_e32 v226, v116, v8
	v_dot4c_i32_i8_e32 v223, v158, v14
	;; [unrolled: 1-line block ×6, first 2 shown]
	s_waitcnt lgkmcnt(0)
	v_fma_f32 v227, v162, v224, 0
	v_mul_lo_u32 v224, v223, v210
	v_mad_u64_u32 v[224:225], s[20:21], v226, v209, v[224:225]
	v_cvt_f32_i32_e32 v223, v224
	v_mov_b32_e32 v224, 0
	v_dot4c_i32_i8_e32 v224, v112, v4
	v_mov_b32_e32 v225, 0
	v_dot4c_i32_i8_e32 v224, v113, v5
	v_dot4c_i32_i8_e32 v225, v108, v0
	;; [unrolled: 1-line block ×7, first 2 shown]
	v_fmac_f32_e32 v227, v163, v223
	v_mul_lo_u32 v224, v224, v211
	v_mov_b32_e32 v223, 0
	v_mad_u64_u32 v[224:225], s[20:21], v225, v212, v[224:225]
	v_dot4c_i32_i8_e32 v223, v120, v12
	v_mov_b32_e32 v226, 0
	v_cvt_f32_i32_e32 v224, v224
	v_dot4c_i32_i8_e32 v223, v121, v13
	v_dot4c_i32_i8_e32 v226, v136, v8
	;; [unrolled: 1-line block ×6, first 2 shown]
	v_fmac_f32_e32 v55, v203, v227
	v_dot4c_i32_i8_e32 v226, v133, v11
	v_fma_f32 v227, v162, v224, 0
	v_mul_lo_u32 v224, v223, v214
	s_nop 0
	v_mad_u64_u32 v[224:225], s[20:21], v226, v213, v[224:225]
	v_cvt_f32_i32_e32 v223, v224
	v_mov_b32_e32 v224, 0
	v_dot4c_i32_i8_e32 v224, v128, v4
	v_mov_b32_e32 v225, 0
	v_dot4c_i32_i8_e32 v224, v129, v5
	v_dot4c_i32_i8_e32 v225, v124, v0
	;; [unrolled: 1-line block ×7, first 2 shown]
	v_fmac_f32_e32 v227, v163, v223
	v_mul_lo_u32 v224, v224, v215
	v_mov_b32_e32 v223, 0
	v_mad_u64_u32 v[224:225], s[20:21], v225, v216, v[224:225]
	v_dot4c_i32_i8_e32 v223, v140, v12
	v_mov_b32_e32 v226, 0
	v_cvt_f32_i32_e32 v224, v224
	v_dot4c_i32_i8_e32 v223, v141, v13
	v_dot4c_i32_i8_e32 v226, v152, v8
	;; [unrolled: 1-line block ×6, first 2 shown]
	v_fmac_f32_e32 v53, v204, v227
	v_dot4c_i32_i8_e32 v226, v149, v11
	v_fma_f32 v227, v162, v224, 0
	v_mul_lo_u32 v224, v223, v218
	s_nop 0
	v_mad_u64_u32 v[224:225], s[20:21], v226, v217, v[224:225]
	v_cvt_f32_i32_e32 v223, v224
	v_mov_b32_e32 v224, 0
	v_mov_b32_e32 v225, 0
	v_mov_b32_e32 v226, 0
	v_fmac_f32_e32 v227, v163, v223
	v_mov_b32_e32 v223, 0
	v_dot4c_i32_i8_e32 v223, v150, v12
	v_mov_b32_e32 v12, 0
	v_dot4c_i32_i8_e32 v12, v156, v8
	;; [unrolled: 2-line block ×3, first 2 shown]
	v_dot4c_i32_i8_e32 v8, v145, v5
	v_mov_b32_e32 v5, 0
	v_dot4c_i32_i8_e32 v5, v134, v0
	v_dot4c_i32_i8_e32 v8, v142, v6
	v_dot4c_i32_i8_e32 v5, v135, v1
	v_dot4c_i32_i8_e32 v8, v143, v7
	v_dot4c_i32_i8_e32 v5, v130, v2
	v_dot4c_i32_i8_e32 v5, v131, v3
	v_dot4c_i32_i8_e32 v223, v151, v13
	v_mul_lo_u32 v4, v8, v219
	v_dot4c_i32_i8_e32 v223, v146, v14
	v_mad_u64_u32 v[0:1], s[20:21], v5, v220, v[4:5]
	v_cvt_f32_i32_e32 v0, v0
	v_dot4c_i32_i8_e32 v12, v157, v9
	v_dot4c_i32_i8_e32 v223, v147, v15
	;; [unrolled: 1-line block ×4, first 2 shown]
	v_fma_f32 v2, v162, v0, 0
	v_mul_lo_u32 v0, v223, v222
	v_mov_b32_e32 v223, 0
	v_mad_u64_u32 v[0:1], s[20:21], v12, v221, v[0:1]
	v_cvt_f32_i32_e32 v0, v0
	v_fmac_f32_e32 v51, v205, v227
	v_fmac_f32_e32 v2, v163, v0
	v_or_b32_e32 v0, s1, v176
	v_lshlrev_b32_e32 v12, 2, v0
	v_lshrrev_b32_e32 v162, 1, v0
	v_fmac_f32_e32 v49, v206, v2
	ds_read_b128 v[0:3], v12 offset:33280
	ds_read_b128 v[4:7], v12 offset:33296
	;; [unrolled: 1-line block ×4, first 2 shown]
	ds_read_b64 v[162:163], v162 offset:43584
	s_waitcnt lgkmcnt(4)
	v_dot4c_i32_i8_e32 v225, v100, v0
	s_waitcnt lgkmcnt(3)
	v_dot4c_i32_i8_e32 v224, v104, v4
	v_dot4c_i32_i8_e32 v224, v105, v5
	;; [unrolled: 1-line block ×7, first 2 shown]
	s_waitcnt lgkmcnt(1)
	v_dot4c_i32_i8_e32 v223, v160, v12
	v_mul_lo_u32 v224, v224, v207
	v_dot4c_i32_i8_e32 v223, v161, v13
	v_mad_u64_u32 v[224:225], s[20:21], v225, v208, v[224:225]
	v_cvt_f32_i32_e32 v224, v224
	v_dot4c_i32_i8_e32 v226, v116, v8
	v_dot4c_i32_i8_e32 v223, v158, v14
	;; [unrolled: 1-line block ×6, first 2 shown]
	s_waitcnt lgkmcnt(0)
	v_fma_f32 v227, v162, v224, 0
	v_mul_lo_u32 v224, v223, v210
	v_mad_u64_u32 v[224:225], s[20:21], v226, v209, v[224:225]
	v_cvt_f32_i32_e32 v223, v224
	v_mov_b32_e32 v224, 0
	v_dot4c_i32_i8_e32 v224, v112, v4
	v_mov_b32_e32 v225, 0
	v_dot4c_i32_i8_e32 v224, v113, v5
	v_dot4c_i32_i8_e32 v225, v108, v0
	;; [unrolled: 1-line block ×7, first 2 shown]
	v_fmac_f32_e32 v227, v163, v223
	v_mul_lo_u32 v224, v224, v211
	v_mov_b32_e32 v223, 0
	v_mad_u64_u32 v[224:225], s[20:21], v225, v212, v[224:225]
	v_dot4c_i32_i8_e32 v223, v120, v12
	v_mov_b32_e32 v226, 0
	v_cvt_f32_i32_e32 v224, v224
	v_dot4c_i32_i8_e32 v223, v121, v13
	v_dot4c_i32_i8_e32 v226, v136, v8
	;; [unrolled: 1-line block ×6, first 2 shown]
	v_fmac_f32_e32 v47, v203, v227
	v_dot4c_i32_i8_e32 v226, v133, v11
	v_fma_f32 v227, v162, v224, 0
	v_mul_lo_u32 v224, v223, v214
	s_nop 0
	v_mad_u64_u32 v[224:225], s[20:21], v226, v213, v[224:225]
	v_cvt_f32_i32_e32 v223, v224
	v_mov_b32_e32 v224, 0
	v_dot4c_i32_i8_e32 v224, v128, v4
	v_mov_b32_e32 v225, 0
	v_dot4c_i32_i8_e32 v224, v129, v5
	v_dot4c_i32_i8_e32 v225, v124, v0
	;; [unrolled: 1-line block ×7, first 2 shown]
	v_fmac_f32_e32 v227, v163, v223
	v_mul_lo_u32 v224, v224, v215
	v_mov_b32_e32 v223, 0
	v_mad_u64_u32 v[224:225], s[20:21], v225, v216, v[224:225]
	v_dot4c_i32_i8_e32 v223, v140, v12
	v_mov_b32_e32 v226, 0
	v_cvt_f32_i32_e32 v224, v224
	v_dot4c_i32_i8_e32 v223, v141, v13
	v_dot4c_i32_i8_e32 v226, v152, v8
	;; [unrolled: 1-line block ×6, first 2 shown]
	v_fmac_f32_e32 v45, v204, v227
	v_dot4c_i32_i8_e32 v226, v149, v11
	v_fma_f32 v227, v162, v224, 0
	v_mul_lo_u32 v224, v223, v218
	s_nop 0
	v_mad_u64_u32 v[224:225], s[20:21], v226, v217, v[224:225]
	v_cvt_f32_i32_e32 v223, v224
	v_mov_b32_e32 v224, 0
	v_mov_b32_e32 v225, 0
	v_mov_b32_e32 v226, 0
	v_fmac_f32_e32 v227, v163, v223
	v_mov_b32_e32 v223, 0
	v_dot4c_i32_i8_e32 v223, v150, v12
	v_mov_b32_e32 v12, 0
	v_dot4c_i32_i8_e32 v12, v156, v8
	;; [unrolled: 2-line block ×3, first 2 shown]
	v_dot4c_i32_i8_e32 v8, v145, v5
	v_mov_b32_e32 v5, 0
	v_dot4c_i32_i8_e32 v5, v134, v0
	v_dot4c_i32_i8_e32 v8, v142, v6
	;; [unrolled: 1-line block ×7, first 2 shown]
	v_mul_lo_u32 v4, v8, v219
	v_dot4c_i32_i8_e32 v223, v146, v14
	v_mad_u64_u32 v[0:1], s[20:21], v5, v220, v[4:5]
	v_cvt_f32_i32_e32 v0, v0
	v_dot4c_i32_i8_e32 v12, v157, v9
	v_dot4c_i32_i8_e32 v223, v147, v15
	;; [unrolled: 1-line block ×4, first 2 shown]
	v_fma_f32 v2, v162, v0, 0
	v_mul_lo_u32 v0, v223, v222
	v_mov_b32_e32 v223, 0
	v_mad_u64_u32 v[0:1], s[20:21], v12, v221, v[0:1]
	v_cvt_f32_i32_e32 v0, v0
	v_fmac_f32_e32 v43, v205, v227
	v_fmac_f32_e32 v2, v163, v0
	v_or_b32_e32 v0, s1, v179
	v_lshlrev_b32_e32 v12, 2, v0
	v_lshrrev_b32_e32 v162, 1, v0
	v_fmac_f32_e32 v41, v206, v2
	ds_read_b128 v[0:3], v12 offset:33280
	ds_read_b128 v[4:7], v12 offset:33296
	ds_read_b128 v[8:11], v12 offset:33312
	ds_read_b128 v[12:15], v12 offset:33328
	ds_read_b64 v[162:163], v162 offset:43584
	s_waitcnt lgkmcnt(4)
	v_dot4c_i32_i8_e32 v225, v100, v0
	s_waitcnt lgkmcnt(3)
	v_dot4c_i32_i8_e32 v224, v104, v4
	v_dot4c_i32_i8_e32 v224, v105, v5
	;; [unrolled: 1-line block ×7, first 2 shown]
	s_waitcnt lgkmcnt(1)
	v_dot4c_i32_i8_e32 v223, v160, v12
	v_mul_lo_u32 v224, v224, v207
	v_dot4c_i32_i8_e32 v223, v161, v13
	v_mad_u64_u32 v[224:225], s[20:21], v225, v208, v[224:225]
	v_cvt_f32_i32_e32 v224, v224
	v_dot4c_i32_i8_e32 v226, v116, v8
	v_dot4c_i32_i8_e32 v223, v158, v14
	;; [unrolled: 1-line block ×6, first 2 shown]
	s_waitcnt lgkmcnt(0)
	v_fma_f32 v227, v162, v224, 0
	v_mul_lo_u32 v224, v223, v210
	v_mad_u64_u32 v[224:225], s[20:21], v226, v209, v[224:225]
	v_cvt_f32_i32_e32 v223, v224
	v_mov_b32_e32 v224, 0
	v_dot4c_i32_i8_e32 v224, v112, v4
	v_mov_b32_e32 v225, 0
	v_dot4c_i32_i8_e32 v224, v113, v5
	v_dot4c_i32_i8_e32 v225, v108, v0
	;; [unrolled: 1-line block ×7, first 2 shown]
	v_fmac_f32_e32 v227, v163, v223
	v_mul_lo_u32 v224, v224, v211
	v_mov_b32_e32 v223, 0
	v_mad_u64_u32 v[224:225], s[20:21], v225, v212, v[224:225]
	v_dot4c_i32_i8_e32 v223, v120, v12
	v_mov_b32_e32 v226, 0
	v_cvt_f32_i32_e32 v224, v224
	v_dot4c_i32_i8_e32 v223, v121, v13
	v_dot4c_i32_i8_e32 v226, v136, v8
	;; [unrolled: 1-line block ×6, first 2 shown]
	v_fmac_f32_e32 v39, v203, v227
	v_dot4c_i32_i8_e32 v226, v133, v11
	v_fma_f32 v227, v162, v224, 0
	v_mul_lo_u32 v224, v223, v214
	s_nop 0
	v_mad_u64_u32 v[224:225], s[20:21], v226, v213, v[224:225]
	v_cvt_f32_i32_e32 v223, v224
	v_mov_b32_e32 v224, 0
	v_dot4c_i32_i8_e32 v224, v128, v4
	v_mov_b32_e32 v225, 0
	v_dot4c_i32_i8_e32 v224, v129, v5
	v_dot4c_i32_i8_e32 v225, v124, v0
	;; [unrolled: 1-line block ×7, first 2 shown]
	v_fmac_f32_e32 v227, v163, v223
	v_mul_lo_u32 v224, v224, v215
	v_mov_b32_e32 v223, 0
	v_mad_u64_u32 v[224:225], s[20:21], v225, v216, v[224:225]
	v_dot4c_i32_i8_e32 v223, v140, v12
	v_mov_b32_e32 v226, 0
	v_cvt_f32_i32_e32 v224, v224
	v_dot4c_i32_i8_e32 v223, v141, v13
	v_dot4c_i32_i8_e32 v226, v152, v8
	;; [unrolled: 1-line block ×6, first 2 shown]
	v_fmac_f32_e32 v37, v204, v227
	v_dot4c_i32_i8_e32 v226, v149, v11
	v_fma_f32 v227, v162, v224, 0
	v_mul_lo_u32 v224, v223, v218
	s_nop 0
	v_mad_u64_u32 v[224:225], s[20:21], v226, v217, v[224:225]
	v_cvt_f32_i32_e32 v223, v224
	v_mov_b32_e32 v224, 0
	v_mov_b32_e32 v225, 0
	;; [unrolled: 1-line block ×3, first 2 shown]
	v_fmac_f32_e32 v227, v163, v223
	v_mov_b32_e32 v223, 0
	v_dot4c_i32_i8_e32 v223, v150, v12
	v_mov_b32_e32 v12, 0
	v_dot4c_i32_i8_e32 v12, v156, v8
	;; [unrolled: 2-line block ×3, first 2 shown]
	v_dot4c_i32_i8_e32 v8, v145, v5
	v_mov_b32_e32 v5, 0
	v_dot4c_i32_i8_e32 v5, v134, v0
	v_dot4c_i32_i8_e32 v8, v142, v6
	;; [unrolled: 1-line block ×7, first 2 shown]
	v_mul_lo_u32 v4, v8, v219
	v_dot4c_i32_i8_e32 v223, v146, v14
	v_mad_u64_u32 v[0:1], s[20:21], v5, v220, v[4:5]
	v_cvt_f32_i32_e32 v0, v0
	v_dot4c_i32_i8_e32 v12, v157, v9
	v_dot4c_i32_i8_e32 v223, v147, v15
	v_dot4c_i32_i8_e32 v12, v154, v10
	v_dot4c_i32_i8_e32 v12, v155, v11
	v_fma_f32 v2, v162, v0, 0
	v_mul_lo_u32 v0, v223, v222
	v_mov_b32_e32 v223, 0
	v_mad_u64_u32 v[0:1], s[20:21], v12, v221, v[0:1]
	v_cvt_f32_i32_e32 v0, v0
	v_fmac_f32_e32 v35, v205, v227
	v_fmac_f32_e32 v2, v163, v0
	v_or_b32_e32 v0, s1, v182
	v_lshlrev_b32_e32 v12, 2, v0
	v_lshrrev_b32_e32 v162, 1, v0
	v_fmac_f32_e32 v33, v206, v2
	ds_read_b128 v[0:3], v12 offset:33280
	ds_read_b128 v[4:7], v12 offset:33296
	;; [unrolled: 1-line block ×4, first 2 shown]
	ds_read_b64 v[162:163], v162 offset:43584
	s_waitcnt lgkmcnt(4)
	v_dot4c_i32_i8_e32 v225, v100, v0
	s_waitcnt lgkmcnt(3)
	v_dot4c_i32_i8_e32 v224, v104, v4
	v_dot4c_i32_i8_e32 v224, v105, v5
	;; [unrolled: 1-line block ×7, first 2 shown]
	s_waitcnt lgkmcnt(1)
	v_dot4c_i32_i8_e32 v223, v160, v12
	v_mul_lo_u32 v224, v224, v207
	v_dot4c_i32_i8_e32 v223, v161, v13
	v_mad_u64_u32 v[224:225], s[20:21], v225, v208, v[224:225]
	v_cvt_f32_i32_e32 v224, v224
	v_dot4c_i32_i8_e32 v226, v116, v8
	v_dot4c_i32_i8_e32 v223, v158, v14
	;; [unrolled: 1-line block ×6, first 2 shown]
	s_waitcnt lgkmcnt(0)
	v_fma_f32 v227, v162, v224, 0
	v_mul_lo_u32 v224, v223, v210
	v_mad_u64_u32 v[224:225], s[20:21], v226, v209, v[224:225]
	v_cvt_f32_i32_e32 v223, v224
	v_mov_b32_e32 v224, 0
	v_dot4c_i32_i8_e32 v224, v112, v4
	v_mov_b32_e32 v225, 0
	v_dot4c_i32_i8_e32 v224, v113, v5
	v_dot4c_i32_i8_e32 v225, v108, v0
	;; [unrolled: 1-line block ×7, first 2 shown]
	v_fmac_f32_e32 v227, v163, v223
	v_mul_lo_u32 v224, v224, v211
	v_mov_b32_e32 v223, 0
	v_mad_u64_u32 v[224:225], s[20:21], v225, v212, v[224:225]
	v_dot4c_i32_i8_e32 v223, v120, v12
	v_mov_b32_e32 v226, 0
	v_cvt_f32_i32_e32 v224, v224
	v_dot4c_i32_i8_e32 v223, v121, v13
	v_dot4c_i32_i8_e32 v226, v136, v8
	;; [unrolled: 1-line block ×6, first 2 shown]
	v_fmac_f32_e32 v31, v203, v227
	v_dot4c_i32_i8_e32 v226, v133, v11
	v_fma_f32 v227, v162, v224, 0
	v_mul_lo_u32 v224, v223, v214
	s_nop 0
	v_mad_u64_u32 v[224:225], s[20:21], v226, v213, v[224:225]
	v_cvt_f32_i32_e32 v223, v224
	v_mov_b32_e32 v224, 0
	v_dot4c_i32_i8_e32 v224, v128, v4
	v_mov_b32_e32 v225, 0
	v_dot4c_i32_i8_e32 v224, v129, v5
	v_dot4c_i32_i8_e32 v225, v124, v0
	;; [unrolled: 1-line block ×7, first 2 shown]
	v_fmac_f32_e32 v227, v163, v223
	v_mul_lo_u32 v224, v224, v215
	v_mov_b32_e32 v223, 0
	v_mad_u64_u32 v[224:225], s[20:21], v225, v216, v[224:225]
	v_dot4c_i32_i8_e32 v223, v140, v12
	v_mov_b32_e32 v226, 0
	v_cvt_f32_i32_e32 v224, v224
	v_dot4c_i32_i8_e32 v223, v141, v13
	v_dot4c_i32_i8_e32 v226, v152, v8
	;; [unrolled: 1-line block ×6, first 2 shown]
	v_fmac_f32_e32 v29, v204, v227
	v_dot4c_i32_i8_e32 v226, v149, v11
	v_fma_f32 v227, v162, v224, 0
	v_mul_lo_u32 v224, v223, v218
	s_nop 0
	v_mad_u64_u32 v[224:225], s[20:21], v226, v217, v[224:225]
	v_cvt_f32_i32_e32 v223, v224
	v_fmac_f32_e32 v227, v163, v223
	v_mov_b32_e32 v223, 0
	v_dot4c_i32_i8_e32 v223, v150, v12
	v_mov_b32_e32 v12, 0
	v_dot4c_i32_i8_e32 v12, v156, v8
	;; [unrolled: 2-line block ×3, first 2 shown]
	v_dot4c_i32_i8_e32 v8, v145, v5
	v_mov_b32_e32 v5, 0
	v_dot4c_i32_i8_e32 v5, v134, v0
	v_dot4c_i32_i8_e32 v8, v142, v6
	;; [unrolled: 1-line block ×7, first 2 shown]
	v_mul_lo_u32 v4, v8, v219
	v_dot4c_i32_i8_e32 v223, v146, v14
	v_mad_u64_u32 v[0:1], s[20:21], v5, v220, v[4:5]
	v_cvt_f32_i32_e32 v0, v0
	v_dot4c_i32_i8_e32 v12, v157, v9
	v_dot4c_i32_i8_e32 v223, v147, v15
	;; [unrolled: 1-line block ×4, first 2 shown]
	v_fma_f32 v2, v162, v0, 0
	v_mul_lo_u32 v0, v223, v222
	v_mov_b32_e32 v223, 0
	v_mad_u64_u32 v[0:1], s[20:21], v12, v221, v[0:1]
	v_cvt_f32_i32_e32 v0, v0
	v_fmac_f32_e32 v27, v205, v227
	v_fmac_f32_e32 v2, v163, v0
	v_or_b32_e32 v0, s1, v185
	v_lshlrev_b32_e32 v12, 2, v0
	v_lshrrev_b32_e32 v162, 1, v0
	v_fmac_f32_e32 v25, v206, v2
	ds_read_b128 v[0:3], v12 offset:33280
	ds_read_b128 v[4:7], v12 offset:33296
	;; [unrolled: 1-line block ×4, first 2 shown]
	ds_read_b64 v[162:163], v162 offset:43584
	s_add_i32 s1, s0, 8
	s_cmp_lt_u32 s0, 24
	s_mov_b32 s0, s1
	s_waitcnt lgkmcnt(1)
	v_dot4c_i32_i8_e32 v223, v160, v12
	v_dot4c_i32_i8_e32 v223, v161, v13
	;; [unrolled: 1-line block ×3, first 2 shown]
	v_mov_b32_e32 v158, 0
	v_dot4c_i32_i8_e32 v158, v116, v8
	v_dot4c_i32_i8_e32 v158, v117, v9
	;; [unrolled: 1-line block ×3, first 2 shown]
	v_mov_b32_e32 v114, 0
	v_dot4c_i32_i8_e32 v114, v104, v4
	v_dot4c_i32_i8_e32 v114, v105, v5
	;; [unrolled: 1-line block ×4, first 2 shown]
	v_mov_b32_e32 v103, 0
	v_dot4c_i32_i8_e32 v103, v100, v0
	v_dot4c_i32_i8_e32 v103, v101, v1
	;; [unrolled: 1-line block ×3, first 2 shown]
	v_mul_lo_u32 v102, v114, v207
	v_dot4c_i32_i8_e32 v103, v99, v3
	v_dot4c_i32_i8_e32 v223, v159, v15
	v_dot4c_i32_i8_e32 v158, v115, v11
	v_mov_b32_e32 v101, 0
	v_mad_u64_u32 v[98:99], s[20:21], v103, v208, v[102:103]
	v_cvt_f32_i32_e32 v98, v98
	v_dot4c_i32_i8_e32 v101, v136, v8
	v_dot4c_i32_i8_e32 v101, v137, v9
	;; [unrolled: 1-line block ×3, first 2 shown]
	s_waitcnt lgkmcnt(0)
	v_fma_f32 v100, v162, v98, 0
	v_mul_lo_u32 v98, v223, v210
	v_mad_u64_u32 v[98:99], s[20:21], v158, v209, v[98:99]
	v_cvt_f32_i32_e32 v98, v98
	v_mov_b32_e32 v99, 0
	v_dot4c_i32_i8_e32 v99, v108, v0
	v_dot4c_i32_i8_e32 v99, v109, v1
	v_fmac_f32_e32 v100, v163, v98
	v_mov_b32_e32 v98, 0
	v_dot4c_i32_i8_e32 v98, v112, v4
	v_dot4c_i32_i8_e32 v98, v113, v5
	;; [unrolled: 1-line block ×6, first 2 shown]
	v_fmac_f32_e32 v23, v203, v100
	v_mul_lo_u32 v98, v98, v211
	v_mov_b32_e32 v100, 0
	v_mad_u64_u32 v[98:99], s[20:21], v99, v212, v[98:99]
	v_dot4c_i32_i8_e32 v100, v120, v12
	v_cvt_f32_i32_e32 v98, v98
	v_dot4c_i32_i8_e32 v100, v121, v13
	v_dot4c_i32_i8_e32 v100, v118, v14
	;; [unrolled: 1-line block ×4, first 2 shown]
	v_fma_f32 v102, v162, v98, 0
	s_nop 0
	v_mul_lo_u32 v98, v100, v214
	v_mad_u64_u32 v[98:99], s[20:21], v101, v213, v[98:99]
	v_cvt_f32_i32_e32 v98, v98
	v_mov_b32_e32 v99, 0
	v_dot4c_i32_i8_e32 v99, v124, v0
	v_dot4c_i32_i8_e32 v99, v125, v1
	v_fmac_f32_e32 v102, v163, v98
	v_mov_b32_e32 v98, 0
	v_dot4c_i32_i8_e32 v98, v128, v4
	v_dot4c_i32_i8_e32 v98, v129, v5
	;; [unrolled: 1-line block ×6, first 2 shown]
	v_mov_b32_e32 v100, 0
	v_mul_lo_u32 v98, v98, v215
	v_dot4c_i32_i8_e32 v100, v140, v12
	v_mad_u64_u32 v[98:99], s[20:21], v99, v216, v[98:99]
	v_mov_b32_e32 v101, 0
	v_cvt_f32_i32_e32 v98, v98
	v_dot4c_i32_i8_e32 v100, v141, v13
	v_dot4c_i32_i8_e32 v101, v152, v8
	v_dot4c_i32_i8_e32 v100, v138, v14
	v_dot4c_i32_i8_e32 v101, v153, v9
	v_dot4c_i32_i8_e32 v100, v139, v15
	v_dot4c_i32_i8_e32 v101, v148, v10
	v_fmac_f32_e32 v21, v204, v102
	v_dot4c_i32_i8_e32 v101, v149, v11
	v_fma_f32 v102, v162, v98, 0
	v_mul_lo_u32 v98, v100, v218
	s_nop 0
	v_mad_u64_u32 v[98:99], s[20:21], v101, v217, v[98:99]
	v_cvt_f32_i32_e32 v98, v98
	v_fmac_f32_e32 v102, v163, v98
	v_mov_b32_e32 v98, 0
	v_dot4c_i32_i8_e32 v98, v150, v12
	v_mov_b32_e32 v12, 0
	v_dot4c_i32_i8_e32 v12, v156, v8
	;; [unrolled: 2-line block ×3, first 2 shown]
	v_dot4c_i32_i8_e32 v8, v145, v5
	v_mov_b32_e32 v5, 0
	v_dot4c_i32_i8_e32 v5, v134, v0
	v_dot4c_i32_i8_e32 v8, v142, v6
	;; [unrolled: 1-line block ×7, first 2 shown]
	v_mul_lo_u32 v4, v8, v219
	v_dot4c_i32_i8_e32 v98, v146, v14
	v_mad_u64_u32 v[0:1], s[20:21], v5, v220, v[4:5]
	v_cvt_f32_i32_e32 v0, v0
	v_dot4c_i32_i8_e32 v12, v157, v9
	v_dot4c_i32_i8_e32 v98, v147, v15
	;; [unrolled: 1-line block ×4, first 2 shown]
	v_fma_f32 v2, v162, v0, 0
	v_mul_lo_u32 v0, v98, v222
	v_fmac_f32_e32 v19, v205, v102
	v_mad_u64_u32 v[0:1], s[20:21], v12, v221, v[0:1]
	v_cvt_f32_i32_e32 v0, v0
	v_fmac_f32_e32 v2, v163, v0
	v_fmac_f32_e32 v17, v206, v2
	s_cbranch_scc1 .LBB176_8
; %bb.9:                                ;   in Loop: Header=BB176_5 Depth=1
	s_add_i32 s9, s9, 1
	s_cmp_eq_u32 s9, s4
	s_barrier
	s_cbranch_scc0 .LBB176_5
; %bb.10:
	v_mov_b32_e32 v1, v63
.LBB176_11:
	v_cmp_gt_u32_e32 vcc, s10, v73
	s_and_saveexec_b64 s[0:1], vcc
	s_cbranch_execz .LBB176_62
; %bb.12:
	v_add_u32_e32 v0, s6, v59
	v_mul_lo_u32 v5, v73, s14
	v_cmp_gt_u32_e32 vcc, s14, v0
	s_and_saveexec_b64 s[2:3], vcc
	s_cbranch_execz .LBB176_14
; %bb.13:
	v_bfe_u32 v2, v97, 16, 1
	s_movk_i32 s0, 0x7fff
	v_add3_u32 v2, v97, v2, s0
	v_lshrrev_b32_e32 v2, 16, v2
	v_mov_b32_e32 v3, 0x7fc0
	v_cmp_o_f32_e64 s[0:1], v97, v97
	v_cndmask_b32_e64 v4, v3, v2, s[0:1]
	v_add_u32_e32 v2, v0, v5
	v_mov_b32_e32 v3, 0
	v_lshlrev_b64 v[2:3], 1, v[2:3]
	s_waitcnt lgkmcnt(0)
	v_mov_b32_e32 v6, s13
	v_add_co_u32_e64 v2, s[0:1], s12, v2
	v_addc_co_u32_e64 v3, s[0:1], v6, v3, s[0:1]
	global_store_short v[2:3], v4, off
.LBB176_14:
	s_or_b64 exec, exec, s[2:3]
	v_add_u32_e32 v2, 32, v0
	v_cmp_gt_u32_e64 s[0:1], s14, v2
	s_and_saveexec_b64 s[4:5], s[0:1]
	s_cbranch_execz .LBB176_16
; %bb.15:
	v_bfe_u32 v3, v89, 16, 1
	s_movk_i32 s2, 0x7fff
	v_add3_u32 v3, v89, v3, s2
	v_add_u32_e32 v6, v2, v5
	v_mov_b32_e32 v7, 0
	v_lshrrev_b32_e32 v3, 16, v3
	v_mov_b32_e32 v4, 0x7fc0
	v_cmp_o_f32_e64 s[2:3], v89, v89
	v_lshlrev_b64 v[6:7], 1, v[6:7]
	v_cndmask_b32_e64 v3, v4, v3, s[2:3]
	s_waitcnt lgkmcnt(0)
	v_mov_b32_e32 v4, s13
	v_add_co_u32_e64 v6, s[2:3], s12, v6
	v_addc_co_u32_e64 v7, s[2:3], v4, v7, s[2:3]
	global_store_short v[6:7], v3, off
.LBB176_16:
	s_or_b64 exec, exec, s[4:5]
	v_add_u32_e32 v3, 64, v0
	v_cmp_gt_u32_e64 s[2:3], s14, v3
	s_and_saveexec_b64 s[6:7], s[2:3]
	s_cbranch_execz .LBB176_18
; %bb.17:
	v_bfe_u32 v4, v85, 16, 1
	s_movk_i32 s4, 0x7fff
	v_add3_u32 v4, v85, v4, s4
	v_lshrrev_b32_e32 v4, 16, v4
	v_mov_b32_e32 v6, 0x7fc0
	v_cmp_o_f32_e64 s[4:5], v85, v85
	v_cndmask_b32_e64 v4, v6, v4, s[4:5]
	v_add_u32_e32 v6, v3, v5
	v_mov_b32_e32 v7, 0
	v_lshlrev_b64 v[6:7], 1, v[6:7]
	s_waitcnt lgkmcnt(0)
	v_mov_b32_e32 v8, s13
	v_add_co_u32_e64 v6, s[4:5], s12, v6
	v_addc_co_u32_e64 v7, s[4:5], v8, v7, s[4:5]
	global_store_short v[6:7], v4, off
.LBB176_18:
	s_or_b64 exec, exec, s[6:7]
	v_add_u32_e32 v4, 0x60, v0
	v_cmp_gt_u32_e64 s[4:5], s14, v4
	s_and_saveexec_b64 s[8:9], s[4:5]
	s_cbranch_execz .LBB176_20
; %bb.19:
	v_bfe_u32 v6, v81, 16, 1
	s_movk_i32 s6, 0x7fff
	v_add3_u32 v6, v81, v6, s6
	v_lshrrev_b32_e32 v6, 16, v6
	v_mov_b32_e32 v7, 0x7fc0
	v_cmp_o_f32_e64 s[6:7], v81, v81
	v_cndmask_b32_e64 v8, v7, v6, s[6:7]
	v_add_u32_e32 v6, v4, v5
	v_mov_b32_e32 v7, 0
	v_lshlrev_b64 v[6:7], 1, v[6:7]
	s_waitcnt lgkmcnt(0)
	v_mov_b32_e32 v5, s13
	v_add_co_u32_e64 v6, s[6:7], s12, v6
	v_addc_co_u32_e64 v7, s[6:7], v5, v7, s[6:7]
	global_store_short v[6:7], v8, off
.LBB176_20:
	s_or_b64 exec, exec, s[8:9]
	v_add3_u32 v5, v1, s15, 8
	v_cmp_gt_u32_e64 s[6:7], s10, v5
	s_and_b64 exec, exec, s[6:7]
	s_cbranch_execz .LBB176_62
; %bb.21:
	v_mul_lo_u32 v5, v5, s14
	s_and_saveexec_b64 s[8:9], vcc
	s_cbranch_execnz .LBB176_63
; %bb.22:
	s_or_b64 exec, exec, s[8:9]
	s_and_saveexec_b64 s[8:9], s[0:1]
	s_cbranch_execnz .LBB176_64
.LBB176_23:
	s_or_b64 exec, exec, s[8:9]
	s_and_saveexec_b64 s[8:9], s[2:3]
	s_cbranch_execnz .LBB176_65
.LBB176_24:
	s_or_b64 exec, exec, s[8:9]
	s_and_saveexec_b64 s[8:9], s[4:5]
	s_cbranch_execz .LBB176_26
.LBB176_25:
	v_bfe_u32 v6, v69, 16, 1
	s_movk_i32 s6, 0x7fff
	v_add3_u32 v6, v69, v6, s6
	v_lshrrev_b32_e32 v6, 16, v6
	v_mov_b32_e32 v7, 0x7fc0
	v_cmp_o_f32_e64 s[6:7], v69, v69
	v_cndmask_b32_e64 v8, v7, v6, s[6:7]
	v_add_u32_e32 v6, v5, v4
	v_mov_b32_e32 v7, 0
	v_lshlrev_b64 v[6:7], 1, v[6:7]
	s_waitcnt lgkmcnt(0)
	v_mov_b32_e32 v5, s13
	v_add_co_u32_e64 v6, s[6:7], s12, v6
	v_addc_co_u32_e64 v7, s[6:7], v5, v7, s[6:7]
	global_store_short v[6:7], v8, off
.LBB176_26:
	s_or_b64 exec, exec, s[8:9]
	v_add3_u32 v5, v1, s15, 16
	v_cmp_gt_u32_e64 s[6:7], s10, v5
	s_and_b64 exec, exec, s[6:7]
	s_cbranch_execz .LBB176_62
; %bb.27:
	v_mul_lo_u32 v5, v5, s14
	s_and_saveexec_b64 s[8:9], vcc
	s_cbranch_execnz .LBB176_66
; %bb.28:
	s_or_b64 exec, exec, s[8:9]
	s_and_saveexec_b64 s[8:9], s[0:1]
	s_cbranch_execnz .LBB176_67
.LBB176_29:
	s_or_b64 exec, exec, s[8:9]
	s_and_saveexec_b64 s[8:9], s[2:3]
	s_cbranch_execnz .LBB176_68
.LBB176_30:
	s_or_b64 exec, exec, s[8:9]
	s_and_saveexec_b64 s[8:9], s[4:5]
	s_cbranch_execz .LBB176_32
.LBB176_31:
	v_bfe_u32 v6, v57, 16, 1
	s_movk_i32 s6, 0x7fff
	v_add3_u32 v6, v57, v6, s6
	v_lshrrev_b32_e32 v6, 16, v6
	v_mov_b32_e32 v7, 0x7fc0
	v_cmp_o_f32_e64 s[6:7], v57, v57
	v_cndmask_b32_e64 v8, v7, v6, s[6:7]
	v_add_u32_e32 v6, v5, v4
	v_mov_b32_e32 v7, 0
	v_lshlrev_b64 v[6:7], 1, v[6:7]
	s_waitcnt lgkmcnt(0)
	v_mov_b32_e32 v5, s13
	v_add_co_u32_e64 v6, s[6:7], s12, v6
	v_addc_co_u32_e64 v7, s[6:7], v5, v7, s[6:7]
	global_store_short v[6:7], v8, off
.LBB176_32:
	s_or_b64 exec, exec, s[8:9]
	v_add3_u32 v5, v1, s15, 24
	v_cmp_gt_u32_e64 s[6:7], s10, v5
	s_and_b64 exec, exec, s[6:7]
	s_cbranch_execz .LBB176_62
; %bb.33:
	v_mul_lo_u32 v5, v5, s14
	s_and_saveexec_b64 s[8:9], vcc
	s_cbranch_execnz .LBB176_69
; %bb.34:
	s_or_b64 exec, exec, s[8:9]
	s_and_saveexec_b64 s[8:9], s[0:1]
	s_cbranch_execnz .LBB176_70
.LBB176_35:
	s_or_b64 exec, exec, s[8:9]
	s_and_saveexec_b64 s[8:9], s[2:3]
	s_cbranch_execnz .LBB176_71
.LBB176_36:
	s_or_b64 exec, exec, s[8:9]
	s_and_saveexec_b64 s[8:9], s[4:5]
	s_cbranch_execz .LBB176_38
.LBB176_37:
	v_bfe_u32 v6, v49, 16, 1
	s_movk_i32 s6, 0x7fff
	v_add3_u32 v6, v49, v6, s6
	v_lshrrev_b32_e32 v6, 16, v6
	v_mov_b32_e32 v7, 0x7fc0
	v_cmp_o_f32_e64 s[6:7], v49, v49
	v_cndmask_b32_e64 v8, v7, v6, s[6:7]
	v_add_u32_e32 v6, v5, v4
	v_mov_b32_e32 v7, 0
	v_lshlrev_b64 v[6:7], 1, v[6:7]
	s_waitcnt lgkmcnt(0)
	v_mov_b32_e32 v5, s13
	v_add_co_u32_e64 v6, s[6:7], s12, v6
	v_addc_co_u32_e64 v7, s[6:7], v5, v7, s[6:7]
	global_store_short v[6:7], v8, off
.LBB176_38:
	s_or_b64 exec, exec, s[8:9]
	v_add3_u32 v5, v1, s15, 32
	v_cmp_gt_u32_e64 s[6:7], s10, v5
	s_and_b64 exec, exec, s[6:7]
	s_cbranch_execz .LBB176_62
; %bb.39:
	v_mul_lo_u32 v5, v5, s14
	s_and_saveexec_b64 s[8:9], vcc
	s_cbranch_execnz .LBB176_72
; %bb.40:
	s_or_b64 exec, exec, s[8:9]
	s_and_saveexec_b64 s[8:9], s[0:1]
	s_cbranch_execnz .LBB176_73
.LBB176_41:
	s_or_b64 exec, exec, s[8:9]
	s_and_saveexec_b64 s[8:9], s[2:3]
	s_cbranch_execnz .LBB176_74
.LBB176_42:
	s_or_b64 exec, exec, s[8:9]
	s_and_saveexec_b64 s[8:9], s[4:5]
	s_cbranch_execz .LBB176_44
.LBB176_43:
	v_bfe_u32 v6, v41, 16, 1
	s_movk_i32 s6, 0x7fff
	v_add3_u32 v6, v41, v6, s6
	v_lshrrev_b32_e32 v6, 16, v6
	v_mov_b32_e32 v7, 0x7fc0
	v_cmp_o_f32_e64 s[6:7], v41, v41
	v_cndmask_b32_e64 v8, v7, v6, s[6:7]
	v_add_u32_e32 v6, v5, v4
	v_mov_b32_e32 v7, 0
	v_lshlrev_b64 v[6:7], 1, v[6:7]
	s_waitcnt lgkmcnt(0)
	v_mov_b32_e32 v5, s13
	v_add_co_u32_e64 v6, s[6:7], s12, v6
	v_addc_co_u32_e64 v7, s[6:7], v5, v7, s[6:7]
	global_store_short v[6:7], v8, off
.LBB176_44:
	s_or_b64 exec, exec, s[8:9]
	v_add3_u32 v5, v1, s15, 40
	v_cmp_gt_u32_e64 s[6:7], s10, v5
	s_and_b64 exec, exec, s[6:7]
	s_cbranch_execz .LBB176_62
; %bb.45:
	v_mul_lo_u32 v5, v5, s14
	s_and_saveexec_b64 s[8:9], vcc
	s_cbranch_execnz .LBB176_75
; %bb.46:
	s_or_b64 exec, exec, s[8:9]
	s_and_saveexec_b64 s[8:9], s[0:1]
	s_cbranch_execnz .LBB176_76
.LBB176_47:
	s_or_b64 exec, exec, s[8:9]
	s_and_saveexec_b64 s[8:9], s[2:3]
	s_cbranch_execnz .LBB176_77
.LBB176_48:
	s_or_b64 exec, exec, s[8:9]
	s_and_saveexec_b64 s[8:9], s[4:5]
	s_cbranch_execz .LBB176_50
.LBB176_49:
	v_bfe_u32 v6, v33, 16, 1
	s_movk_i32 s6, 0x7fff
	v_add3_u32 v6, v33, v6, s6
	v_lshrrev_b32_e32 v6, 16, v6
	v_mov_b32_e32 v7, 0x7fc0
	v_cmp_o_f32_e64 s[6:7], v33, v33
	v_cndmask_b32_e64 v8, v7, v6, s[6:7]
	v_add_u32_e32 v6, v5, v4
	v_mov_b32_e32 v7, 0
	v_lshlrev_b64 v[6:7], 1, v[6:7]
	s_waitcnt lgkmcnt(0)
	v_mov_b32_e32 v5, s13
	v_add_co_u32_e64 v6, s[6:7], s12, v6
	v_addc_co_u32_e64 v7, s[6:7], v5, v7, s[6:7]
	global_store_short v[6:7], v8, off
.LBB176_50:
	s_or_b64 exec, exec, s[8:9]
	v_add3_u32 v5, v1, s15, 48
	v_cmp_gt_u32_e64 s[6:7], s10, v5
	s_and_b64 exec, exec, s[6:7]
	s_cbranch_execz .LBB176_62
; %bb.51:
	v_mul_lo_u32 v5, v5, s14
	s_and_saveexec_b64 s[8:9], vcc
	s_cbranch_execnz .LBB176_78
; %bb.52:
	s_or_b64 exec, exec, s[8:9]
	s_and_saveexec_b64 s[8:9], s[0:1]
	s_cbranch_execnz .LBB176_79
.LBB176_53:
	s_or_b64 exec, exec, s[8:9]
	s_and_saveexec_b64 s[8:9], s[2:3]
	s_cbranch_execnz .LBB176_80
.LBB176_54:
	s_or_b64 exec, exec, s[8:9]
	s_and_saveexec_b64 s[8:9], s[4:5]
	s_cbranch_execz .LBB176_56
.LBB176_55:
	v_bfe_u32 v6, v25, 16, 1
	s_movk_i32 s6, 0x7fff
	v_add3_u32 v6, v25, v6, s6
	v_lshrrev_b32_e32 v6, 16, v6
	v_mov_b32_e32 v7, 0x7fc0
	v_cmp_o_f32_e64 s[6:7], v25, v25
	v_cndmask_b32_e64 v8, v7, v6, s[6:7]
	v_add_u32_e32 v6, v5, v4
	v_mov_b32_e32 v7, 0
	v_lshlrev_b64 v[6:7], 1, v[6:7]
	s_waitcnt lgkmcnt(0)
	v_mov_b32_e32 v5, s13
	v_add_co_u32_e64 v6, s[6:7], s12, v6
	v_addc_co_u32_e64 v7, s[6:7], v5, v7, s[6:7]
	global_store_short v[6:7], v8, off
.LBB176_56:
	s_or_b64 exec, exec, s[8:9]
	v_add3_u32 v1, v1, s15, 56
	v_cmp_gt_u32_e64 s[6:7], s10, v1
	s_and_b64 exec, exec, s[6:7]
	s_cbranch_execz .LBB176_62
; %bb.57:
	v_mul_lo_u32 v1, v1, s14
	s_and_saveexec_b64 s[6:7], vcc
	s_cbranch_execnz .LBB176_81
; %bb.58:
	s_or_b64 exec, exec, s[6:7]
	s_and_saveexec_b64 s[6:7], s[0:1]
	s_cbranch_execnz .LBB176_82
.LBB176_59:
	s_or_b64 exec, exec, s[6:7]
	s_and_saveexec_b64 s[0:1], s[2:3]
	s_cbranch_execnz .LBB176_83
.LBB176_60:
	s_or_b64 exec, exec, s[0:1]
	s_and_b64 exec, exec, s[4:5]
	s_cbranch_execz .LBB176_62
.LBB176_61:
	v_bfe_u32 v0, v17, 16, 1
	s_movk_i32 s0, 0x7fff
	v_add3_u32 v0, v17, v0, s0
	v_lshrrev_b32_e32 v0, 16, v0
	v_mov_b32_e32 v2, 0x7fc0
	v_cmp_o_f32_e32 vcc, v17, v17
	v_cndmask_b32_e32 v2, v2, v0, vcc
	v_add_u32_e32 v0, v1, v4
	v_mov_b32_e32 v1, 0
	v_lshlrev_b64 v[0:1], 1, v[0:1]
	s_waitcnt lgkmcnt(0)
	v_mov_b32_e32 v3, s13
	v_add_co_u32_e32 v0, vcc, s12, v0
	v_addc_co_u32_e32 v1, vcc, v3, v1, vcc
	global_store_short v[0:1], v2, off
.LBB176_62:
	s_endpgm
.LBB176_63:
	v_bfe_u32 v6, v77, 16, 1
	s_movk_i32 s6, 0x7fff
	v_add3_u32 v6, v77, v6, s6
	v_lshrrev_b32_e32 v6, 16, v6
	v_mov_b32_e32 v7, 0x7fc0
	v_cmp_o_f32_e64 s[6:7], v77, v77
	v_cndmask_b32_e64 v8, v7, v6, s[6:7]
	v_add_u32_e32 v6, v5, v0
	v_mov_b32_e32 v7, 0
	v_lshlrev_b64 v[6:7], 1, v[6:7]
	s_waitcnt lgkmcnt(0)
	v_mov_b32_e32 v9, s13
	v_add_co_u32_e64 v6, s[6:7], s12, v6
	v_addc_co_u32_e64 v7, s[6:7], v9, v7, s[6:7]
	global_store_short v[6:7], v8, off
	s_or_b64 exec, exec, s[8:9]
	s_and_saveexec_b64 s[8:9], s[0:1]
	s_cbranch_execz .LBB176_23
.LBB176_64:
	v_bfe_u32 v6, v75, 16, 1
	s_movk_i32 s6, 0x7fff
	v_add3_u32 v6, v75, v6, s6
	v_lshrrev_b32_e32 v6, 16, v6
	v_mov_b32_e32 v7, 0x7fc0
	v_cmp_o_f32_e64 s[6:7], v75, v75
	v_cndmask_b32_e64 v8, v7, v6, s[6:7]
	v_add_u32_e32 v6, v5, v2
	v_mov_b32_e32 v7, 0
	v_lshlrev_b64 v[6:7], 1, v[6:7]
	s_waitcnt lgkmcnt(0)
	v_mov_b32_e32 v9, s13
	v_add_co_u32_e64 v6, s[6:7], s12, v6
	v_addc_co_u32_e64 v7, s[6:7], v9, v7, s[6:7]
	global_store_short v[6:7], v8, off
	s_or_b64 exec, exec, s[8:9]
	s_and_saveexec_b64 s[8:9], s[2:3]
	s_cbranch_execz .LBB176_24
.LBB176_65:
	v_bfe_u32 v6, v71, 16, 1
	s_movk_i32 s6, 0x7fff
	v_add3_u32 v6, v71, v6, s6
	v_lshrrev_b32_e32 v6, 16, v6
	v_mov_b32_e32 v7, 0x7fc0
	v_cmp_o_f32_e64 s[6:7], v71, v71
	v_cndmask_b32_e64 v8, v7, v6, s[6:7]
	v_add_u32_e32 v6, v5, v3
	v_mov_b32_e32 v7, 0
	v_lshlrev_b64 v[6:7], 1, v[6:7]
	s_waitcnt lgkmcnt(0)
	v_mov_b32_e32 v9, s13
	v_add_co_u32_e64 v6, s[6:7], s12, v6
	v_addc_co_u32_e64 v7, s[6:7], v9, v7, s[6:7]
	global_store_short v[6:7], v8, off
	s_or_b64 exec, exec, s[8:9]
	s_and_saveexec_b64 s[8:9], s[4:5]
	s_cbranch_execnz .LBB176_25
	s_branch .LBB176_26
.LBB176_66:
	v_bfe_u32 v6, v67, 16, 1
	s_movk_i32 s6, 0x7fff
	v_add3_u32 v6, v67, v6, s6
	v_lshrrev_b32_e32 v6, 16, v6
	v_mov_b32_e32 v7, 0x7fc0
	v_cmp_o_f32_e64 s[6:7], v67, v67
	v_cndmask_b32_e64 v8, v7, v6, s[6:7]
	v_add_u32_e32 v6, v5, v0
	v_mov_b32_e32 v7, 0
	v_lshlrev_b64 v[6:7], 1, v[6:7]
	s_waitcnt lgkmcnt(0)
	v_mov_b32_e32 v9, s13
	v_add_co_u32_e64 v6, s[6:7], s12, v6
	v_addc_co_u32_e64 v7, s[6:7], v9, v7, s[6:7]
	global_store_short v[6:7], v8, off
	s_or_b64 exec, exec, s[8:9]
	s_and_saveexec_b64 s[8:9], s[0:1]
	s_cbranch_execz .LBB176_29
.LBB176_67:
	v_bfe_u32 v6, v65, 16, 1
	s_movk_i32 s6, 0x7fff
	v_add3_u32 v6, v65, v6, s6
	v_lshrrev_b32_e32 v6, 16, v6
	v_mov_b32_e32 v7, 0x7fc0
	v_cmp_o_f32_e64 s[6:7], v65, v65
	v_cndmask_b32_e64 v8, v7, v6, s[6:7]
	v_add_u32_e32 v6, v5, v2
	v_mov_b32_e32 v7, 0
	v_lshlrev_b64 v[6:7], 1, v[6:7]
	s_waitcnt lgkmcnt(0)
	v_mov_b32_e32 v9, s13
	v_add_co_u32_e64 v6, s[6:7], s12, v6
	v_addc_co_u32_e64 v7, s[6:7], v9, v7, s[6:7]
	global_store_short v[6:7], v8, off
	s_or_b64 exec, exec, s[8:9]
	s_and_saveexec_b64 s[8:9], s[2:3]
	s_cbranch_execz .LBB176_30
.LBB176_68:
	v_bfe_u32 v6, v61, 16, 1
	s_movk_i32 s6, 0x7fff
	v_add3_u32 v6, v61, v6, s6
	v_lshrrev_b32_e32 v6, 16, v6
	v_mov_b32_e32 v7, 0x7fc0
	v_cmp_o_f32_e64 s[6:7], v61, v61
	v_cndmask_b32_e64 v8, v7, v6, s[6:7]
	v_add_u32_e32 v6, v5, v3
	v_mov_b32_e32 v7, 0
	v_lshlrev_b64 v[6:7], 1, v[6:7]
	s_waitcnt lgkmcnt(0)
	v_mov_b32_e32 v9, s13
	v_add_co_u32_e64 v6, s[6:7], s12, v6
	v_addc_co_u32_e64 v7, s[6:7], v9, v7, s[6:7]
	global_store_short v[6:7], v8, off
	s_or_b64 exec, exec, s[8:9]
	s_and_saveexec_b64 s[8:9], s[4:5]
	s_cbranch_execnz .LBB176_31
	s_branch .LBB176_32
.LBB176_69:
	v_bfe_u32 v6, v55, 16, 1
	s_movk_i32 s6, 0x7fff
	v_add3_u32 v6, v55, v6, s6
	v_lshrrev_b32_e32 v6, 16, v6
	v_mov_b32_e32 v7, 0x7fc0
	v_cmp_o_f32_e64 s[6:7], v55, v55
	v_cndmask_b32_e64 v8, v7, v6, s[6:7]
	v_add_u32_e32 v6, v5, v0
	v_mov_b32_e32 v7, 0
	v_lshlrev_b64 v[6:7], 1, v[6:7]
	s_waitcnt lgkmcnt(0)
	v_mov_b32_e32 v9, s13
	v_add_co_u32_e64 v6, s[6:7], s12, v6
	v_addc_co_u32_e64 v7, s[6:7], v9, v7, s[6:7]
	global_store_short v[6:7], v8, off
	s_or_b64 exec, exec, s[8:9]
	s_and_saveexec_b64 s[8:9], s[0:1]
	s_cbranch_execz .LBB176_35
.LBB176_70:
	v_bfe_u32 v6, v53, 16, 1
	s_movk_i32 s6, 0x7fff
	v_add3_u32 v6, v53, v6, s6
	v_lshrrev_b32_e32 v6, 16, v6
	v_mov_b32_e32 v7, 0x7fc0
	v_cmp_o_f32_e64 s[6:7], v53, v53
	v_cndmask_b32_e64 v8, v7, v6, s[6:7]
	v_add_u32_e32 v6, v5, v2
	v_mov_b32_e32 v7, 0
	v_lshlrev_b64 v[6:7], 1, v[6:7]
	s_waitcnt lgkmcnt(0)
	v_mov_b32_e32 v9, s13
	v_add_co_u32_e64 v6, s[6:7], s12, v6
	v_addc_co_u32_e64 v7, s[6:7], v9, v7, s[6:7]
	global_store_short v[6:7], v8, off
	s_or_b64 exec, exec, s[8:9]
	s_and_saveexec_b64 s[8:9], s[2:3]
	s_cbranch_execz .LBB176_36
.LBB176_71:
	v_bfe_u32 v6, v51, 16, 1
	s_movk_i32 s6, 0x7fff
	v_add3_u32 v6, v51, v6, s6
	v_lshrrev_b32_e32 v6, 16, v6
	v_mov_b32_e32 v7, 0x7fc0
	v_cmp_o_f32_e64 s[6:7], v51, v51
	v_cndmask_b32_e64 v8, v7, v6, s[6:7]
	v_add_u32_e32 v6, v5, v3
	v_mov_b32_e32 v7, 0
	v_lshlrev_b64 v[6:7], 1, v[6:7]
	s_waitcnt lgkmcnt(0)
	v_mov_b32_e32 v9, s13
	v_add_co_u32_e64 v6, s[6:7], s12, v6
	v_addc_co_u32_e64 v7, s[6:7], v9, v7, s[6:7]
	global_store_short v[6:7], v8, off
	s_or_b64 exec, exec, s[8:9]
	s_and_saveexec_b64 s[8:9], s[4:5]
	s_cbranch_execnz .LBB176_37
	s_branch .LBB176_38
.LBB176_72:
	v_bfe_u32 v6, v47, 16, 1
	s_movk_i32 s6, 0x7fff
	v_add3_u32 v6, v47, v6, s6
	v_lshrrev_b32_e32 v6, 16, v6
	v_mov_b32_e32 v7, 0x7fc0
	v_cmp_o_f32_e64 s[6:7], v47, v47
	v_cndmask_b32_e64 v8, v7, v6, s[6:7]
	v_add_u32_e32 v6, v5, v0
	v_mov_b32_e32 v7, 0
	v_lshlrev_b64 v[6:7], 1, v[6:7]
	s_waitcnt lgkmcnt(0)
	v_mov_b32_e32 v9, s13
	v_add_co_u32_e64 v6, s[6:7], s12, v6
	v_addc_co_u32_e64 v7, s[6:7], v9, v7, s[6:7]
	global_store_short v[6:7], v8, off
	s_or_b64 exec, exec, s[8:9]
	s_and_saveexec_b64 s[8:9], s[0:1]
	s_cbranch_execz .LBB176_41
.LBB176_73:
	v_bfe_u32 v6, v45, 16, 1
	s_movk_i32 s6, 0x7fff
	v_add3_u32 v6, v45, v6, s6
	v_lshrrev_b32_e32 v6, 16, v6
	v_mov_b32_e32 v7, 0x7fc0
	v_cmp_o_f32_e64 s[6:7], v45, v45
	v_cndmask_b32_e64 v8, v7, v6, s[6:7]
	v_add_u32_e32 v6, v5, v2
	v_mov_b32_e32 v7, 0
	v_lshlrev_b64 v[6:7], 1, v[6:7]
	s_waitcnt lgkmcnt(0)
	v_mov_b32_e32 v9, s13
	v_add_co_u32_e64 v6, s[6:7], s12, v6
	v_addc_co_u32_e64 v7, s[6:7], v9, v7, s[6:7]
	global_store_short v[6:7], v8, off
	s_or_b64 exec, exec, s[8:9]
	s_and_saveexec_b64 s[8:9], s[2:3]
	s_cbranch_execz .LBB176_42
.LBB176_74:
	v_bfe_u32 v6, v43, 16, 1
	s_movk_i32 s6, 0x7fff
	v_add3_u32 v6, v43, v6, s6
	v_lshrrev_b32_e32 v6, 16, v6
	v_mov_b32_e32 v7, 0x7fc0
	v_cmp_o_f32_e64 s[6:7], v43, v43
	v_cndmask_b32_e64 v8, v7, v6, s[6:7]
	v_add_u32_e32 v6, v5, v3
	v_mov_b32_e32 v7, 0
	v_lshlrev_b64 v[6:7], 1, v[6:7]
	s_waitcnt lgkmcnt(0)
	v_mov_b32_e32 v9, s13
	v_add_co_u32_e64 v6, s[6:7], s12, v6
	v_addc_co_u32_e64 v7, s[6:7], v9, v7, s[6:7]
	global_store_short v[6:7], v8, off
	s_or_b64 exec, exec, s[8:9]
	s_and_saveexec_b64 s[8:9], s[4:5]
	s_cbranch_execnz .LBB176_43
	s_branch .LBB176_44
.LBB176_75:
	v_bfe_u32 v6, v39, 16, 1
	s_movk_i32 s6, 0x7fff
	v_add3_u32 v6, v39, v6, s6
	v_lshrrev_b32_e32 v6, 16, v6
	v_mov_b32_e32 v7, 0x7fc0
	v_cmp_o_f32_e64 s[6:7], v39, v39
	v_cndmask_b32_e64 v8, v7, v6, s[6:7]
	v_add_u32_e32 v6, v5, v0
	v_mov_b32_e32 v7, 0
	v_lshlrev_b64 v[6:7], 1, v[6:7]
	s_waitcnt lgkmcnt(0)
	v_mov_b32_e32 v9, s13
	v_add_co_u32_e64 v6, s[6:7], s12, v6
	v_addc_co_u32_e64 v7, s[6:7], v9, v7, s[6:7]
	global_store_short v[6:7], v8, off
	s_or_b64 exec, exec, s[8:9]
	s_and_saveexec_b64 s[8:9], s[0:1]
	s_cbranch_execz .LBB176_47
.LBB176_76:
	v_bfe_u32 v6, v37, 16, 1
	s_movk_i32 s6, 0x7fff
	v_add3_u32 v6, v37, v6, s6
	v_lshrrev_b32_e32 v6, 16, v6
	v_mov_b32_e32 v7, 0x7fc0
	v_cmp_o_f32_e64 s[6:7], v37, v37
	v_cndmask_b32_e64 v8, v7, v6, s[6:7]
	v_add_u32_e32 v6, v5, v2
	v_mov_b32_e32 v7, 0
	v_lshlrev_b64 v[6:7], 1, v[6:7]
	s_waitcnt lgkmcnt(0)
	v_mov_b32_e32 v9, s13
	v_add_co_u32_e64 v6, s[6:7], s12, v6
	v_addc_co_u32_e64 v7, s[6:7], v9, v7, s[6:7]
	global_store_short v[6:7], v8, off
	s_or_b64 exec, exec, s[8:9]
	s_and_saveexec_b64 s[8:9], s[2:3]
	s_cbranch_execz .LBB176_48
.LBB176_77:
	v_bfe_u32 v6, v35, 16, 1
	s_movk_i32 s6, 0x7fff
	v_add3_u32 v6, v35, v6, s6
	v_lshrrev_b32_e32 v6, 16, v6
	v_mov_b32_e32 v7, 0x7fc0
	v_cmp_o_f32_e64 s[6:7], v35, v35
	v_cndmask_b32_e64 v8, v7, v6, s[6:7]
	v_add_u32_e32 v6, v5, v3
	v_mov_b32_e32 v7, 0
	v_lshlrev_b64 v[6:7], 1, v[6:7]
	s_waitcnt lgkmcnt(0)
	v_mov_b32_e32 v9, s13
	v_add_co_u32_e64 v6, s[6:7], s12, v6
	v_addc_co_u32_e64 v7, s[6:7], v9, v7, s[6:7]
	global_store_short v[6:7], v8, off
	s_or_b64 exec, exec, s[8:9]
	s_and_saveexec_b64 s[8:9], s[4:5]
	s_cbranch_execnz .LBB176_49
	s_branch .LBB176_50
.LBB176_78:
	v_bfe_u32 v6, v31, 16, 1
	s_movk_i32 s6, 0x7fff
	v_add3_u32 v6, v31, v6, s6
	v_lshrrev_b32_e32 v6, 16, v6
	v_mov_b32_e32 v7, 0x7fc0
	v_cmp_o_f32_e64 s[6:7], v31, v31
	v_cndmask_b32_e64 v8, v7, v6, s[6:7]
	v_add_u32_e32 v6, v5, v0
	v_mov_b32_e32 v7, 0
	v_lshlrev_b64 v[6:7], 1, v[6:7]
	s_waitcnt lgkmcnt(0)
	v_mov_b32_e32 v9, s13
	v_add_co_u32_e64 v6, s[6:7], s12, v6
	v_addc_co_u32_e64 v7, s[6:7], v9, v7, s[6:7]
	global_store_short v[6:7], v8, off
	s_or_b64 exec, exec, s[8:9]
	s_and_saveexec_b64 s[8:9], s[0:1]
	s_cbranch_execz .LBB176_53
.LBB176_79:
	v_bfe_u32 v6, v29, 16, 1
	s_movk_i32 s6, 0x7fff
	v_add3_u32 v6, v29, v6, s6
	v_lshrrev_b32_e32 v6, 16, v6
	v_mov_b32_e32 v7, 0x7fc0
	v_cmp_o_f32_e64 s[6:7], v29, v29
	v_cndmask_b32_e64 v8, v7, v6, s[6:7]
	v_add_u32_e32 v6, v5, v2
	v_mov_b32_e32 v7, 0
	v_lshlrev_b64 v[6:7], 1, v[6:7]
	s_waitcnt lgkmcnt(0)
	v_mov_b32_e32 v9, s13
	v_add_co_u32_e64 v6, s[6:7], s12, v6
	v_addc_co_u32_e64 v7, s[6:7], v9, v7, s[6:7]
	global_store_short v[6:7], v8, off
	s_or_b64 exec, exec, s[8:9]
	s_and_saveexec_b64 s[8:9], s[2:3]
	s_cbranch_execz .LBB176_54
.LBB176_80:
	v_bfe_u32 v6, v27, 16, 1
	s_movk_i32 s6, 0x7fff
	v_add3_u32 v6, v27, v6, s6
	v_lshrrev_b32_e32 v6, 16, v6
	v_mov_b32_e32 v7, 0x7fc0
	v_cmp_o_f32_e64 s[6:7], v27, v27
	v_cndmask_b32_e64 v8, v7, v6, s[6:7]
	v_add_u32_e32 v6, v5, v3
	v_mov_b32_e32 v7, 0
	v_lshlrev_b64 v[6:7], 1, v[6:7]
	s_waitcnt lgkmcnt(0)
	v_mov_b32_e32 v9, s13
	v_add_co_u32_e64 v6, s[6:7], s12, v6
	v_addc_co_u32_e64 v7, s[6:7], v9, v7, s[6:7]
	global_store_short v[6:7], v8, off
	s_or_b64 exec, exec, s[8:9]
	s_and_saveexec_b64 s[8:9], s[4:5]
	s_cbranch_execnz .LBB176_55
	s_branch .LBB176_56
.LBB176_81:
	v_bfe_u32 v5, v23, 16, 1
	s_movk_i32 s8, 0x7fff
	v_add3_u32 v5, v23, v5, s8
	v_lshrrev_b32_e32 v5, 16, v5
	v_mov_b32_e32 v6, 0x7fc0
	v_cmp_o_f32_e32 vcc, v23, v23
	v_cndmask_b32_e32 v5, v6, v5, vcc
	v_add_u32_e32 v6, v1, v0
	v_mov_b32_e32 v7, 0
	v_lshlrev_b64 v[6:7], 1, v[6:7]
	s_waitcnt lgkmcnt(0)
	v_mov_b32_e32 v0, s13
	v_add_co_u32_e32 v6, vcc, s12, v6
	v_addc_co_u32_e32 v7, vcc, v0, v7, vcc
	global_store_short v[6:7], v5, off
	s_or_b64 exec, exec, s[6:7]
	s_and_saveexec_b64 s[6:7], s[0:1]
	s_cbranch_execz .LBB176_59
.LBB176_82:
	v_bfe_u32 v0, v21, 16, 1
	s_movk_i32 s0, 0x7fff
	v_add3_u32 v0, v21, v0, s0
	v_add_u32_e32 v6, v1, v2
	v_mov_b32_e32 v7, 0
	v_lshrrev_b32_e32 v0, 16, v0
	v_mov_b32_e32 v5, 0x7fc0
	v_cmp_o_f32_e32 vcc, v21, v21
	v_lshlrev_b64 v[6:7], 1, v[6:7]
	v_cndmask_b32_e32 v0, v5, v0, vcc
	s_waitcnt lgkmcnt(0)
	v_mov_b32_e32 v2, s13
	v_add_co_u32_e32 v6, vcc, s12, v6
	v_addc_co_u32_e32 v7, vcc, v2, v7, vcc
	global_store_short v[6:7], v0, off
	s_or_b64 exec, exec, s[6:7]
	s_and_saveexec_b64 s[0:1], s[2:3]
	s_cbranch_execz .LBB176_60
.LBB176_83:
	v_bfe_u32 v0, v19, 16, 1
	s_movk_i32 s2, 0x7fff
	v_add3_u32 v0, v19, v0, s2
	v_lshrrev_b32_e32 v0, 16, v0
	v_mov_b32_e32 v2, 0x7fc0
	v_cmp_o_f32_e32 vcc, v19, v19
	v_cndmask_b32_e32 v0, v2, v0, vcc
	v_add_u32_e32 v2, v1, v3
	v_mov_b32_e32 v3, 0
	v_lshlrev_b64 v[2:3], 1, v[2:3]
	s_waitcnt lgkmcnt(0)
	v_mov_b32_e32 v5, s13
	v_add_co_u32_e32 v2, vcc, s12, v2
	v_addc_co_u32_e32 v3, vcc, v5, v3, vcc
	global_store_short v[2:3], v0, off
	s_or_b64 exec, exec, s[0:1]
	s_and_b64 exec, exec, s[4:5]
	s_cbranch_execnz .LBB176_61
	s_branch .LBB176_62
	.section	.rodata,"a",@progbits
	.p2align	6, 0x0
	.amdhsa_kernel _ZL12mul_mat_q6_KIN3c108BFloat16ELb1EEvPKvS3_PT_iiiii
		.amdhsa_group_segment_fixed_size 45136
		.amdhsa_private_segment_fixed_size 0
		.amdhsa_kernarg_size 44
		.amdhsa_user_sgpr_count 6
		.amdhsa_user_sgpr_private_segment_buffer 1
		.amdhsa_user_sgpr_dispatch_ptr 0
		.amdhsa_user_sgpr_queue_ptr 0
		.amdhsa_user_sgpr_kernarg_segment_ptr 1
		.amdhsa_user_sgpr_dispatch_id 0
		.amdhsa_user_sgpr_flat_scratch_init 0
		.amdhsa_user_sgpr_kernarg_preload_length 0
		.amdhsa_user_sgpr_kernarg_preload_offset 0
		.amdhsa_user_sgpr_private_segment_size 0
		.amdhsa_uses_dynamic_stack 0
		.amdhsa_system_sgpr_private_segment_wavefront_offset 0
		.amdhsa_system_sgpr_workgroup_id_x 1
		.amdhsa_system_sgpr_workgroup_id_y 1
		.amdhsa_system_sgpr_workgroup_id_z 0
		.amdhsa_system_sgpr_workgroup_info 0
		.amdhsa_system_vgpr_workitem_id 1
		.amdhsa_next_free_vgpr 229
		.amdhsa_next_free_sgpr 26
		.amdhsa_accum_offset 232
		.amdhsa_reserve_vcc 1
		.amdhsa_reserve_flat_scratch 0
		.amdhsa_float_round_mode_32 0
		.amdhsa_float_round_mode_16_64 0
		.amdhsa_float_denorm_mode_32 3
		.amdhsa_float_denorm_mode_16_64 3
		.amdhsa_dx10_clamp 1
		.amdhsa_ieee_mode 1
		.amdhsa_fp16_overflow 0
		.amdhsa_tg_split 0
		.amdhsa_exception_fp_ieee_invalid_op 0
		.amdhsa_exception_fp_denorm_src 0
		.amdhsa_exception_fp_ieee_div_zero 0
		.amdhsa_exception_fp_ieee_overflow 0
		.amdhsa_exception_fp_ieee_underflow 0
		.amdhsa_exception_fp_ieee_inexact 0
		.amdhsa_exception_int_div_zero 0
	.end_amdhsa_kernel
	.section	.text._ZL12mul_mat_q6_KIN3c108BFloat16ELb1EEvPKvS3_PT_iiiii,"axG",@progbits,_ZL12mul_mat_q6_KIN3c108BFloat16ELb1EEvPKvS3_PT_iiiii,comdat
.Lfunc_end176:
	.size	_ZL12mul_mat_q6_KIN3c108BFloat16ELb1EEvPKvS3_PT_iiiii, .Lfunc_end176-_ZL12mul_mat_q6_KIN3c108BFloat16ELb1EEvPKvS3_PT_iiiii
                                        ; -- End function
	.section	.AMDGPU.csdata,"",@progbits
; Kernel info:
; codeLenInByte = 21668
; NumSgprs: 30
; NumVgprs: 229
; NumAgprs: 0
; TotalNumVgprs: 229
; ScratchSize: 0
; MemoryBound: 0
; FloatMode: 240
; IeeeMode: 1
; LDSByteSize: 45136 bytes/workgroup (compile time only)
; SGPRBlocks: 3
; VGPRBlocks: 28
; NumSGPRsForWavesPerEU: 30
; NumVGPRsForWavesPerEU: 229
; AccumOffset: 232
; Occupancy: 1
; WaveLimiterHint : 0
; COMPUTE_PGM_RSRC2:SCRATCH_EN: 0
; COMPUTE_PGM_RSRC2:USER_SGPR: 6
; COMPUTE_PGM_RSRC2:TRAP_HANDLER: 0
; COMPUTE_PGM_RSRC2:TGID_X_EN: 1
; COMPUTE_PGM_RSRC2:TGID_Y_EN: 1
; COMPUTE_PGM_RSRC2:TGID_Z_EN: 0
; COMPUTE_PGM_RSRC2:TIDIG_COMP_CNT: 1
; COMPUTE_PGM_RSRC3_GFX90A:ACCUM_OFFSET: 57
; COMPUTE_PGM_RSRC3_GFX90A:TG_SPLIT: 0
	.section	.text._ZL8moe_q4_0IfLb0EEvPKvS1_PT_PKiS5_S5_iiiiiii,"axG",@progbits,_ZL8moe_q4_0IfLb0EEvPKvS1_PT_PKiS5_S5_iiiiiii,comdat
	.globl	_ZL8moe_q4_0IfLb0EEvPKvS1_PT_PKiS5_S5_iiiiiii ; -- Begin function _ZL8moe_q4_0IfLb0EEvPKvS1_PT_PKiS5_S5_iiiiiii
	.p2align	8
	.type	_ZL8moe_q4_0IfLb0EEvPKvS1_PT_PKiS5_S5_iiiiiii,@function
_ZL8moe_q4_0IfLb0EEvPKvS1_PT_PKiS5_S5_iiiiiii: ; @_ZL8moe_q4_0IfLb0EEvPKvS1_PT_PKiS5_S5_iiiiiii
; %bb.0:
	s_load_dwordx4 s[0:3], s[4:5], 0x18
	s_mov_b32 s8, s7
	s_mov_b32 s9, 0
	s_lshl_b64 s[10:11], s[8:9], 2
	s_waitcnt lgkmcnt(0)
	s_add_u32 s2, s2, s10
	s_addc_u32 s3, s3, s11
	s_load_dword s2, s[2:3], 0x0
	s_waitcnt lgkmcnt(0)
	s_cmpk_gt_u32 s2, 0xff
	s_cbranch_scc1 .LBB177_28
; %bb.1:
	s_load_dwordx2 s[10:11], s[4:5], 0x28
	s_lshl_b32 s3, s8, 3
	s_waitcnt lgkmcnt(0)
	s_load_dword s7, s[10:11], 0x0
	s_waitcnt lgkmcnt(0)
	s_cmp_gt_u32 s3, s7
	s_cbranch_scc1 .LBB177_28
; %bb.2:
	v_bfe_u32 v1, v0, 10, 10
	v_add_u32_e32 v58, s3, v1
	v_mov_b32_e32 v59, 0
	v_lshlrev_b64 v[2:3], 2, v[58:59]
	v_mov_b32_e32 v4, s1
	v_add_co_u32_e32 v2, vcc, s0, v2
	v_addc_co_u32_e32 v3, vcc, v4, v3, vcc
	global_load_dword v69, v[2:3], off
	s_load_dwordx2 s[14:15], s[4:5], 0x30
	s_load_dwordx2 s[12:13], s[4:5], 0x10
	s_load_dwordx4 s[8:11], s[4:5], 0x3c
	s_lshl_b32 s16, s6, 7
	s_waitcnt lgkmcnt(0)
	s_cmp_lt_i32 s15, 32
	s_cbranch_scc1 .LBB177_18
; %bb.3:
	v_and_b32_e32 v71, 0x3ff, v0
	s_ashr_i32 s0, s15, 31
	v_lshlrev_b32_e32 v3, 2, v1
	v_lshrrev_b32_e32 v100, 3, v71
	s_load_dwordx4 s[4:7], s[4:5], 0x0
	s_lshr_b32 s0, s0, 27
	s_ashr_i32 s1, s9, 31
	v_and_b32_e32 v58, 7, v71
	v_add_u32_e32 v22, v100, v3
	s_add_i32 s0, s15, s0
	s_lshr_b32 s1, s1, 27
	s_mul_i32 s14, s2, s14
	v_and_b32_e32 v23, 0x1ffc, v22
	v_lshlrev_b32_e32 v24, 2, v58
	s_movk_i32 s2, 0x4200
	s_ashr_i32 s17, s0, 5
	s_add_i32 s1, s9, s1
	v_add3_u32 v59, v23, v24, s2
	v_add_u32_e32 v23, 32, v22
	s_ashr_i32 s9, s1, 5
	v_lshlrev_b32_e32 v2, 2, v71
	s_movk_i32 s1, 0x84
	v_mul_lo_u32 v57, s17, v22
	v_lshlrev_b32_e32 v61, 5, v22
	v_and_b32_e32 v25, 0x3ffc, v23
	v_lshlrev_b32_e32 v72, 5, v23
	v_add_u32_e32 v23, 64, v22
	v_add_u32_e32 v22, 0x60, v22
	v_and_b32_e32 v6, 12, v2
	v_mad_u32_u24 v84, v1, s1, v2
	v_add3_u32 v70, v25, v24, s2
	v_and_b32_e32 v25, 0x3ffc, v23
	v_lshlrev_b32_e32 v74, 5, v23
	v_and_b32_e32 v23, 0x3ffc, v22
	v_and_b32_e32 v2, 28, v2
	v_add3_u32 v73, v25, v24, s2
	v_add3_u32 v75, v23, v24, s2
	v_lshlrev_b32_e32 v76, 5, v22
	v_and_b32_e32 v24, 31, v71
	s_waitcnt lgkmcnt(0)
	v_add_co_u32_e32 v22, vcc, s6, v2
	v_lshlrev_b32_e32 v2, 7, v1
	v_lshl_or_b32 v24, v24, 2, v2
	v_add_u32_e32 v101, 0x5280, v24
	v_mov_b32_e32 v24, 0x5680
	v_mul_lo_u32 v5, s17, v1
	v_add_u32_e32 v103, 0x5280, v2
	v_lshl_add_u32 v104, v1, 4, v24
	v_and_b32_e32 v1, 0xfc, v71
	v_lshlrev_b32_e32 v2, 5, v71
	v_or_b32_e32 v3, v3, v71
	v_add3_u32 v106, v2, v1, s2
	v_add_u32_e32 v1, 32, v71
	v_lshl_add_u32 v102, v3, 2, v24
	v_and_b32_e32 v2, 0x1fc, v1
	v_lshlrev_b32_e32 v3, 5, v1
	v_add3_u32 v107, v3, v2, s2
	v_add_u32_e32 v2, 64, v71
	v_and_b32_e32 v3, 0x1fc, v2
	v_lshlrev_b32_e32 v2, 5, v2
	s_abs_i32 s3, s11
	v_add3_u32 v108, v2, v3, s2
	v_cvt_f32_u32_e32 v3, s3
	v_add_u32_e32 v2, 0x60, v71
	v_and_b32_e32 v24, 0x1fc, v2
	v_lshlrev_b32_e32 v2, 5, v2
	v_add3_u32 v109, v2, v24, s2
	v_rcp_iflag_f32_e32 v2, v3
	s_sub_i32 s2, 0, s3
	s_waitcnt vmcnt(0)
	v_sub_u32_e32 v3, 0, v69
	v_max_i32_e32 v3, v69, v3
	v_mul_f32_e32 v2, 0x4f7ffffe, v2
	v_cvt_u32_f32_e32 v2, v2
	v_mov_b32_e32 v23, s7
	v_addc_co_u32_e32 v23, vcc, 0, v23, vcc
	v_mul_lo_u32 v24, s2, v2
	v_mul_hi_u32 v24, v2, v24
	v_add_u32_e32 v2, v2, v24
	v_mul_hi_u32 v2, v3, v2
	v_mul_lo_u32 v24, v2, s3
	v_sub_u32_e32 v3, v3, v24
	v_add_u32_e32 v24, 1, v2
	v_cmp_le_u32_e32 vcc, s3, v3
	v_cndmask_b32_e32 v2, v2, v24, vcc
	v_subrev_u32_e32 v24, s3, v3
	v_cndmask_b32_e32 v3, v3, v24, vcc
	v_lshrrev_b32_e32 v110, 3, v1
	v_xor_b32_e32 v1, s11, v69
	v_add_u32_e32 v24, 1, v2
	v_cmp_le_u32_e32 vcc, s3, v3
	v_ashrrev_i32_e32 v1, 31, v1
	v_cndmask_b32_e32 v2, v2, v24, vcc
	v_xor_b32_e32 v2, v2, v1
	v_sub_u32_e32 v1, v2, v1
	v_cmp_gt_i32_e64 s[2:3], s8, v1
	v_mul_lo_u32 v1, v1, s9
	v_ashrrev_i32_e32 v2, 31, v1
	v_add_co_u32_e32 v3, vcc, v1, v71
	s_mul_i32 s19, s17, s16
	v_addc_co_u32_e32 v24, vcc, 0, v2, vcc
	v_mad_u64_u32 v[2:3], s[22:23], v3, 36, s[6:7]
	s_movk_i32 s21, 0x90
	v_mad_i32_i24 v3, v24, 36, v3
	v_add_co_u32_e32 v24, vcc, s21, v2
	s_mul_hi_i32 s21, s19, 18
	s_mul_i32 s22, s19, 18
	v_lshrrev_b32_e32 v4, 2, v71
	v_addc_co_u32_e32 v25, vcc, 0, v3, vcc
	v_mov_b32_e32 v2, s22
	v_mov_b32_e32 v3, s21
	s_lshl_b32 s1, s17, 3
	v_mad_u64_u32 v[2:3], s[22:23], v4, 18, v[2:3]
	v_add_u32_e32 v7, s1, v5
	v_mad_u64_u32 v[4:5], s[22:23], v5, 18, v[2:3]
	v_add_u32_e32 v111, v71, v1
	v_add_u32_e32 v112, v110, v1
	;; [unrolled: 1-line block ×3, first 2 shown]
	v_add_co_u32_e32 v1, vcc, v4, v6
	v_addc_co_u32_e32 v4, vcc, 0, v5, vcc
	v_mov_b32_e32 v55, s5
	v_add_co_u32_e32 v1, vcc, s4, v1
	v_addc_co_u32_e32 v4, vcc, v4, v55, vcc
	v_add_co_u32_e32 v26, vcc, 2, v1
	v_addc_co_u32_e32 v1, vcc, 0, v4, vcc
	v_mad_u64_u32 v[4:5], s[22:23], v7, 18, v[2:3]
	v_add_co_u32_e32 v4, vcc, v4, v6
	v_addc_co_u32_e32 v5, vcc, 0, v5, vcc
	v_add_co_u32_e32 v4, vcc, s4, v4
	v_addc_co_u32_e32 v5, vcc, v5, v55, vcc
	v_add_u32_e32 v8, s1, v7
	v_add_co_u32_e32 v28, vcc, 2, v4
	v_addc_co_u32_e32 v27, vcc, 0, v5, vcc
	v_mad_u64_u32 v[4:5], s[22:23], v8, 18, v[2:3]
	v_add_co_u32_e32 v4, vcc, v4, v6
	v_addc_co_u32_e32 v5, vcc, 0, v5, vcc
	v_add_co_u32_e32 v4, vcc, s4, v4
	v_addc_co_u32_e32 v5, vcc, v5, v55, vcc
	v_add_u32_e32 v9, s1, v8
	;; [unrolled: 8-line block ×14, first 2 shown]
	v_add_co_u32_e32 v54, vcc, 2, v4
	v_addc_co_u32_e32 v53, vcc, 0, v5, vcc
	v_mad_u64_u32 v[2:3], s[22:23], v21, 18, v[2:3]
	v_add_co_u32_e32 v2, vcc, v2, v6
	v_addc_co_u32_e32 v3, vcc, 0, v3, vcc
	v_add_co_u32_e32 v2, vcc, s4, v2
	v_addc_co_u32_e32 v3, vcc, v3, v55, vcc
	;; [unrolled: 2-line block ×3, first 2 shown]
	v_mad_u64_u32 v[2:3], s[22:23], v57, 18, 0
	v_mad_i64_i32 v[2:3], s[22:23], s19, 18, v[2:3]
	s_andn2_b32 s0, s0, 31
	v_mad_u64_u32 v[2:3], s[22:23], v58, 18, v[2:3]
	v_add_u32_e32 v60, s0, v57
	v_mov_b32_e32 v4, s5
	v_add_co_u32_e32 v62, vcc, s4, v2
	v_addc_co_u32_e32 v57, vcc, v4, v3, vcc
	v_mad_u64_u32 v[2:3], s[22:23], v60, 18, 0
	v_mad_i64_i32 v[2:3], s[22:23], s19, 18, v[2:3]
	v_mad_u64_u32 v[2:3], s[22:23], v58, 18, v[2:3]
	v_add_u32_e32 v65, s0, v60
	v_add_co_u32_e32 v64, vcc, s4, v2
	v_addc_co_u32_e32 v63, vcc, v4, v3, vcc
	v_mad_u64_u32 v[2:3], s[22:23], v65, 18, 0
	v_mad_i64_i32 v[2:3], s[22:23], s19, 18, v[2:3]
	v_mad_u64_u32 v[2:3], s[22:23], v58, 18, v[2:3]
	v_add_u32_e32 v67, s0, v65
	v_add_co_u32_e32 v66, vcc, s4, v2
	v_addc_co_u32_e32 v65, vcc, v4, v3, vcc
	v_mad_u64_u32 v[2:3], s[22:23], v67, 18, 0
	v_mad_i64_i32 v[2:3], s[22:23], s19, 18, v[2:3]
	v_mad_u64_u32 v[2:3], s[22:23], v58, 18, v[2:3]
	s_ashr_i32 s20, s14, 31
	v_mul_u32_u24_e32 v105, 0x84, v71
	v_add_co_u32_e32 v68, vcc, s4, v2
	v_mov_b32_e32 v60, 0
	s_mov_b32 s18, 0
	v_add_u32_e32 v85, 0x420, v84
	v_add_u32_e32 v86, 0x840, v84
	;; [unrolled: 1-line block ×15, first 2 shown]
	v_cmp_gt_u32_e64 s[0:1], 4, v71
	v_addc_co_u32_e32 v67, vcc, v4, v3, vcc
	s_movk_i32 s19, 0x80
	v_add_u32_e32 v114, v59, v61
	v_add_u32_e32 v115, v70, v72
	;; [unrolled: 1-line block ×4, first 2 shown]
	v_mov_b32_e32 v118, s20
	v_add_u32_e32 v119, 0x1080, v105
	v_add_u32_e32 v120, 0x1088, v105
	v_mov_b32_e32 v61, v60
	v_mov_b32_e32 v58, v60
	;; [unrolled: 1-line block ×3, first 2 shown]
	s_branch .LBB177_6
.LBB177_4:                              ;   in Loop: Header=BB177_6 Depth=1
	s_or_b64 exec, exec, s[4:5]
	s_waitcnt lgkmcnt(0)
	s_barrier
	ds_read_b128 v[2:5], v104
	ds_read_b128 v[14:17], v103
	ds_read_b128 v[18:21], v103 offset:16
	ds_read2_b32 v[72:73], v105 offset0:16 offset1:17
	v_mov_b32_e32 v80, 0
	ds_read_b128 v[6:9], v103 offset:32
	ds_read_b128 v[10:13], v103 offset:48
	v_mov_b32_e32 v121, 0
	v_add_u32_e32 v122, 0x2140, v105
	s_waitcnt lgkmcnt(2)
	v_and_b32_e32 v74, 0xf0f0f0f, v72
	v_lshrrev_b32_e32 v72, 4, v72
	v_and_b32_e32 v72, 0xf0f0f0f, v72
	v_dot4c_i32_i8_e32 v80, v74, v14
	v_dot4c_i32_i8_e32 v80, v72, v18
	v_and_b32_e32 v72, 0xf0f0f0f, v73
	v_lshrrev_b32_e32 v73, 4, v73
	v_and_b32_e32 v74, 0xf0f0f0f, v73
	v_dot4c_i32_i8_e32 v80, v72, v15
	ds_read2_b32 v[72:73], v105 offset0:18 offset1:19
	v_dot4c_i32_i8_e32 v80, v74, v19
	ds_read2_b32 v[74:75], v105 offset0:20 offset1:21
	ds_read2_b32 v[76:77], v105 offset0:22 offset1:23
	ds_read2_b32 v[78:79], v105 offset0:24 offset1:25
	v_add_u32_e32 v124, 0x2148, v105
	v_mov_b32_e32 v141, 0
	s_waitcnt lgkmcnt(3)
	v_and_b32_e32 v81, 0xf0f0f0f, v72
	v_dot4c_i32_i8_e32 v80, v81, v16
	v_add_u32_e32 v81, 0x10c0, v105
	ds_read2_b32 v[82:83], v81 offset1:1
	v_lshrrev_b32_e32 v72, 4, v72
	v_and_b32_e32 v72, 0xf0f0f0f, v72
	v_dot4c_i32_i8_e32 v80, v72, v20
	v_and_b32_e32 v72, 0xf0f0f0f, v73
	v_lshrrev_b32_e32 v73, 4, v73
	v_and_b32_e32 v73, 0xf0f0f0f, v73
	v_dot4c_i32_i8_e32 v80, v72, v17
	v_dot4c_i32_i8_e32 v80, v73, v21
	ds_read2_b32 v[72:73], v109 offset0:6 offset1:7
	s_waitcnt lgkmcnt(1)
	v_and_b32_e32 v81, 0xf0f0f0f, v82
	v_lshrrev_b32_e32 v82, 4, v82
	v_and_b32_e32 v82, 0xf0f0f0f, v82
	v_dot4c_i32_i8_e32 v121, v81, v14
	v_dot4c_i32_i8_e32 v121, v82, v18
	v_and_b32_e32 v81, 0xf0f0f0f, v83
	v_lshrrev_b32_e32 v82, 4, v83
	v_and_b32_e32 v82, 0xf0f0f0f, v82
	v_dot4c_i32_i8_e32 v121, v81, v15
	v_add_u32_e32 v81, 0x10c8, v105
	v_dot4c_i32_i8_e32 v121, v82, v19
	ds_read2_b32 v[82:83], v81 offset1:1
	v_add_u32_e32 v81, 0x31c0, v105
	ds_read2_b32 v[122:123], v122 offset1:1
	ds_read2_b32 v[124:125], v124 offset1:1
	;; [unrolled: 1-line block ×3, first 2 shown]
	v_mov_b32_e32 v142, 0
	v_mov_b32_e32 v143, 0
	s_waitcnt lgkmcnt(3)
	v_and_b32_e32 v81, 0xf0f0f0f, v82
	v_lshrrev_b32_e32 v82, 4, v82
	v_and_b32_e32 v82, 0xf0f0f0f, v82
	v_dot4c_i32_i8_e32 v121, v81, v16
	v_dot4c_i32_i8_e32 v121, v82, v20
	v_and_b32_e32 v81, 0xf0f0f0f, v83
	v_lshrrev_b32_e32 v82, 4, v83
	v_and_b32_e32 v82, 0xf0f0f0f, v82
	v_dot4c_i32_i8_e32 v121, v81, v17
	s_waitcnt lgkmcnt(2)
	v_lshrrev_b32_e32 v81, 4, v122
	v_dot4c_i32_i8_e32 v121, v82, v21
	v_and_b32_e32 v82, 0xf0f0f0f, v122
	v_and_b32_e32 v83, 0xf0f0f0f, v81
	v_mov_b32_e32 v81, 0
	v_dot4c_i32_i8_e32 v81, v82, v14
	v_dot4c_i32_i8_e32 v81, v83, v18
	v_and_b32_e32 v82, 0xf0f0f0f, v123
	v_lshrrev_b32_e32 v83, 4, v123
	v_and_b32_e32 v83, 0xf0f0f0f, v83
	v_dot4c_i32_i8_e32 v81, v82, v15
	v_dot4c_i32_i8_e32 v81, v83, v19
	s_waitcnt lgkmcnt(1)
	v_and_b32_e32 v82, 0xf0f0f0f, v124
	v_lshrrev_b32_e32 v83, 4, v124
	v_and_b32_e32 v83, 0xf0f0f0f, v83
	v_dot4c_i32_i8_e32 v81, v82, v16
	v_dot4c_i32_i8_e32 v81, v83, v20
	v_and_b32_e32 v82, 0xf0f0f0f, v125
	v_lshrrev_b32_e32 v83, 4, v125
	v_and_b32_e32 v83, 0xf0f0f0f, v83
	v_dot4c_i32_i8_e32 v81, v82, v17
	s_waitcnt lgkmcnt(0)
	v_lshrrev_b32_e32 v82, 4, v126
	v_dot4c_i32_i8_e32 v81, v83, v21
	v_and_b32_e32 v83, 0xf0f0f0f, v126
	v_and_b32_e32 v122, 0xf0f0f0f, v82
	v_mov_b32_e32 v82, 0
	v_dot4c_i32_i8_e32 v82, v83, v14
	v_dot4c_i32_i8_e32 v82, v122, v18
	v_and_b32_e32 v14, 0xf0f0f0f, v127
	v_dot4c_i32_i8_e32 v82, v14, v15
	v_add_u32_e32 v14, 0x31c8, v105
	ds_read2_b32 v[14:15], v14 offset1:1
	v_lshrrev_b32_e32 v18, 4, v127
	v_and_b32_e32 v18, 0xf0f0f0f, v18
	v_dot4c_i32_i8_e32 v82, v18, v19
	v_add_u32_e32 v18, 0x10d0, v105
	v_add_u32_e32 v83, 0x10d8, v105
	;; [unrolled: 1-line block ×3, first 2 shown]
	ds_read2_b32 v[18:19], v18 offset1:1
	ds_read2_b32 v[122:123], v83 offset1:1
	;; [unrolled: 1-line block ×3, first 2 shown]
	s_waitcnt lgkmcnt(3)
	v_and_b32_e32 v83, 0xf0f0f0f, v14
	v_lshrrev_b32_e32 v14, 4, v14
	v_and_b32_e32 v14, 0xf0f0f0f, v14
	v_dot4c_i32_i8_e32 v82, v83, v16
	v_dot4c_i32_i8_e32 v82, v14, v20
	v_and_b32_e32 v14, 0xf0f0f0f, v15
	v_lshrrev_b32_e32 v15, 4, v15
	v_and_b32_e32 v15, 0xf0f0f0f, v15
	v_dot4c_i32_i8_e32 v82, v14, v17
	v_cvt_f32_f16_sdwa v16, v3 dst_sel:DWORD dst_unused:UNUSED_PAD src0_sel:WORD_1
	v_dot4c_i32_i8_e32 v82, v15, v21
	v_cvt_f32_f16_e32 v14, v3
	v_and_b32_e32 v3, 0xf0f0f0f, v74
	v_lshrrev_b32_e32 v15, 4, v74
	v_mov_b32_e32 v17, 0
	v_and_b32_e32 v15, 0xf0f0f0f, v15
	v_dot4c_i32_i8_e32 v17, v3, v6
	v_dot4c_i32_i8_e32 v17, v15, v10
	v_and_b32_e32 v3, 0xf0f0f0f, v75
	v_lshrrev_b32_e32 v15, 4, v75
	v_and_b32_e32 v15, 0xf0f0f0f, v15
	v_dot4c_i32_i8_e32 v17, v3, v7
	v_dot4c_i32_i8_e32 v17, v15, v11
	v_and_b32_e32 v3, 0xf0f0f0f, v76
	v_lshrrev_b32_e32 v15, 4, v76
	;; [unrolled: 5-line block ×3, first 2 shown]
	v_and_b32_e32 v15, 0xf0f0f0f, v15
	v_dot4c_i32_i8_e32 v17, v3, v9
	v_dot4c_i32_i8_e32 v17, v15, v13
	s_waitcnt lgkmcnt(2)
	v_and_b32_e32 v3, 0xf0f0f0f, v18
	v_lshrrev_b32_e32 v15, 4, v18
	v_mov_b32_e32 v83, 0
	v_and_b32_e32 v15, 0xf0f0f0f, v15
	v_dot4c_i32_i8_e32 v83, v3, v6
	v_dot4c_i32_i8_e32 v83, v15, v10
	v_and_b32_e32 v3, 0xf0f0f0f, v19
	v_lshrrev_b32_e32 v15, 4, v19
	v_and_b32_e32 v15, 0xf0f0f0f, v15
	v_dot4c_i32_i8_e32 v83, v3, v7
	v_dot4c_i32_i8_e32 v83, v15, v11
	s_waitcnt lgkmcnt(1)
	v_and_b32_e32 v3, 0xf0f0f0f, v122
	v_lshrrev_b32_e32 v15, 4, v122
	v_and_b32_e32 v15, 0xf0f0f0f, v15
	v_dot4c_i32_i8_e32 v83, v3, v8
	v_dot4c_i32_i8_e32 v83, v15, v12
	v_and_b32_e32 v3, 0xf0f0f0f, v123
	v_lshrrev_b32_e32 v15, 4, v123
	v_and_b32_e32 v15, 0xf0f0f0f, v15
	v_dot4c_i32_i8_e32 v83, v3, v9
	v_dot4c_i32_i8_e32 v83, v15, v13
	s_waitcnt lgkmcnt(0)
	v_and_b32_e32 v3, 0xf0f0f0f, v124
	v_lshrrev_b32_e32 v15, 4, v124
	v_and_b32_e32 v15, 0xf0f0f0f, v15
	v_dot4c_i32_i8_e32 v141, v3, v6
	v_dot4c_i32_i8_e32 v141, v15, v10
	v_and_b32_e32 v3, 0xf0f0f0f, v125
	v_dot4c_i32_i8_e32 v141, v3, v7
	v_add_u32_e32 v3, 0x2158, v105
	ds_read2_b32 v[18:19], v3 offset1:1
	v_lshrrev_b32_e32 v15, 4, v125
	v_and_b32_e32 v15, 0xf0f0f0f, v15
	v_dot4c_i32_i8_e32 v141, v15, v11
	v_add_u32_e32 v15, 0x31d0, v105
	v_add_u32_e32 v74, 0x31d8, v105
	;; [unrolled: 1-line block ×3, first 2 shown]
	ds_read2_b32 v[20:21], v15 offset1:1
	ds_read2_b32 v[74:75], v74 offset1:1
	;; [unrolled: 1-line block ×3, first 2 shown]
	s_waitcnt lgkmcnt(3)
	v_and_b32_e32 v3, 0xf0f0f0f, v18
	v_lshrrev_b32_e32 v15, 4, v18
	v_and_b32_e32 v15, 0xf0f0f0f, v15
	v_dot4c_i32_i8_e32 v141, v3, v8
	v_dot4c_i32_i8_e32 v141, v15, v12
	v_and_b32_e32 v3, 0xf0f0f0f, v19
	v_lshrrev_b32_e32 v15, 4, v19
	v_and_b32_e32 v15, 0xf0f0f0f, v15
	v_dot4c_i32_i8_e32 v141, v3, v9
	v_dot4c_i32_i8_e32 v141, v15, v13
	s_waitcnt lgkmcnt(2)
	v_and_b32_e32 v3, 0xf0f0f0f, v20
	v_lshrrev_b32_e32 v15, 4, v20
	v_and_b32_e32 v15, 0xf0f0f0f, v15
	v_dot4c_i32_i8_e32 v142, v3, v6
	v_dot4c_i32_i8_e32 v142, v15, v10
	v_and_b32_e32 v3, 0xf0f0f0f, v21
	v_lshrrev_b32_e32 v6, 4, v21
	v_and_b32_e32 v6, 0xf0f0f0f, v6
	v_dot4c_i32_i8_e32 v142, v3, v7
	v_dot4c_i32_i8_e32 v142, v6, v11
	s_waitcnt lgkmcnt(1)
	v_and_b32_e32 v3, 0xf0f0f0f, v74
	v_lshrrev_b32_e32 v6, 4, v74
	v_and_b32_e32 v6, 0xf0f0f0f, v6
	v_dot4c_i32_i8_e32 v142, v3, v8
	v_dot4c_i32_i8_e32 v142, v6, v12
	v_and_b32_e32 v3, 0xf0f0f0f, v75
	v_dot4c_i32_i8_e32 v142, v3, v9
	v_cvt_f32_f16_sdwa v3, v4 dst_sel:DWORD dst_unused:UNUSED_PAD src0_sel:WORD_1
	ds_read_b128 v[122:125], v103 offset:64
	ds_read_b128 v[126:129], v103 offset:80
	v_lshrrev_b32_e32 v6, 4, v75
	v_and_b32_e32 v6, 0xf0f0f0f, v6
	ds_read2_b32 v[8:9], v108 offset0:4 offset1:5
	ds_read2_b32 v[18:19], v107 offset0:6 offset1:7
	;; [unrolled: 1-line block ×5, first 2 shown]
	v_dot4c_i32_i8_e32 v142, v6, v13
	v_mul_f32_e32 v6, 0x41000000, v3
	v_and_b32_e32 v3, 0xf0f0f0f, v78
	v_lshrrev_b32_e32 v7, 4, v78
	v_mov_b32_e32 v15, 0
	v_and_b32_e32 v7, 0xf0f0f0f, v7
	s_waitcnt lgkmcnt(6)
	v_dot4c_i32_i8_e32 v15, v3, v122
	s_waitcnt lgkmcnt(5)
	v_dot4c_i32_i8_e32 v15, v7, v126
	v_and_b32_e32 v3, 0xf0f0f0f, v79
	v_lshrrev_b32_e32 v7, 4, v79
	v_and_b32_e32 v7, 0xf0f0f0f, v7
	v_dot4c_i32_i8_e32 v15, v3, v123
	v_dot4c_i32_i8_e32 v15, v7, v127
	s_waitcnt lgkmcnt(0)
	v_and_b32_e32 v3, 0xf0f0f0f, v10
	v_lshrrev_b32_e32 v7, 4, v10
	v_and_b32_e32 v7, 0xf0f0f0f, v7
	v_dot4c_i32_i8_e32 v15, v3, v124
	v_dot4c_i32_i8_e32 v15, v7, v128
	v_and_b32_e32 v3, 0xf0f0f0f, v11
	v_lshrrev_b32_e32 v7, 4, v11
	v_and_b32_e32 v7, 0xf0f0f0f, v7
	v_dot4c_i32_i8_e32 v15, v3, v125
	v_dot4c_i32_i8_e32 v15, v7, v129
	;; [unrolled: 5-line block ×3, first 2 shown]
	v_and_b32_e32 v3, 0xf0f0f0f, v77
	v_dot4c_i32_i8_e32 v143, v3, v123
	v_add_u32_e32 v3, 0x10e8, v105
	ds_read2_b32 v[130:131], v105 offset0:28 offset1:29
	ds_read2_b32 v[132:133], v106 offset0:4 offset1:5
	;; [unrolled: 1-line block ×3, first 2 shown]
	ds_read2_b32 v[10:11], v3 offset1:1
	v_lshrrev_b32_e32 v7, 4, v77
	v_and_b32_e32 v7, 0xf0f0f0f, v7
	v_dot4c_i32_i8_e32 v143, v7, v127
	v_add_u32_e32 v7, 0x2160, v105
	v_add_u32_e32 v3, 0x31e0, v105
	;; [unrolled: 1-line block ×3, first 2 shown]
	ds_read2_b32 v[76:77], v7 offset1:1
	ds_read2_b32 v[78:79], v12 offset1:1
	;; [unrolled: 1-line block ×3, first 2 shown]
	s_waitcnt lgkmcnt(3)
	v_and_b32_e32 v3, 0xf0f0f0f, v10
	v_lshrrev_b32_e32 v7, 4, v10
	v_and_b32_e32 v7, 0xf0f0f0f, v7
	v_dot4c_i32_i8_e32 v143, v3, v124
	v_dot4c_i32_i8_e32 v143, v7, v128
	v_and_b32_e32 v3, 0xf0f0f0f, v11
	v_lshrrev_b32_e32 v7, 4, v11
	v_and_b32_e32 v7, 0xf0f0f0f, v7
	v_dot4c_i32_i8_e32 v143, v3, v125
	v_dot4c_i32_i8_e32 v143, v7, v129
	s_waitcnt lgkmcnt(2)
	v_and_b32_e32 v3, 0xf0f0f0f, v76
	v_lshrrev_b32_e32 v7, 4, v76
	v_mov_b32_e32 v144, 0
	v_and_b32_e32 v7, 0xf0f0f0f, v7
	v_dot4c_i32_i8_e32 v144, v3, v122
	v_dot4c_i32_i8_e32 v144, v7, v126
	v_and_b32_e32 v3, 0xf0f0f0f, v77
	v_lshrrev_b32_e32 v7, 4, v77
	v_and_b32_e32 v7, 0xf0f0f0f, v7
	v_dot4c_i32_i8_e32 v144, v3, v123
	v_dot4c_i32_i8_e32 v144, v7, v127
	s_waitcnt lgkmcnt(1)
	v_and_b32_e32 v3, 0xf0f0f0f, v78
	v_lshrrev_b32_e32 v7, 4, v78
	v_and_b32_e32 v7, 0xf0f0f0f, v7
	v_dot4c_i32_i8_e32 v144, v3, v124
	v_dot4c_i32_i8_e32 v144, v7, v128
	v_and_b32_e32 v3, 0xf0f0f0f, v79
	v_lshrrev_b32_e32 v7, 4, v79
	v_and_b32_e32 v7, 0xf0f0f0f, v7
	v_dot4c_i32_i8_e32 v144, v3, v125
	v_dot4c_i32_i8_e32 v144, v7, v129
	s_waitcnt lgkmcnt(0)
	v_and_b32_e32 v3, 0xf0f0f0f, v136
	v_lshrrev_b32_e32 v7, 4, v136
	v_mov_b32_e32 v145, 0
	v_and_b32_e32 v7, 0xf0f0f0f, v7
	v_dot4c_i32_i8_e32 v145, v3, v122
	v_dot4c_i32_i8_e32 v145, v7, v126
	v_and_b32_e32 v3, 0xf0f0f0f, v137
	v_dot4c_i32_i8_e32 v145, v3, v123
	v_add_u32_e32 v3, 0x31e8, v105
	ds_read2_b32 v[12:13], v109 offset0:4 offset1:5
	ds_read2_b32 v[10:11], v108 offset0:6 offset1:7
	ds_read2_b32 v[76:77], v3 offset1:1
	v_lshrrev_b32_e32 v7, 4, v137
	v_and_b32_e32 v7, 0xf0f0f0f, v7
	v_dot4c_i32_i8_e32 v145, v7, v127
	v_add_u32_e32 v7, 0x10f0, v105
	v_add_u32_e32 v3, 0x2170, v105
	v_add_u32_e32 v78, 0x10f8, v105
	ds_read2_b32 v[126:127], v7 offset1:1
	ds_read2_b32 v[136:137], v78 offset1:1
	;; [unrolled: 1-line block ×3, first 2 shown]
	s_waitcnt lgkmcnt(3)
	v_and_b32_e32 v3, 0xf0f0f0f, v76
	v_lshrrev_b32_e32 v7, 4, v76
	v_and_b32_e32 v7, 0xf0f0f0f, v7
	v_dot4c_i32_i8_e32 v145, v3, v124
	v_dot4c_i32_i8_e32 v145, v7, v128
	v_and_b32_e32 v3, 0xf0f0f0f, v77
	v_dot4c_i32_i8_e32 v145, v3, v125
	v_cvt_f32_f16_sdwa v3, v5 dst_sel:DWORD dst_unused:UNUSED_PAD src0_sel:WORD_1
	v_lshrrev_b32_e32 v7, 4, v77
	ds_read_b128 v[76:79], v103 offset:96
	ds_read_b128 v[122:125], v103 offset:112
	v_and_b32_e32 v7, 0xf0f0f0f, v7
	v_dot4c_i32_i8_e32 v145, v7, v129
	v_cvt_f32_f16_e32 v128, v5
	v_mul_f32_e32 v140, 0x41000000, v3
	v_and_b32_e32 v3, 0xf0f0f0f, v130
	v_lshrrev_b32_e32 v5, 4, v130
	v_mov_b32_e32 v7, 0
	v_and_b32_e32 v5, 0xf0f0f0f, v5
	s_waitcnt lgkmcnt(1)
	v_dot4c_i32_i8_e32 v7, v3, v76
	s_waitcnt lgkmcnt(0)
	v_dot4c_i32_i8_e32 v7, v5, v122
	v_and_b32_e32 v3, 0xf0f0f0f, v131
	v_lshrrev_b32_e32 v5, 4, v131
	v_and_b32_e32 v5, 0xf0f0f0f, v5
	v_dot4c_i32_i8_e32 v7, v3, v77
	v_dot4c_i32_i8_e32 v7, v5, v123
	v_and_b32_e32 v3, 0xf0f0f0f, v134
	v_lshrrev_b32_e32 v5, 4, v134
	v_and_b32_e32 v5, 0xf0f0f0f, v5
	v_dot4c_i32_i8_e32 v7, v3, v78
	;; [unrolled: 5-line block ×3, first 2 shown]
	v_dot4c_i32_i8_e32 v7, v5, v125
	v_and_b32_e32 v3, 0xf0f0f0f, v126
	v_lshrrev_b32_e32 v5, 4, v126
	v_mov_b32_e32 v129, 0
	v_cvt_f32_f16_sdwa v70, v2 dst_sel:DWORD dst_unused:UNUSED_PAD src0_sel:WORD_1
	v_and_b32_e32 v5, 0xf0f0f0f, v5
	v_dot4c_i32_i8_e32 v129, v3, v76
	v_cvt_f32_f16_e32 v2, v2
	v_dot4c_i32_i8_e32 v129, v5, v122
	v_and_b32_e32 v3, 0xf0f0f0f, v127
	v_lshrrev_b32_e32 v5, 4, v127
	v_cvt_f32_i32_e32 v127, v121
	v_cvt_f32_i32_e32 v126, v80
	v_and_b32_e32 v5, 0xf0f0f0f, v5
	v_dot4c_i32_i8_e32 v129, v3, v77
	v_dot4c_i32_i8_e32 v129, v5, v123
	v_and_b32_e32 v3, 0xf0f0f0f, v136
	v_mul_f32_e32 v70, 0x41000000, v70
	v_dot4c_i32_i8_e32 v129, v3, v78
	v_and_b32_e32 v3, 0xf0f0f0f, v137
	v_lshrrev_b32_e32 v5, 4, v136
	v_pk_fma_f32 v[126:127], v[2:3], v[126:127], v[70:71] op_sel_hi:[0,1,0] neg_lo:[0,0,1] neg_hi:[0,0,1]
	v_mov_b32_e32 v130, v132
	v_mov_b32_e32 v131, v74
	v_cvt_f32_i32_e32 v135, v83
	v_cvt_f32_i32_e32 v134, v17
	v_cvt_f32_f16_e32 v4, v4
	v_and_b32_e32 v5, 0xf0f0f0f, v5
	v_pk_fma_f32 v[60:61], v[130:131], v[126:127], v[60:61]
	v_cvt_f32_i32_e32 v127, v143
	v_cvt_f32_i32_e32 v126, v15
	v_dot4c_i32_i8_e32 v129, v5, v124
	v_lshrrev_b32_e32 v5, 4, v137
	v_mul_f32_e32 v16, 0x41000000, v16
	v_and_b32_e32 v5, 0xf0f0f0f, v5
	v_dot4c_i32_i8_e32 v129, v3, v79
	v_dot4c_i32_i8_e32 v129, v5, v125
	v_pk_fma_f32 v[130:131], v[14:15], v[134:135], v[16:17] op_sel_hi:[0,1,0] neg_lo:[0,0,1] neg_hi:[0,0,1]
	v_mov_b32_e32 v74, v133
	v_pk_fma_f32 v[60:61], v[74:75], v[130:131], v[60:61]
	v_pk_fma_f32 v[74:75], v[4:5], v[126:127], v[6:7] op_sel_hi:[0,1,0] neg_lo:[0,0,1] neg_hi:[0,0,1]
	v_cvt_f32_i32_e32 v127, v129
	v_cvt_f32_i32_e32 v126, v7
	v_and_b32_e32 v3, 0xf0f0f0f, v138
	v_lshrrev_b32_e32 v5, 4, v138
	v_mov_b32_e32 v17, 0
	v_and_b32_e32 v5, 0xf0f0f0f, v5
	v_dot4c_i32_i8_e32 v17, v3, v76
	v_mov_b32_e32 v130, v20
	v_mov_b32_e32 v131, v18
	v_dot4c_i32_i8_e32 v17, v5, v122
	v_and_b32_e32 v3, 0xf0f0f0f, v139
	v_pk_fma_f32 v[60:61], v[130:131], v[74:75], v[60:61]
	v_pk_fma_f32 v[74:75], v[128:129], v[126:127], v[140:141] op_sel_hi:[0,1,0] neg_lo:[0,0,1] neg_hi:[0,0,1]
	v_mov_b32_e32 v18, v21
	v_dot4c_i32_i8_e32 v17, v3, v77
	v_add_u32_e32 v3, 0x2178, v105
	v_pk_fma_f32 v[60:61], v[18:19], v[74:75], v[60:61]
	ds_read2_b32 v[18:19], v3 offset1:1
	v_lshrrev_b32_e32 v5, 4, v139
	v_and_b32_e32 v5, 0xf0f0f0f, v5
	v_dot4c_i32_i8_e32 v17, v5, v123
	v_add_u32_e32 v3, 0x31f0, v105
	v_add_u32_e32 v5, 0x31f8, v105
	ds_read2_b32 v[20:21], v3 offset1:1
	ds_read2_b32 v[74:75], v5 offset1:1
	s_waitcnt lgkmcnt(2)
	v_and_b32_e32 v3, 0xf0f0f0f, v18
	v_lshrrev_b32_e32 v5, 4, v18
	v_and_b32_e32 v5, 0xf0f0f0f, v5
	v_dot4c_i32_i8_e32 v17, v3, v78
	v_dot4c_i32_i8_e32 v17, v5, v124
	v_and_b32_e32 v3, 0xf0f0f0f, v19
	v_lshrrev_b32_e32 v5, 4, v19
	v_and_b32_e32 v5, 0xf0f0f0f, v5
	v_dot4c_i32_i8_e32 v17, v3, v79
	v_dot4c_i32_i8_e32 v17, v5, v125
	s_waitcnt lgkmcnt(1)
	v_and_b32_e32 v3, 0xf0f0f0f, v20
	v_lshrrev_b32_e32 v5, 4, v20
	v_mov_b32_e32 v7, 0
	v_and_b32_e32 v5, 0xf0f0f0f, v5
	v_dot4c_i32_i8_e32 v7, v3, v76
	v_dot4c_i32_i8_e32 v7, v5, v122
	v_and_b32_e32 v3, 0xf0f0f0f, v21
	v_lshrrev_b32_e32 v5, 4, v21
	v_and_b32_e32 v5, 0xf0f0f0f, v5
	v_dot4c_i32_i8_e32 v7, v3, v77
	v_cvt_f32_i32_e32 v19, v82
	v_cvt_f32_i32_e32 v18, v81
	v_dot4c_i32_i8_e32 v7, v5, v123
	s_waitcnt lgkmcnt(0)
	v_and_b32_e32 v3, 0xf0f0f0f, v74
	v_lshrrev_b32_e32 v5, 4, v74
	v_and_b32_e32 v5, 0xf0f0f0f, v5
	v_dot4c_i32_i8_e32 v7, v3, v78
	v_dot4c_i32_i8_e32 v7, v5, v124
	v_and_b32_e32 v3, 0xf0f0f0f, v75
	v_dot4c_i32_i8_e32 v7, v3, v79
	v_pk_fma_f32 v[2:3], v[2:3], v[18:19], v[70:71] op_sel_hi:[0,1,0] neg_lo:[0,0,1] neg_hi:[0,0,1]
	v_mov_b32_e32 v18, v8
	v_mov_b32_e32 v19, v12
	v_pk_fma_f32 v[2:3], v[18:19], v[2:3], v[58:59]
	v_cvt_f32_i32_e32 v19, v145
	v_cvt_f32_i32_e32 v18, v144
	v_lshrrev_b32_e32 v5, 4, v75
	v_and_b32_e32 v5, 0xf0f0f0f, v5
	v_cvt_f32_i32_e32 v21, v142
	v_cvt_f32_i32_e32 v20, v141
	v_dot4c_i32_i8_e32 v7, v5, v125
	v_mov_b32_e32 v12, v9
	v_mov_b32_e32 v8, v10
	v_pk_fma_f32 v[14:15], v[14:15], v[20:21], v[16:17] op_sel_hi:[0,1,0] neg_lo:[0,0,1] neg_hi:[0,0,1]
	v_pk_fma_f32 v[4:5], v[4:5], v[18:19], v[6:7] op_sel_hi:[0,1,0] neg_lo:[0,0,1] neg_hi:[0,0,1]
	v_cvt_f32_i32_e32 v7, v7
	v_cvt_f32_i32_e32 v6, v17
	v_pk_fma_f32 v[2:3], v[12:13], v[14:15], v[2:3]
	v_mov_b32_e32 v9, v72
	v_pk_fma_f32 v[2:3], v[8:9], v[4:5], v[2:3]
	v_pk_fma_f32 v[4:5], v[128:129], v[6:7], v[140:141] op_sel_hi:[0,1,0] neg_lo:[0,0,1] neg_hi:[0,0,1]
	v_mov_b32_e32 v72, v11
	v_pk_fma_f32 v[58:59], v[72:73], v[4:5], v[2:3]
	s_barrier
.LBB177_5:                              ;   in Loop: Header=BB177_6 Depth=1
	v_add_co_u32_e32 v24, vcc, 0x120, v24
	v_addc_co_u32_e32 v25, vcc, 0, v25, vcc
	v_add_co_u32_e32 v26, vcc, 0x90, v26
	v_addc_co_u32_e32 v1, vcc, 0, v1, vcc
	;; [unrolled: 2-line block ×20, first 2 shown]
	s_add_i32 s18, s18, 8
	s_addk_i32 s19, 0x100
	v_add_co_u32_e32 v68, vcc, 0x90, v68
	s_cmp_ge_i32 s18, s17
	v_addc_co_u32_e32 v67, vcc, 0, v67, vcc
	s_cbranch_scc1 .LBB177_19
.LBB177_6:                              ; =>This Inner Loop Header: Depth=1
	v_add_co_u32_e32 v2, vcc, s14, v26
	v_addc_co_u32_e32 v3, vcc, v1, v118, vcc
	global_load_dword v4, v[2:3], off
	v_add_co_u32_e32 v2, vcc, s14, v28
	v_addc_co_u32_e32 v3, vcc, v27, v118, vcc
	global_load_dword v5, v[2:3], off
	;; [unrolled: 3-line block ×16, first 2 shown]
	v_add_co_u32_e32 v2, vcc, s14, v62
	v_addc_co_u32_e32 v3, vcc, v57, v118, vcc
	global_load_ushort v20, v[2:3], off
	v_add_co_u32_e32 v2, vcc, s14, v64
	v_addc_co_u32_e32 v3, vcc, v63, v118, vcc
	global_load_ushort v21, v[2:3], off
	;; [unrolled: 3-line block ×4, first 2 shown]
	s_waitcnt vmcnt(19)
	ds_write_b32 v84, v4
	s_waitcnt vmcnt(18)
	ds_write_b32 v85, v5
	;; [unrolled: 2-line block ×15, first 2 shown]
	s_add_i32 s4, s19, 0xffffff80
	s_cmp_lt_i32 s4, s15
	s_waitcnt vmcnt(4)
	ds_write_b32 v99, v19
	s_waitcnt vmcnt(3)
	v_cvt_f32_f16_e32 v3, v20
	s_waitcnt vmcnt(2)
	v_cvt_f32_f16_e32 v4, v21
	ds_write_b32 v114, v3
	ds_write_b32 v115, v4
	s_waitcnt vmcnt(1)
	v_cvt_f32_f16_e32 v5, v70
	ds_write_b32 v116, v5
	s_waitcnt vmcnt(0)
	v_cvt_f32_f16_e32 v2, v2
	ds_write_b32 v117, v2
	s_cbranch_scc0 .LBB177_5
; %bb.7:                                ;   in Loop: Header=BB177_6 Depth=1
	v_add_u32_e32 v2, s18, v100
	v_cmp_gt_i32_e32 vcc, s9, v2
	s_and_b64 s[20:21], s[2:3], vcc
	s_and_saveexec_b64 s[4:5], s[20:21]
	s_cbranch_execz .LBB177_9
; %bb.8:                                ;   in Loop: Header=BB177_6 Depth=1
	v_add_u32_e32 v2, s18, v113
	v_mad_i64_i32 v[2:3], s[20:21], v2, 36, v[22:23]
	global_load_dword v2, v[2:3], off offset:4
	s_waitcnt vmcnt(0)
	ds_write_b32 v101, v2
.LBB177_9:                              ;   in Loop: Header=BB177_6 Depth=1
	s_or_b64 exec, exec, s[4:5]
	s_and_saveexec_b64 s[4:5], s[0:1]
	s_cbranch_execz .LBB177_12
; %bb.10:                               ;   in Loop: Header=BB177_6 Depth=1
	v_add_u32_e32 v2, s18, v71
	v_cmp_gt_i32_e32 vcc, s9, v2
	s_and_b64 s[20:21], s[2:3], vcc
	s_and_b64 exec, exec, s[20:21]
	s_cbranch_execz .LBB177_12
; %bb.11:                               ;   in Loop: Header=BB177_6 Depth=1
	v_add_u32_e32 v2, s18, v111
	v_mad_i64_i32 v[2:3], s[20:21], v2, 36, s[6:7]
	global_load_dword v2, v[2:3], off
	s_waitcnt vmcnt(0)
	ds_write_b32 v102, v2
.LBB177_12:                             ;   in Loop: Header=BB177_6 Depth=1
	s_or_b64 exec, exec, s[4:5]
	s_waitcnt lgkmcnt(0)
	s_barrier
	ds_read_b128 v[2:5], v104
	ds_read_b128 v[14:17], v103
	ds_read_b128 v[18:21], v103 offset:16
	ds_read2_b32 v[72:73], v105 offset1:1
	v_mov_b32_e32 v121, 0
	ds_read_b128 v[6:9], v103 offset:32
	ds_read_b128 v[10:13], v103 offset:48
	v_mov_b32_e32 v126, 0
	v_add_u32_e32 v122, 0x2108, v105
	s_waitcnt lgkmcnt(2)
	v_and_b32_e32 v74, 0xf0f0f0f, v72
	v_lshrrev_b32_e32 v72, 4, v72
	v_and_b32_e32 v72, 0xf0f0f0f, v72
	v_dot4c_i32_i8_e32 v121, v74, v14
	v_dot4c_i32_i8_e32 v121, v72, v18
	v_and_b32_e32 v72, 0xf0f0f0f, v73
	v_lshrrev_b32_e32 v73, 4, v73
	v_and_b32_e32 v74, 0xf0f0f0f, v73
	v_dot4c_i32_i8_e32 v121, v72, v15
	ds_read2_b32 v[72:73], v105 offset0:2 offset1:3
	v_dot4c_i32_i8_e32 v121, v74, v19
	ds_read2_b32 v[76:77], v105 offset0:4 offset1:5
	ds_read2_b32 v[78:79], v105 offset0:6 offset1:7
	;; [unrolled: 1-line block ×3, first 2 shown]
	v_add_u32_e32 v124, 0x3180, v105
	v_mov_b32_e32 v143, 0
	s_waitcnt lgkmcnt(3)
	v_and_b32_e32 v74, 0xf0f0f0f, v72
	v_dot4c_i32_i8_e32 v121, v74, v16
	ds_read2_b32 v[74:75], v119 offset1:1
	v_lshrrev_b32_e32 v72, 4, v72
	v_and_b32_e32 v72, 0xf0f0f0f, v72
	v_dot4c_i32_i8_e32 v121, v72, v20
	v_and_b32_e32 v72, 0xf0f0f0f, v73
	v_lshrrev_b32_e32 v73, 4, v73
	v_and_b32_e32 v73, 0xf0f0f0f, v73
	v_dot4c_i32_i8_e32 v121, v72, v17
	v_dot4c_i32_i8_e32 v121, v73, v21
	ds_read2_b32 v[72:73], v109 offset0:2 offset1:3
	s_waitcnt lgkmcnt(1)
	v_and_b32_e32 v82, 0xf0f0f0f, v74
	v_lshrrev_b32_e32 v74, 4, v74
	v_and_b32_e32 v74, 0xf0f0f0f, v74
	v_dot4c_i32_i8_e32 v126, v82, v14
	v_dot4c_i32_i8_e32 v126, v74, v18
	v_and_b32_e32 v74, 0xf0f0f0f, v75
	v_lshrrev_b32_e32 v75, 4, v75
	v_and_b32_e32 v75, 0xf0f0f0f, v75
	v_dot4c_i32_i8_e32 v126, v74, v15
	v_dot4c_i32_i8_e32 v126, v75, v19
	ds_read2_b32 v[74:75], v120 offset1:1
	v_add_u32_e32 v82, 0x2100, v105
	ds_read2_b32 v[82:83], v82 offset1:1
	ds_read2_b32 v[122:123], v122 offset1:1
	;; [unrolled: 1-line block ×3, first 2 shown]
	v_cvt_f32_f16_e32 v142, v5
	v_cvt_f32_f16_sdwa v70, v2 dst_sel:DWORD dst_unused:UNUSED_PAD src0_sel:WORD_1
	s_waitcnt lgkmcnt(3)
	v_and_b32_e32 v127, 0xf0f0f0f, v74
	v_lshrrev_b32_e32 v74, 4, v74
	v_and_b32_e32 v74, 0xf0f0f0f, v74
	v_dot4c_i32_i8_e32 v126, v127, v16
	v_dot4c_i32_i8_e32 v126, v74, v20
	v_and_b32_e32 v74, 0xf0f0f0f, v75
	v_lshrrev_b32_e32 v75, 4, v75
	v_and_b32_e32 v75, 0xf0f0f0f, v75
	v_dot4c_i32_i8_e32 v126, v74, v17
	v_dot4c_i32_i8_e32 v126, v75, v21
	v_cvt_f32_i32_e32 v74, v121
	s_waitcnt lgkmcnt(2)
	v_and_b32_e32 v121, 0xf0f0f0f, v82
	v_lshrrev_b32_e32 v82, 4, v82
	v_cvt_f32_i32_e32 v75, v126
	v_mov_b32_e32 v126, 0
	v_and_b32_e32 v82, 0xf0f0f0f, v82
	v_dot4c_i32_i8_e32 v126, v121, v14
	v_dot4c_i32_i8_e32 v126, v82, v18
	v_and_b32_e32 v82, 0xf0f0f0f, v83
	v_lshrrev_b32_e32 v83, 4, v83
	v_and_b32_e32 v83, 0xf0f0f0f, v83
	v_dot4c_i32_i8_e32 v126, v82, v15
	v_dot4c_i32_i8_e32 v126, v83, v19
	s_waitcnt lgkmcnt(1)
	v_and_b32_e32 v82, 0xf0f0f0f, v122
	v_lshrrev_b32_e32 v83, 4, v122
	v_and_b32_e32 v83, 0xf0f0f0f, v83
	v_dot4c_i32_i8_e32 v126, v82, v16
	v_dot4c_i32_i8_e32 v126, v83, v20
	v_and_b32_e32 v82, 0xf0f0f0f, v123
	v_lshrrev_b32_e32 v83, 4, v123
	v_and_b32_e32 v83, 0xf0f0f0f, v83
	v_dot4c_i32_i8_e32 v126, v82, v17
	v_dot4c_i32_i8_e32 v126, v83, v21
	s_waitcnt lgkmcnt(0)
	v_and_b32_e32 v82, 0xf0f0f0f, v124
	v_lshrrev_b32_e32 v83, 4, v124
	v_mov_b32_e32 v121, 0
	v_and_b32_e32 v83, 0xf0f0f0f, v83
	v_dot4c_i32_i8_e32 v121, v82, v14
	v_dot4c_i32_i8_e32 v121, v83, v18
	v_and_b32_e32 v14, 0xf0f0f0f, v125
	v_dot4c_i32_i8_e32 v121, v14, v15
	v_add_u32_e32 v14, 0x3188, v105
	ds_read2_b32 v[14:15], v14 offset1:1
	v_lshrrev_b32_e32 v18, 4, v125
	v_and_b32_e32 v18, 0xf0f0f0f, v18
	v_dot4c_i32_i8_e32 v121, v18, v19
	v_add_u32_e32 v18, 0x1090, v105
	v_add_u32_e32 v124, 0x2110, v105
	v_add_u32_e32 v19, 0x1098, v105
	ds_read2_b32 v[82:83], v18 offset1:1
	ds_read2_b32 v[122:123], v19 offset1:1
	;; [unrolled: 1-line block ×3, first 2 shown]
	s_waitcnt lgkmcnt(3)
	v_and_b32_e32 v18, 0xf0f0f0f, v14
	v_lshrrev_b32_e32 v14, 4, v14
	v_and_b32_e32 v14, 0xf0f0f0f, v14
	v_dot4c_i32_i8_e32 v121, v18, v16
	v_dot4c_i32_i8_e32 v121, v14, v20
	v_and_b32_e32 v14, 0xf0f0f0f, v15
	v_lshrrev_b32_e32 v15, 4, v15
	v_and_b32_e32 v15, 0xf0f0f0f, v15
	v_dot4c_i32_i8_e32 v121, v14, v17
	v_dot4c_i32_i8_e32 v121, v15, v21
	v_cvt_f32_f16_sdwa v15, v3 dst_sel:DWORD dst_unused:UNUSED_PAD src0_sel:WORD_1
	v_cvt_f32_f16_e32 v14, v3
	v_and_b32_e32 v3, 0xf0f0f0f, v76
	v_mov_b32_e32 v17, 0
	v_mul_f32_e32 v16, 0x41000000, v15
	v_lshrrev_b32_e32 v15, 4, v76
	v_and_b32_e32 v15, 0xf0f0f0f, v15
	v_dot4c_i32_i8_e32 v17, v3, v6
	v_dot4c_i32_i8_e32 v17, v15, v10
	v_and_b32_e32 v3, 0xf0f0f0f, v77
	v_lshrrev_b32_e32 v15, 4, v77
	v_and_b32_e32 v15, 0xf0f0f0f, v15
	v_dot4c_i32_i8_e32 v17, v3, v7
	v_dot4c_i32_i8_e32 v17, v15, v11
	v_and_b32_e32 v3, 0xf0f0f0f, v78
	;; [unrolled: 5-line block ×3, first 2 shown]
	v_lshrrev_b32_e32 v15, 4, v79
	v_and_b32_e32 v15, 0xf0f0f0f, v15
	v_dot4c_i32_i8_e32 v17, v3, v9
	v_dot4c_i32_i8_e32 v17, v15, v13
	s_waitcnt lgkmcnt(2)
	v_and_b32_e32 v3, 0xf0f0f0f, v82
	v_lshrrev_b32_e32 v15, 4, v82
	v_mov_b32_e32 v20, 0
	v_and_b32_e32 v15, 0xf0f0f0f, v15
	v_dot4c_i32_i8_e32 v20, v3, v6
	v_dot4c_i32_i8_e32 v20, v15, v10
	v_and_b32_e32 v3, 0xf0f0f0f, v83
	v_lshrrev_b32_e32 v15, 4, v83
	v_and_b32_e32 v15, 0xf0f0f0f, v15
	v_dot4c_i32_i8_e32 v20, v3, v7
	v_dot4c_i32_i8_e32 v20, v15, v11
	s_waitcnt lgkmcnt(1)
	v_and_b32_e32 v3, 0xf0f0f0f, v122
	v_lshrrev_b32_e32 v15, 4, v122
	v_and_b32_e32 v15, 0xf0f0f0f, v15
	v_dot4c_i32_i8_e32 v20, v3, v8
	v_dot4c_i32_i8_e32 v20, v15, v12
	v_and_b32_e32 v3, 0xf0f0f0f, v123
	v_lshrrev_b32_e32 v15, 4, v123
	v_and_b32_e32 v15, 0xf0f0f0f, v15
	v_dot4c_i32_i8_e32 v20, v3, v9
	v_dot4c_i32_i8_e32 v20, v15, v13
	s_waitcnt lgkmcnt(0)
	v_and_b32_e32 v3, 0xf0f0f0f, v124
	v_lshrrev_b32_e32 v15, 4, v124
	v_and_b32_e32 v15, 0xf0f0f0f, v15
	v_cvt_f32_i32_e32 v21, v20
	v_cvt_f32_i32_e32 v20, v17
	v_mov_b32_e32 v17, 0
	v_dot4c_i32_i8_e32 v17, v3, v6
	v_dot4c_i32_i8_e32 v17, v15, v10
	v_and_b32_e32 v3, 0xf0f0f0f, v125
	v_dot4c_i32_i8_e32 v17, v3, v7
	v_add_u32_e32 v3, 0x2118, v105
	ds_read2_b32 v[76:77], v3 offset1:1
	v_lshrrev_b32_e32 v15, 4, v125
	v_and_b32_e32 v15, 0xf0f0f0f, v15
	v_dot4c_i32_i8_e32 v17, v15, v11
	v_add_u32_e32 v15, 0x3190, v105
	v_add_u32_e32 v82, 0x3198, v105
	;; [unrolled: 1-line block ×3, first 2 shown]
	ds_read2_b32 v[78:79], v15 offset1:1
	ds_read2_b32 v[82:83], v82 offset1:1
	;; [unrolled: 1-line block ×3, first 2 shown]
	s_waitcnt lgkmcnt(3)
	v_and_b32_e32 v3, 0xf0f0f0f, v76
	v_lshrrev_b32_e32 v15, 4, v76
	v_and_b32_e32 v15, 0xf0f0f0f, v15
	v_dot4c_i32_i8_e32 v17, v3, v8
	v_dot4c_i32_i8_e32 v17, v15, v12
	v_and_b32_e32 v3, 0xf0f0f0f, v77
	v_lshrrev_b32_e32 v15, 4, v77
	v_and_b32_e32 v15, 0xf0f0f0f, v15
	v_dot4c_i32_i8_e32 v17, v3, v9
	v_dot4c_i32_i8_e32 v17, v15, v13
	s_waitcnt lgkmcnt(2)
	v_and_b32_e32 v3, 0xf0f0f0f, v78
	v_lshrrev_b32_e32 v15, 4, v78
	v_mov_b32_e32 v76, 0
	v_and_b32_e32 v15, 0xf0f0f0f, v15
	v_dot4c_i32_i8_e32 v76, v3, v6
	v_dot4c_i32_i8_e32 v76, v15, v10
	v_and_b32_e32 v3, 0xf0f0f0f, v79
	v_lshrrev_b32_e32 v6, 4, v79
	v_and_b32_e32 v6, 0xf0f0f0f, v6
	v_dot4c_i32_i8_e32 v76, v3, v7
	v_dot4c_i32_i8_e32 v76, v6, v11
	s_waitcnt lgkmcnt(1)
	v_and_b32_e32 v3, 0xf0f0f0f, v82
	v_lshrrev_b32_e32 v6, 4, v82
	v_and_b32_e32 v6, 0xf0f0f0f, v6
	v_dot4c_i32_i8_e32 v76, v3, v8
	v_dot4c_i32_i8_e32 v76, v6, v12
	v_and_b32_e32 v3, 0xf0f0f0f, v83
	v_lshrrev_b32_e32 v6, 4, v83
	v_dot4c_i32_i8_e32 v76, v3, v9
	v_cvt_f32_f16_sdwa v3, v4 dst_sel:DWORD dst_unused:UNUSED_PAD src0_sel:WORD_1
	v_cvt_f32_i32_e32 v18, v126
	v_and_b32_e32 v6, 0xf0f0f0f, v6
	ds_read_b128 v[122:125], v103 offset:64
	ds_read_b128 v[126:129], v103 offset:80
	v_dot4c_i32_i8_e32 v76, v6, v13
	v_mul_f32_e32 v8, 0x41000000, v3
	v_and_b32_e32 v3, 0xf0f0f0f, v80
	v_lshrrev_b32_e32 v9, 4, v80
	v_cvt_f32_i32_e32 v7, v76
	ds_read2_b32 v[10:11], v108 offset1:1
	ds_read2_b32 v[76:77], v107 offset0:2 offset1:3
	ds_read2_b32 v[82:83], v107 offset1:1
	ds_read2_b32 v[78:79], v106 offset0:2 offset1:3
	ds_read2_b32 v[12:13], v105 offset0:10 offset1:11
	v_mov_b32_e32 v15, 0
	v_and_b32_e32 v9, 0xf0f0f0f, v9
	s_waitcnt lgkmcnt(6)
	v_dot4c_i32_i8_e32 v15, v3, v122
	s_waitcnt lgkmcnt(5)
	v_dot4c_i32_i8_e32 v15, v9, v126
	v_and_b32_e32 v3, 0xf0f0f0f, v81
	v_lshrrev_b32_e32 v9, 4, v81
	v_and_b32_e32 v9, 0xf0f0f0f, v9
	v_dot4c_i32_i8_e32 v15, v3, v123
	v_dot4c_i32_i8_e32 v15, v9, v127
	s_waitcnt lgkmcnt(0)
	v_and_b32_e32 v3, 0xf0f0f0f, v12
	v_lshrrev_b32_e32 v9, 4, v12
	v_and_b32_e32 v9, 0xf0f0f0f, v9
	v_dot4c_i32_i8_e32 v15, v3, v124
	v_dot4c_i32_i8_e32 v15, v9, v128
	v_and_b32_e32 v3, 0xf0f0f0f, v13
	v_lshrrev_b32_e32 v9, 4, v13
	v_and_b32_e32 v9, 0xf0f0f0f, v9
	v_dot4c_i32_i8_e32 v15, v3, v125
	v_cvt_f32_i32_e32 v6, v17
	v_dot4c_i32_i8_e32 v15, v9, v129
	v_and_b32_e32 v3, 0xf0f0f0f, v130
	v_lshrrev_b32_e32 v9, 4, v130
	v_mov_b32_e32 v17, 0
	v_and_b32_e32 v9, 0xf0f0f0f, v9
	v_dot4c_i32_i8_e32 v17, v3, v122
	v_dot4c_i32_i8_e32 v17, v9, v126
	v_and_b32_e32 v3, 0xf0f0f0f, v131
	v_dot4c_i32_i8_e32 v17, v3, v123
	v_add_u32_e32 v3, 0x10a8, v105
	ds_read2_b32 v[132:133], v105 offset0:12 offset1:13
	ds_read2_b32 v[134:135], v106 offset1:1
	ds_read2_b32 v[136:137], v105 offset0:14 offset1:15
	ds_read2_b32 v[12:13], v3 offset1:1
	v_lshrrev_b32_e32 v9, 4, v131
	v_and_b32_e32 v9, 0xf0f0f0f, v9
	v_dot4c_i32_i8_e32 v17, v9, v127
	v_add_u32_e32 v9, 0x2120, v105
	v_add_u32_e32 v3, 0x31a0, v105
	;; [unrolled: 1-line block ×3, first 2 shown]
	ds_read2_b32 v[130:131], v9 offset1:1
	ds_read2_b32 v[138:139], v80 offset1:1
	;; [unrolled: 1-line block ×3, first 2 shown]
	s_waitcnt lgkmcnt(3)
	v_and_b32_e32 v3, 0xf0f0f0f, v12
	v_lshrrev_b32_e32 v9, 4, v12
	v_and_b32_e32 v9, 0xf0f0f0f, v9
	v_dot4c_i32_i8_e32 v17, v3, v124
	v_dot4c_i32_i8_e32 v17, v9, v128
	v_and_b32_e32 v3, 0xf0f0f0f, v13
	v_lshrrev_b32_e32 v9, 4, v13
	v_and_b32_e32 v9, 0xf0f0f0f, v9
	v_dot4c_i32_i8_e32 v17, v3, v125
	v_cvt_f32_i32_e32 v19, v121
	v_dot4c_i32_i8_e32 v17, v9, v129
	s_waitcnt lgkmcnt(2)
	v_and_b32_e32 v3, 0xf0f0f0f, v130
	v_lshrrev_b32_e32 v9, 4, v130
	v_mov_b32_e32 v121, 0
	v_and_b32_e32 v9, 0xf0f0f0f, v9
	v_dot4c_i32_i8_e32 v121, v3, v122
	v_dot4c_i32_i8_e32 v121, v9, v126
	v_and_b32_e32 v3, 0xf0f0f0f, v131
	v_lshrrev_b32_e32 v9, 4, v131
	v_and_b32_e32 v9, 0xf0f0f0f, v9
	v_dot4c_i32_i8_e32 v121, v3, v123
	v_dot4c_i32_i8_e32 v121, v9, v127
	s_waitcnt lgkmcnt(1)
	v_and_b32_e32 v3, 0xf0f0f0f, v138
	v_lshrrev_b32_e32 v9, 4, v138
	v_and_b32_e32 v9, 0xf0f0f0f, v9
	v_dot4c_i32_i8_e32 v121, v3, v124
	v_dot4c_i32_i8_e32 v121, v9, v128
	v_and_b32_e32 v3, 0xf0f0f0f, v139
	v_lshrrev_b32_e32 v9, 4, v139
	v_and_b32_e32 v9, 0xf0f0f0f, v9
	v_dot4c_i32_i8_e32 v121, v3, v125
	v_dot4c_i32_i8_e32 v121, v9, v129
	s_waitcnt lgkmcnt(0)
	v_and_b32_e32 v3, 0xf0f0f0f, v140
	v_lshrrev_b32_e32 v9, 4, v140
	v_and_b32_e32 v9, 0xf0f0f0f, v9
	v_dot4c_i32_i8_e32 v143, v3, v122
	v_dot4c_i32_i8_e32 v143, v9, v126
	v_and_b32_e32 v3, 0xf0f0f0f, v141
	v_dot4c_i32_i8_e32 v143, v3, v123
	v_add_u32_e32 v3, 0x31a8, v105
	ds_read2_b32 v[80:81], v109 offset1:1
	ds_read2_b32 v[12:13], v108 offset0:2 offset1:3
	ds_read2_b32 v[122:123], v3 offset1:1
	v_lshrrev_b32_e32 v9, 4, v141
	v_and_b32_e32 v9, 0xf0f0f0f, v9
	v_dot4c_i32_i8_e32 v143, v9, v127
	v_add_u32_e32 v9, 0x10b0, v105
	v_add_u32_e32 v3, 0x2130, v105
	;; [unrolled: 1-line block ×3, first 2 shown]
	ds_read2_b32 v[130:131], v9 offset1:1
	ds_read2_b32 v[138:139], v126 offset1:1
	;; [unrolled: 1-line block ×3, first 2 shown]
	s_waitcnt lgkmcnt(3)
	v_and_b32_e32 v3, 0xf0f0f0f, v122
	v_lshrrev_b32_e32 v9, 4, v122
	v_and_b32_e32 v9, 0xf0f0f0f, v9
	v_dot4c_i32_i8_e32 v143, v3, v124
	v_dot4c_i32_i8_e32 v143, v9, v128
	v_and_b32_e32 v3, 0xf0f0f0f, v123
	v_lshrrev_b32_e32 v9, 4, v123
	v_and_b32_e32 v9, 0xf0f0f0f, v9
	v_dot4c_i32_i8_e32 v143, v3, v125
	v_cvt_f32_f16_sdwa v3, v5 dst_sel:DWORD dst_unused:UNUSED_PAD src0_sel:WORD_1
	v_dot4c_i32_i8_e32 v143, v9, v129
	ds_read_b128 v[122:125], v103 offset:96
	ds_read_b128 v[126:129], v103 offset:112
	v_lshrrev_b32_e32 v5, 4, v132
	v_mul_f32_e32 v144, 0x41000000, v3
	v_and_b32_e32 v3, 0xf0f0f0f, v132
	v_mov_b32_e32 v9, 0
	v_and_b32_e32 v5, 0xf0f0f0f, v5
	s_waitcnt lgkmcnt(1)
	v_dot4c_i32_i8_e32 v9, v3, v122
	s_waitcnt lgkmcnt(0)
	v_dot4c_i32_i8_e32 v9, v5, v126
	v_and_b32_e32 v3, 0xf0f0f0f, v133
	v_lshrrev_b32_e32 v5, 4, v133
	v_and_b32_e32 v5, 0xf0f0f0f, v5
	v_dot4c_i32_i8_e32 v9, v3, v123
	v_dot4c_i32_i8_e32 v9, v5, v127
	v_and_b32_e32 v3, 0xf0f0f0f, v136
	v_lshrrev_b32_e32 v5, 4, v136
	v_and_b32_e32 v5, 0xf0f0f0f, v5
	v_dot4c_i32_i8_e32 v9, v3, v124
	v_dot4c_i32_i8_e32 v9, v5, v128
	v_and_b32_e32 v3, 0xf0f0f0f, v137
	v_lshrrev_b32_e32 v5, 4, v137
	v_and_b32_e32 v5, 0xf0f0f0f, v5
	v_dot4c_i32_i8_e32 v9, v3, v125
	v_dot4c_i32_i8_e32 v9, v5, v129
	v_and_b32_e32 v3, 0xf0f0f0f, v130
	v_lshrrev_b32_e32 v5, 4, v130
	v_mov_b32_e32 v132, 0
	v_and_b32_e32 v5, 0xf0f0f0f, v5
	v_dot4c_i32_i8_e32 v132, v3, v122
	v_cvt_f32_f16_e32 v2, v2
	v_dot4c_i32_i8_e32 v132, v5, v126
	v_and_b32_e32 v3, 0xf0f0f0f, v131
	v_lshrrev_b32_e32 v5, 4, v131
	v_and_b32_e32 v5, 0xf0f0f0f, v5
	v_dot4c_i32_i8_e32 v132, v3, v123
	v_dot4c_i32_i8_e32 v132, v5, v127
	v_and_b32_e32 v3, 0xf0f0f0f, v138
	v_mul_f32_e32 v70, 0x41000000, v70
	v_dot4c_i32_i8_e32 v132, v3, v124
	v_and_b32_e32 v3, 0xf0f0f0f, v139
	v_lshrrev_b32_e32 v5, 4, v138
	v_pk_fma_f32 v[74:75], v[2:3], v[74:75], v[70:71] op_sel_hi:[0,1,0] neg_lo:[0,0,1] neg_hi:[0,0,1]
	v_mov_b32_e32 v130, v134
	v_mov_b32_e32 v131, v82
	v_cvt_f32_f16_e32 v4, v4
	v_and_b32_e32 v5, 0xf0f0f0f, v5
	v_pk_fma_f32 v[60:61], v[130:131], v[74:75], v[60:61]
	v_cvt_f32_i32_e32 v75, v17
	v_cvt_f32_i32_e32 v74, v15
	v_dot4c_i32_i8_e32 v132, v5, v128
	v_lshrrev_b32_e32 v5, 4, v139
	v_and_b32_e32 v5, 0xf0f0f0f, v5
	v_dot4c_i32_i8_e32 v132, v3, v125
	v_dot4c_i32_i8_e32 v132, v5, v129
	v_pk_fma_f32 v[20:21], v[14:15], v[20:21], v[16:17] op_sel_hi:[0,1,0] neg_lo:[0,0,1] neg_hi:[0,0,1]
	v_mov_b32_e32 v82, v135
	v_pk_fma_f32 v[20:21], v[82:83], v[20:21], v[60:61]
	v_pk_fma_f32 v[60:61], v[4:5], v[74:75], v[8:9] op_sel_hi:[0,1,0] neg_lo:[0,0,1] neg_hi:[0,0,1]
	v_cvt_f32_i32_e32 v75, v132
	v_cvt_f32_i32_e32 v74, v9
	v_and_b32_e32 v3, 0xf0f0f0f, v140
	v_lshrrev_b32_e32 v5, 4, v140
	v_mov_b32_e32 v9, 0
	v_and_b32_e32 v5, 0xf0f0f0f, v5
	v_dot4c_i32_i8_e32 v9, v3, v122
	v_mov_b32_e32 v82, v78
	v_mov_b32_e32 v83, v76
	v_dot4c_i32_i8_e32 v9, v5, v126
	v_and_b32_e32 v3, 0xf0f0f0f, v141
	v_pk_fma_f32 v[20:21], v[82:83], v[60:61], v[20:21]
	v_pk_fma_f32 v[60:61], v[142:143], v[74:75], v[144:145] op_sel_hi:[0,1,0] neg_lo:[0,0,1] neg_hi:[0,0,1]
	v_mov_b32_e32 v76, v79
	v_dot4c_i32_i8_e32 v9, v3, v123
	v_add_u32_e32 v3, 0x2138, v105
	v_pk_fma_f32 v[60:61], v[76:77], v[60:61], v[20:21]
	ds_read2_b32 v[20:21], v3 offset1:1
	v_lshrrev_b32_e32 v5, 4, v141
	v_and_b32_e32 v5, 0xf0f0f0f, v5
	v_dot4c_i32_i8_e32 v9, v5, v127
	v_add_u32_e32 v3, 0x31b0, v105
	v_add_u32_e32 v5, 0x31b8, v105
	ds_read2_b32 v[74:75], v3 offset1:1
	ds_read2_b32 v[76:77], v5 offset1:1
	s_waitcnt lgkmcnt(2)
	v_and_b32_e32 v3, 0xf0f0f0f, v20
	v_lshrrev_b32_e32 v5, 4, v20
	v_and_b32_e32 v5, 0xf0f0f0f, v5
	v_dot4c_i32_i8_e32 v9, v3, v124
	v_dot4c_i32_i8_e32 v9, v5, v128
	v_and_b32_e32 v3, 0xf0f0f0f, v21
	v_lshrrev_b32_e32 v5, 4, v21
	v_and_b32_e32 v5, 0xf0f0f0f, v5
	v_dot4c_i32_i8_e32 v9, v3, v125
	v_dot4c_i32_i8_e32 v9, v5, v129
	s_waitcnt lgkmcnt(1)
	v_and_b32_e32 v3, 0xf0f0f0f, v74
	v_lshrrev_b32_e32 v5, 4, v74
	v_mov_b32_e32 v15, 0
	v_and_b32_e32 v5, 0xf0f0f0f, v5
	v_dot4c_i32_i8_e32 v15, v3, v122
	v_dot4c_i32_i8_e32 v15, v5, v126
	v_and_b32_e32 v3, 0xf0f0f0f, v75
	v_lshrrev_b32_e32 v5, 4, v75
	v_and_b32_e32 v5, 0xf0f0f0f, v5
	v_dot4c_i32_i8_e32 v15, v3, v123
	v_dot4c_i32_i8_e32 v15, v5, v127
	s_waitcnt lgkmcnt(0)
	v_and_b32_e32 v3, 0xf0f0f0f, v76
	v_lshrrev_b32_e32 v5, 4, v76
	v_and_b32_e32 v5, 0xf0f0f0f, v5
	v_dot4c_i32_i8_e32 v15, v3, v124
	v_dot4c_i32_i8_e32 v15, v5, v128
	v_and_b32_e32 v3, 0xf0f0f0f, v77
	v_lshrrev_b32_e32 v5, 4, v77
	v_and_b32_e32 v5, 0xf0f0f0f, v5
	v_dot4c_i32_i8_e32 v15, v3, v125
	v_dot4c_i32_i8_e32 v15, v5, v129
	v_pk_fma_f32 v[2:3], v[2:3], v[18:19], v[70:71] op_sel_hi:[0,1,0] neg_lo:[0,0,1] neg_hi:[0,0,1]
	v_mov_b32_e32 v18, v10
	v_mov_b32_e32 v19, v80
	v_pk_fma_f32 v[2:3], v[18:19], v[2:3], v[58:59]
	v_cvt_f32_i32_e32 v19, v143
	v_cvt_f32_i32_e32 v18, v121
	v_pk_fma_f32 v[6:7], v[14:15], v[6:7], v[16:17] op_sel_hi:[0,1,0] neg_lo:[0,0,1] neg_hi:[0,0,1]
	v_mov_b32_e32 v80, v11
	v_pk_fma_f32 v[2:3], v[80:81], v[6:7], v[2:3]
	v_cvt_f32_i32_e32 v7, v15
	v_cvt_f32_i32_e32 v6, v9
	v_pk_fma_f32 v[4:5], v[4:5], v[18:19], v[8:9] op_sel_hi:[0,1,0] neg_lo:[0,0,1] neg_hi:[0,0,1]
	v_mov_b32_e32 v8, v12
	v_mov_b32_e32 v9, v72
	v_pk_fma_f32 v[2:3], v[8:9], v[4:5], v[2:3]
	v_pk_fma_f32 v[4:5], v[142:143], v[6:7], v[144:145] op_sel_hi:[0,1,0] neg_lo:[0,0,1] neg_hi:[0,0,1]
	v_mov_b32_e32 v72, v13
	v_pk_fma_f32 v[58:59], v[72:73], v[4:5], v[2:3]
	s_cmp_ge_i32 s19, s15
	s_barrier
	s_cbranch_scc1 .LBB177_5
; %bb.13:                               ;   in Loop: Header=BB177_6 Depth=1
	v_add_u32_e32 v2, s18, v110
	v_cmp_gt_i32_e32 vcc, s9, v2
	s_and_b64 s[20:21], s[2:3], vcc
	s_and_saveexec_b64 s[4:5], s[20:21]
	s_cbranch_execz .LBB177_15
; %bb.14:                               ;   in Loop: Header=BB177_6 Depth=1
	v_add_u32_e32 v2, s18, v112
	v_mad_i64_i32 v[2:3], s[20:21], v2, 36, v[22:23]
	global_load_dword v2, v[2:3], off offset:4
	s_waitcnt vmcnt(0)
	ds_write_b32 v101, v2
.LBB177_15:                             ;   in Loop: Header=BB177_6 Depth=1
	s_or_b64 exec, exec, s[4:5]
	s_and_saveexec_b64 s[4:5], s[0:1]
	s_cbranch_execz .LBB177_4
; %bb.16:                               ;   in Loop: Header=BB177_6 Depth=1
	v_add3_u32 v2, v71, s18, 4
	v_cmp_gt_i32_e32 vcc, s9, v2
	s_and_b64 s[20:21], s[2:3], vcc
	s_and_b64 exec, exec, s[20:21]
	s_cbranch_execz .LBB177_4
; %bb.17:                               ;   in Loop: Header=BB177_6 Depth=1
	global_load_dword v2, v[24:25], off
	s_waitcnt vmcnt(0)
	ds_write_b32 v102, v2
	s_branch .LBB177_4
.LBB177_18:
	v_mov_b32_e32 v58, v59
	v_mov_b32_e32 v61, v59
	;; [unrolled: 1-line block ×3, first 2 shown]
.LBB177_19:
	s_mul_i32 s0, s11, s8
	s_waitcnt vmcnt(0)
	v_cmp_gt_i32_e32 vcc, s0, v69
	s_and_saveexec_b64 s[0:1], vcc
	s_cbranch_execz .LBB177_28
; %bb.20:
	v_and_b32_e32 v0, 0x3ff, v0
	v_add_u32_e32 v1, s16, v0
	v_mul_lo_u32 v0, v69, s10
	v_cmp_gt_u32_e32 vcc, s10, v1
	s_and_saveexec_b64 s[0:1], vcc
	s_cbranch_execz .LBB177_22
; %bb.21:
	v_add_u32_e32 v2, v0, v1
	v_mov_b32_e32 v3, 0
	v_lshlrev_b64 v[2:3], 2, v[2:3]
	v_mov_b32_e32 v4, s13
	v_add_co_u32_e32 v2, vcc, s12, v2
	v_addc_co_u32_e32 v3, vcc, v4, v3, vcc
	global_store_dword v[2:3], v60, off
.LBB177_22:
	s_or_b64 exec, exec, s[0:1]
	v_add_u32_e32 v2, 32, v1
	v_cmp_gt_u32_e32 vcc, s10, v2
	s_and_saveexec_b64 s[0:1], vcc
	s_cbranch_execz .LBB177_24
; %bb.23:
	v_add_u32_e32 v2, v0, v2
	v_mov_b32_e32 v3, 0
	v_lshlrev_b64 v[2:3], 2, v[2:3]
	v_mov_b32_e32 v4, s13
	v_add_co_u32_e32 v2, vcc, s12, v2
	v_addc_co_u32_e32 v3, vcc, v4, v3, vcc
	global_store_dword v[2:3], v61, off
.LBB177_24:
	s_or_b64 exec, exec, s[0:1]
	v_add_u32_e32 v2, 64, v1
	;; [unrolled: 14-line block ×3, first 2 shown]
	v_cmp_gt_u32_e32 vcc, s10, v1
	s_and_b64 exec, exec, vcc
	s_cbranch_execz .LBB177_28
; %bb.27:
	v_add_u32_e32 v0, v0, v1
	v_mov_b32_e32 v1, 0
	v_lshlrev_b64 v[0:1], 2, v[0:1]
	v_mov_b32_e32 v2, s13
	v_add_co_u32_e32 v0, vcc, s12, v0
	v_addc_co_u32_e32 v1, vcc, v2, v1, vcc
	global_store_dword v[0:1], v59, off
.LBB177_28:
	s_endpgm
	.section	.rodata,"a",@progbits
	.p2align	6, 0x0
	.amdhsa_kernel _ZL8moe_q4_0IfLb0EEvPKvS1_PT_PKiS5_S5_iiiiiii
		.amdhsa_group_segment_fixed_size 22272
		.amdhsa_private_segment_fixed_size 0
		.amdhsa_kernarg_size 76
		.amdhsa_user_sgpr_count 6
		.amdhsa_user_sgpr_private_segment_buffer 1
		.amdhsa_user_sgpr_dispatch_ptr 0
		.amdhsa_user_sgpr_queue_ptr 0
		.amdhsa_user_sgpr_kernarg_segment_ptr 1
		.amdhsa_user_sgpr_dispatch_id 0
		.amdhsa_user_sgpr_flat_scratch_init 0
		.amdhsa_user_sgpr_kernarg_preload_length 0
		.amdhsa_user_sgpr_kernarg_preload_offset 0
		.amdhsa_user_sgpr_private_segment_size 0
		.amdhsa_uses_dynamic_stack 0
		.amdhsa_system_sgpr_private_segment_wavefront_offset 0
		.amdhsa_system_sgpr_workgroup_id_x 1
		.amdhsa_system_sgpr_workgroup_id_y 1
		.amdhsa_system_sgpr_workgroup_id_z 0
		.amdhsa_system_sgpr_workgroup_info 0
		.amdhsa_system_vgpr_workitem_id 1
		.amdhsa_next_free_vgpr 146
		.amdhsa_next_free_sgpr 24
		.amdhsa_accum_offset 148
		.amdhsa_reserve_vcc 1
		.amdhsa_reserve_flat_scratch 0
		.amdhsa_float_round_mode_32 0
		.amdhsa_float_round_mode_16_64 0
		.amdhsa_float_denorm_mode_32 3
		.amdhsa_float_denorm_mode_16_64 3
		.amdhsa_dx10_clamp 1
		.amdhsa_ieee_mode 1
		.amdhsa_fp16_overflow 0
		.amdhsa_tg_split 0
		.amdhsa_exception_fp_ieee_invalid_op 0
		.amdhsa_exception_fp_denorm_src 0
		.amdhsa_exception_fp_ieee_div_zero 0
		.amdhsa_exception_fp_ieee_overflow 0
		.amdhsa_exception_fp_ieee_underflow 0
		.amdhsa_exception_fp_ieee_inexact 0
		.amdhsa_exception_int_div_zero 0
	.end_amdhsa_kernel
	.section	.text._ZL8moe_q4_0IfLb0EEvPKvS1_PT_PKiS5_S5_iiiiiii,"axG",@progbits,_ZL8moe_q4_0IfLb0EEvPKvS1_PT_PKiS5_S5_iiiiiii,comdat
.Lfunc_end177:
	.size	_ZL8moe_q4_0IfLb0EEvPKvS1_PT_PKiS5_S5_iiiiiii, .Lfunc_end177-_ZL8moe_q4_0IfLb0EEvPKvS1_PT_PKiS5_S5_iiiiiii
                                        ; -- End function
	.section	.AMDGPU.csdata,"",@progbits
; Kernel info:
; codeLenInByte = 8844
; NumSgprs: 28
; NumVgprs: 146
; NumAgprs: 0
; TotalNumVgprs: 146
; ScratchSize: 0
; MemoryBound: 0
; FloatMode: 240
; IeeeMode: 1
; LDSByteSize: 22272 bytes/workgroup (compile time only)
; SGPRBlocks: 3
; VGPRBlocks: 18
; NumSGPRsForWavesPerEU: 28
; NumVGPRsForWavesPerEU: 146
; AccumOffset: 148
; Occupancy: 2
; WaveLimiterHint : 1
; COMPUTE_PGM_RSRC2:SCRATCH_EN: 0
; COMPUTE_PGM_RSRC2:USER_SGPR: 6
; COMPUTE_PGM_RSRC2:TRAP_HANDLER: 0
; COMPUTE_PGM_RSRC2:TGID_X_EN: 1
; COMPUTE_PGM_RSRC2:TGID_Y_EN: 1
; COMPUTE_PGM_RSRC2:TGID_Z_EN: 0
; COMPUTE_PGM_RSRC2:TIDIG_COMP_CNT: 1
; COMPUTE_PGM_RSRC3_GFX90A:ACCUM_OFFSET: 36
; COMPUTE_PGM_RSRC3_GFX90A:TG_SPLIT: 0
	.section	.text._ZL8moe_q4_0IfLb1EEvPKvS1_PT_PKiS5_S5_iiiiiii,"axG",@progbits,_ZL8moe_q4_0IfLb1EEvPKvS1_PT_PKiS5_S5_iiiiiii,comdat
	.globl	_ZL8moe_q4_0IfLb1EEvPKvS1_PT_PKiS5_S5_iiiiiii ; -- Begin function _ZL8moe_q4_0IfLb1EEvPKvS1_PT_PKiS5_S5_iiiiiii
	.p2align	8
	.type	_ZL8moe_q4_0IfLb1EEvPKvS1_PT_PKiS5_S5_iiiiiii,@function
_ZL8moe_q4_0IfLb1EEvPKvS1_PT_PKiS5_S5_iiiiiii: ; @_ZL8moe_q4_0IfLb1EEvPKvS1_PT_PKiS5_S5_iiiiiii
; %bb.0:
	s_load_dwordx4 s[0:3], s[4:5], 0x18
	s_mov_b32 s8, s7
	s_mov_b32 s9, 0
	s_lshl_b64 s[10:11], s[8:9], 2
	s_waitcnt lgkmcnt(0)
	s_add_u32 s2, s2, s10
	s_addc_u32 s3, s3, s11
	s_load_dword s2, s[2:3], 0x0
	s_waitcnt lgkmcnt(0)
	s_cmpk_gt_u32 s2, 0xff
	s_cbranch_scc1 .LBB178_28
; %bb.1:
	s_load_dwordx2 s[10:11], s[4:5], 0x28
	s_lshl_b32 s3, s8, 3
	s_waitcnt lgkmcnt(0)
	s_load_dword s7, s[10:11], 0x0
	s_waitcnt lgkmcnt(0)
	s_cmp_gt_u32 s3, s7
	s_cbranch_scc1 .LBB178_28
; %bb.2:
	v_bfe_u32 v1, v0, 10, 10
	v_add_u32_e32 v88, s3, v1
	v_mov_b32_e32 v89, 0
	v_lshlrev_b64 v[2:3], 2, v[88:89]
	v_mov_b32_e32 v4, s1
	v_add_co_u32_e32 v2, vcc, s0, v2
	v_addc_co_u32_e32 v3, vcc, v4, v3, vcc
	global_load_dword v65, v[2:3], off
	s_load_dwordx8 s[8:15], s[4:5], 0x30
	s_load_dwordx2 s[16:17], s[4:5], 0x10
	s_waitcnt lgkmcnt(0)
	s_lshl_b32 s15, s6, 7
	s_cmp_lt_i32 s9, 32
	s_cbranch_scc1 .LBB178_18
; %bb.3:
	s_ashr_i32 s0, s9, 31
	s_lshr_b32 s0, s0, 27
	s_add_i32 s0, s9, s0
	s_ashr_i32 s18, s0, 5
	s_ashr_i32 s0, s12, 31
	s_lshr_b32 s0, s0, 27
	s_add_i32 s0, s12, s0
	s_ashr_i32 s12, s0, 5
	s_not_b32 s0, s15
	s_mul_i32 s8, s2, s8
	s_add_i32 s2, s0, s10
	v_and_b32_e32 v67, 0x3ff, v0
	v_lshlrev_b32_e32 v2, 2, v67
	v_min_i32_e32 v3, s2, v1
	s_movk_i32 s3, 0x84
	v_mul_lo_u32 v5, v3, s18
	v_mad_u64_u32 v[22:23], s[0:1], v3, s3, v[2:3]
	v_add_u32_e32 v3, 8, v1
	v_min_i32_e32 v3, s2, v3
	v_mul_lo_u32 v7, v3, s18
	v_mad_u64_u32 v[24:25], s[0:1], v3, s3, v[2:3]
	v_add_u32_e32 v3, 16, v1
	v_min_i32_e32 v3, s2, v3
	;; [unrolled: 4-line block ×15, first 2 shown]
	v_mul_lo_u32 v21, v3, s18
	v_mad_u64_u32 v[52:53], s[0:1], v3, s3, v[2:3]
	v_lshlrev_b32_e32 v3, 2, v1
	v_lshrrev_b32_e32 v69, 3, v67
	v_add_u32_e32 v23, v69, v3
	v_min_i32_e32 v25, s2, v23
	v_ashrrev_i32_e32 v27, 31, v25
	v_lshrrev_b32_e32 v27, 30, v27
	v_and_b32_e32 v63, 7, v67
	v_mul_lo_u32 v53, v25, s18
	v_add_u32_e32 v27, v25, v27
	v_lshlrev_b32_e32 v89, 5, v25
	v_add_u32_e32 v25, 32, v23
	v_and_b32_e32 v27, -4, v27
	v_lshlrev_b32_e32 v29, 2, v63
	s_movk_i32 s3, 0x4200
	v_min_i32_e32 v25, s2, v25
	v_add3_u32 v88, v27, v29, s3
	v_ashrrev_i32_e32 v27, 31, v25
	v_lshrrev_b32_e32 v27, 30, v27
	v_mul_lo_u32 v59, v25, s18
	v_add_u32_e32 v27, v25, v27
	v_lshlrev_b32_e32 v102, 5, v25
	v_add_u32_e32 v25, 64, v23
	s_load_dwordx4 s[4:7], s[4:5], 0x0
	v_and_b32_e32 v27, -4, v27
	v_min_i32_e32 v25, s2, v25
	v_add3_u32 v93, v27, v29, s3
	v_ashrrev_i32_e32 v27, 31, v25
	v_add_u32_e32 v23, 0x60, v23
	v_lshrrev_b32_e32 v27, 30, v27
	v_min_i32_e32 v23, s2, v23
	v_mul_lo_u32 v61, v25, s18
	v_add_u32_e32 v27, v25, v27
	v_lshlrev_b32_e32 v105, 5, v25
	v_ashrrev_i32_e32 v25, 31, v23
	v_and_b32_e32 v6, 12, v2
	v_lshrrev_b32_e32 v25, 30, v25
	v_and_b32_e32 v2, 28, v2
	v_mul_lo_u32 v92, v23, s18
	v_add_u32_e32 v25, v23, v25
	v_lshlrev_b32_e32 v107, 5, v23
	v_and_b32_e32 v23, 31, v67
	s_waitcnt lgkmcnt(0)
	v_add_co_u32_e32 v54, vcc, s6, v2
	v_lshlrev_b32_e32 v2, 7, v1
	v_lshl_or_b32 v23, v23, 2, v2
	v_add_u32_e32 v71, 0x5280, v23
	v_mov_b32_e32 v23, 0x5680
	v_add_u32_e32 v75, 0x5280, v2
	v_lshl_add_u32 v77, v1, 4, v23
	v_and_b32_e32 v1, 0xfc, v67
	v_lshlrev_b32_e32 v2, 5, v67
	v_or_b32_e32 v3, v3, v67
	v_add3_u32 v81, v2, v1, s3
	v_add_u32_e32 v1, 32, v67
	v_lshl_add_u32 v73, v3, 2, v23
	v_and_b32_e32 v2, 0x1fc, v1
	v_lshlrev_b32_e32 v3, 5, v1
	v_add3_u32 v83, v3, v2, s3
	v_add_u32_e32 v2, 64, v67
	v_and_b32_e32 v3, 0x1fc, v2
	v_lshlrev_b32_e32 v2, 5, v2
	s_abs_i32 s2, s14
	v_add3_u32 v85, v2, v3, s3
	v_cvt_f32_u32_e32 v3, s2
	v_add_u32_e32 v2, 0x60, v67
	v_and_b32_e32 v23, 0x1fc, v2
	v_lshlrev_b32_e32 v2, 5, v2
	v_add3_u32 v87, v2, v23, s3
	v_rcp_iflag_f32_e32 v2, v3
	v_and_b32_e32 v27, -4, v27
	v_and_b32_e32 v25, -4, v25
	v_add3_u32 v104, v27, v29, s3
	v_mul_f32_e32 v2, 0x4f7ffffe, v2
	v_cvt_u32_f32_e32 v2, v2
	v_add3_u32 v106, v25, v29, s3
	s_sub_i32 s3, 0, s2
	s_waitcnt vmcnt(0)
	v_sub_u32_e32 v3, 0, v65
	v_mul_lo_u32 v23, s3, v2
	v_mul_hi_u32 v23, v2, v23
	v_max_i32_e32 v3, v65, v3
	v_add_u32_e32 v2, v2, v23
	v_mul_hi_u32 v2, v3, v2
	v_mov_b32_e32 v25, s7
	v_mul_lo_u32 v23, v2, s2
	v_addc_co_u32_e32 v55, vcc, 0, v25, vcc
	v_sub_u32_e32 v3, v3, v23
	v_add_u32_e32 v23, 1, v2
	v_cmp_le_u32_e32 vcc, s2, v3
	v_cndmask_b32_e32 v2, v2, v23, vcc
	v_subrev_u32_e32 v23, s2, v3
	v_cndmask_b32_e32 v3, v3, v23, vcc
	v_lshrrev_b32_e32 v91, 3, v1
	v_xor_b32_e32 v1, s14, v65
	v_add_u32_e32 v23, 1, v2
	v_cmp_le_u32_e32 vcc, s2, v3
	v_ashrrev_i32_e32 v1, 31, v1
	v_cndmask_b32_e32 v2, v2, v23, vcc
	v_xor_b32_e32 v2, v2, v1
	v_sub_u32_e32 v1, v2, v1
	v_cmp_gt_i32_e64 s[2:3], s11, v1
	v_mul_lo_u32 v1, v1, s12
	v_ashrrev_i32_e32 v2, 31, v1
	v_add_co_u32_e32 v3, vcc, v1, v67
	s_mul_i32 s19, s18, s15
	v_addc_co_u32_e32 v23, vcc, 0, v2, vcc
	v_mad_u64_u32 v[2:3], s[22:23], v3, 36, s[6:7]
	s_movk_i32 s21, 0x90
	v_mad_i32_i24 v3, v23, 36, v3
	v_add_co_u32_e32 v56, vcc, s21, v2
	s_mul_hi_i32 s21, s19, 18
	s_mul_i32 s22, s19, 18
	v_lshrrev_b32_e32 v4, 2, v67
	v_addc_co_u32_e32 v57, vcc, 0, v3, vcc
	v_mov_b32_e32 v2, s22
	v_mov_b32_e32 v3, s21
	v_mad_u64_u32 v[2:3], s[22:23], v4, 18, v[2:3]
	v_mad_i64_i32 v[4:5], s[22:23], v5, 18, v[2:3]
	v_add_u32_e32 v95, v67, v1
	v_add_u32_e32 v97, v91, v1
	;; [unrolled: 1-line block ×3, first 2 shown]
	v_add_co_u32_e32 v1, vcc, v4, v6
	v_addc_co_u32_e32 v4, vcc, 0, v5, vcc
	v_mov_b32_e32 v51, s5
	v_add_co_u32_e32 v1, vcc, s4, v1
	v_addc_co_u32_e32 v4, vcc, v4, v51, vcc
	v_add_co_u32_e32 v58, vcc, 2, v1
	v_addc_co_u32_e32 v1, vcc, 0, v4, vcc
	v_mad_i64_i32 v[4:5], s[22:23], v7, 18, v[2:3]
	v_add_co_u32_e32 v4, vcc, v4, v6
	v_addc_co_u32_e32 v5, vcc, 0, v5, vcc
	v_add_co_u32_e32 v4, vcc, s4, v4
	v_addc_co_u32_e32 v5, vcc, v5, v51, vcc
	v_add_co_u32_e32 v60, vcc, 2, v4
	v_addc_co_u32_e32 v23, vcc, 0, v5, vcc
	v_mad_i64_i32 v[4:5], s[22:23], v8, 18, v[2:3]
	v_add_co_u32_e32 v4, vcc, v4, v6
	v_addc_co_u32_e32 v5, vcc, 0, v5, vcc
	;; [unrolled: 7-line block ×15, first 2 shown]
	v_add_co_u32_e32 v2, vcc, s4, v2
	v_addc_co_u32_e32 v3, vcc, v3, v51, vcc
	v_add_co_u32_e32 v90, vcc, 2, v2
	v_addc_co_u32_e32 v51, vcc, 0, v3, vcc
	v_mad_i64_i32 v[2:3], s[22:23], v53, 18, 0
	v_mad_i64_i32 v[2:3], s[22:23], s19, 18, v[2:3]
	v_mad_u64_u32 v[2:3], s[22:23], v63, 18, v[2:3]
	v_mov_b32_e32 v4, s5
	v_add_co_u32_e32 v94, vcc, s4, v2
	v_addc_co_u32_e32 v53, vcc, v4, v3, vcc
	v_mad_i64_i32 v[2:3], s[22:23], v59, 18, 0
	v_mad_i64_i32 v[2:3], s[22:23], s19, 18, v[2:3]
	v_mad_u64_u32 v[2:3], s[22:23], v63, 18, v[2:3]
	v_add_co_u32_e32 v96, vcc, s4, v2
	v_addc_co_u32_e32 v59, vcc, v4, v3, vcc
	v_mad_i64_i32 v[2:3], s[22:23], v61, 18, 0
	v_mad_i64_i32 v[2:3], s[22:23], s19, 18, v[2:3]
	v_mad_u64_u32 v[2:3], s[22:23], v63, 18, v[2:3]
	;; [unrolled: 5-line block ×3, first 2 shown]
	s_ashr_i32 s20, s8, 31
	v_mul_u32_u24_e32 v79, 0x84, v67
	v_add_co_u32_e32 v100, vcc, s4, v2
	v_mov_b32_e32 v92, 0
	s_mov_b32 s10, 0
	v_cmp_gt_u32_e64 s[0:1], 4, v67
	v_addc_co_u32_e32 v63, vcc, v4, v3, vcc
	s_movk_i32 s19, 0x80
	v_add_u32_e32 v101, v88, v89
	v_add_u32_e32 v103, v93, v102
	;; [unrolled: 1-line block ×4, first 2 shown]
	v_mov_b32_e32 v118, s20
	v_add_u32_e32 v119, 0x1080, v79
	v_mov_b32_e32 v93, v92
	v_mov_b32_e32 v88, v92
	;; [unrolled: 1-line block ×3, first 2 shown]
	s_branch .LBB178_6
.LBB178_4:                              ;   in Loop: Header=BB178_6 Depth=1
	s_or_b64 exec, exec, s[4:5]
	s_waitcnt lgkmcnt(0)
	s_barrier
	ds_read_b128 v[2:5], v77
	ds_read_b128 v[14:17], v75
	ds_read_b128 v[18:21], v75 offset:16
	ds_read2_b32 v[104:105], v79 offset0:16 offset1:17
	v_mov_b32_e32 v112, 0
	ds_read_b128 v[6:9], v75 offset:32
	ds_read_b128 v[10:13], v75 offset:48
	v_mov_b32_e32 v139, 0
	v_add_u32_e32 v120, 0x2140, v79
	s_waitcnt lgkmcnt(2)
	v_and_b32_e32 v106, 0xf0f0f0f, v104
	v_lshrrev_b32_e32 v104, 4, v104
	v_and_b32_e32 v104, 0xf0f0f0f, v104
	v_dot4c_i32_i8_e32 v112, v106, v14
	v_dot4c_i32_i8_e32 v112, v104, v18
	v_and_b32_e32 v104, 0xf0f0f0f, v105
	v_lshrrev_b32_e32 v105, 4, v105
	v_and_b32_e32 v106, 0xf0f0f0f, v105
	v_dot4c_i32_i8_e32 v112, v104, v15
	ds_read2_b32 v[104:105], v79 offset0:18 offset1:19
	v_dot4c_i32_i8_e32 v112, v106, v19
	ds_read2_b32 v[106:107], v79 offset0:20 offset1:21
	ds_read2_b32 v[108:109], v79 offset0:22 offset1:23
	;; [unrolled: 1-line block ×3, first 2 shown]
	v_add_u32_e32 v122, 0x2148, v79
	v_mov_b32_e32 v140, 0
	s_waitcnt lgkmcnt(3)
	v_and_b32_e32 v113, 0xf0f0f0f, v104
	v_dot4c_i32_i8_e32 v112, v113, v16
	v_add_u32_e32 v113, 0x10c0, v79
	ds_read2_b32 v[114:115], v113 offset1:1
	v_lshrrev_b32_e32 v104, 4, v104
	v_and_b32_e32 v104, 0xf0f0f0f, v104
	v_dot4c_i32_i8_e32 v112, v104, v20
	v_and_b32_e32 v104, 0xf0f0f0f, v105
	v_lshrrev_b32_e32 v105, 4, v105
	v_and_b32_e32 v105, 0xf0f0f0f, v105
	v_dot4c_i32_i8_e32 v112, v104, v17
	v_dot4c_i32_i8_e32 v112, v105, v21
	ds_read2_b32 v[104:105], v87 offset0:6 offset1:7
	s_waitcnt lgkmcnt(1)
	v_and_b32_e32 v113, 0xf0f0f0f, v114
	v_lshrrev_b32_e32 v114, 4, v114
	v_and_b32_e32 v114, 0xf0f0f0f, v114
	v_dot4c_i32_i8_e32 v139, v113, v14
	v_dot4c_i32_i8_e32 v139, v114, v18
	v_and_b32_e32 v113, 0xf0f0f0f, v115
	v_lshrrev_b32_e32 v114, 4, v115
	v_and_b32_e32 v114, 0xf0f0f0f, v114
	v_dot4c_i32_i8_e32 v139, v113, v15
	v_add_u32_e32 v113, 0x10c8, v79
	v_dot4c_i32_i8_e32 v139, v114, v19
	ds_read2_b32 v[114:115], v113 offset1:1
	v_add_u32_e32 v113, 0x31c0, v79
	ds_read2_b32 v[120:121], v120 offset1:1
	ds_read2_b32 v[122:123], v122 offset1:1
	;; [unrolled: 1-line block ×3, first 2 shown]
	v_mov_b32_e32 v141, 0
	v_mov_b32_e32 v142, 0
	s_waitcnt lgkmcnt(3)
	v_and_b32_e32 v113, 0xf0f0f0f, v114
	v_lshrrev_b32_e32 v114, 4, v114
	v_and_b32_e32 v114, 0xf0f0f0f, v114
	v_dot4c_i32_i8_e32 v139, v113, v16
	v_dot4c_i32_i8_e32 v139, v114, v20
	v_and_b32_e32 v113, 0xf0f0f0f, v115
	v_lshrrev_b32_e32 v114, 4, v115
	v_and_b32_e32 v114, 0xf0f0f0f, v114
	v_dot4c_i32_i8_e32 v139, v113, v17
	s_waitcnt lgkmcnt(2)
	v_lshrrev_b32_e32 v113, 4, v120
	v_dot4c_i32_i8_e32 v139, v114, v21
	v_and_b32_e32 v114, 0xf0f0f0f, v120
	v_and_b32_e32 v115, 0xf0f0f0f, v113
	v_mov_b32_e32 v113, 0
	v_dot4c_i32_i8_e32 v113, v114, v14
	v_dot4c_i32_i8_e32 v113, v115, v18
	v_and_b32_e32 v114, 0xf0f0f0f, v121
	v_lshrrev_b32_e32 v115, 4, v121
	v_and_b32_e32 v115, 0xf0f0f0f, v115
	v_dot4c_i32_i8_e32 v113, v114, v15
	v_dot4c_i32_i8_e32 v113, v115, v19
	s_waitcnt lgkmcnt(1)
	v_and_b32_e32 v114, 0xf0f0f0f, v122
	v_lshrrev_b32_e32 v115, 4, v122
	v_and_b32_e32 v115, 0xf0f0f0f, v115
	v_dot4c_i32_i8_e32 v113, v114, v16
	v_dot4c_i32_i8_e32 v113, v115, v20
	v_and_b32_e32 v114, 0xf0f0f0f, v123
	v_lshrrev_b32_e32 v115, 4, v123
	v_and_b32_e32 v115, 0xf0f0f0f, v115
	v_dot4c_i32_i8_e32 v113, v114, v17
	s_waitcnt lgkmcnt(0)
	v_lshrrev_b32_e32 v114, 4, v124
	v_dot4c_i32_i8_e32 v113, v115, v21
	v_and_b32_e32 v115, 0xf0f0f0f, v124
	v_and_b32_e32 v120, 0xf0f0f0f, v114
	v_mov_b32_e32 v114, 0
	v_dot4c_i32_i8_e32 v114, v115, v14
	v_dot4c_i32_i8_e32 v114, v120, v18
	v_and_b32_e32 v14, 0xf0f0f0f, v125
	v_dot4c_i32_i8_e32 v114, v14, v15
	v_add_u32_e32 v14, 0x31c8, v79
	ds_read2_b32 v[14:15], v14 offset1:1
	v_lshrrev_b32_e32 v18, 4, v125
	v_and_b32_e32 v18, 0xf0f0f0f, v18
	v_dot4c_i32_i8_e32 v114, v18, v19
	v_add_u32_e32 v18, 0x10d0, v79
	v_add_u32_e32 v115, 0x10d8, v79
	;; [unrolled: 1-line block ×3, first 2 shown]
	ds_read2_b32 v[18:19], v18 offset1:1
	ds_read2_b32 v[120:121], v115 offset1:1
	;; [unrolled: 1-line block ×3, first 2 shown]
	s_waitcnt lgkmcnt(3)
	v_and_b32_e32 v115, 0xf0f0f0f, v14
	v_lshrrev_b32_e32 v14, 4, v14
	v_and_b32_e32 v14, 0xf0f0f0f, v14
	v_dot4c_i32_i8_e32 v114, v115, v16
	v_dot4c_i32_i8_e32 v114, v14, v20
	v_and_b32_e32 v14, 0xf0f0f0f, v15
	v_lshrrev_b32_e32 v15, 4, v15
	v_and_b32_e32 v15, 0xf0f0f0f, v15
	v_dot4c_i32_i8_e32 v114, v14, v17
	v_cvt_f32_f16_sdwa v16, v3 dst_sel:DWORD dst_unused:UNUSED_PAD src0_sel:WORD_1
	v_dot4c_i32_i8_e32 v114, v15, v21
	v_cvt_f32_f16_e32 v14, v3
	v_and_b32_e32 v3, 0xf0f0f0f, v106
	v_lshrrev_b32_e32 v15, 4, v106
	v_mov_b32_e32 v17, 0
	v_and_b32_e32 v15, 0xf0f0f0f, v15
	v_dot4c_i32_i8_e32 v17, v3, v6
	v_dot4c_i32_i8_e32 v17, v15, v10
	v_and_b32_e32 v3, 0xf0f0f0f, v107
	v_lshrrev_b32_e32 v15, 4, v107
	v_and_b32_e32 v15, 0xf0f0f0f, v15
	v_dot4c_i32_i8_e32 v17, v3, v7
	v_dot4c_i32_i8_e32 v17, v15, v11
	v_and_b32_e32 v3, 0xf0f0f0f, v108
	v_lshrrev_b32_e32 v15, 4, v108
	;; [unrolled: 5-line block ×3, first 2 shown]
	v_and_b32_e32 v15, 0xf0f0f0f, v15
	v_dot4c_i32_i8_e32 v17, v3, v9
	v_dot4c_i32_i8_e32 v17, v15, v13
	s_waitcnt lgkmcnt(2)
	v_and_b32_e32 v3, 0xf0f0f0f, v18
	v_lshrrev_b32_e32 v15, 4, v18
	v_mov_b32_e32 v115, 0
	v_and_b32_e32 v15, 0xf0f0f0f, v15
	v_dot4c_i32_i8_e32 v115, v3, v6
	v_dot4c_i32_i8_e32 v115, v15, v10
	v_and_b32_e32 v3, 0xf0f0f0f, v19
	v_lshrrev_b32_e32 v15, 4, v19
	v_and_b32_e32 v15, 0xf0f0f0f, v15
	v_dot4c_i32_i8_e32 v115, v3, v7
	v_dot4c_i32_i8_e32 v115, v15, v11
	s_waitcnt lgkmcnt(1)
	v_and_b32_e32 v3, 0xf0f0f0f, v120
	v_lshrrev_b32_e32 v15, 4, v120
	v_and_b32_e32 v15, 0xf0f0f0f, v15
	v_dot4c_i32_i8_e32 v115, v3, v8
	v_dot4c_i32_i8_e32 v115, v15, v12
	v_and_b32_e32 v3, 0xf0f0f0f, v121
	v_lshrrev_b32_e32 v15, 4, v121
	v_and_b32_e32 v15, 0xf0f0f0f, v15
	v_dot4c_i32_i8_e32 v115, v3, v9
	v_dot4c_i32_i8_e32 v115, v15, v13
	s_waitcnt lgkmcnt(0)
	v_and_b32_e32 v3, 0xf0f0f0f, v122
	v_lshrrev_b32_e32 v15, 4, v122
	v_and_b32_e32 v15, 0xf0f0f0f, v15
	v_dot4c_i32_i8_e32 v140, v3, v6
	v_dot4c_i32_i8_e32 v140, v15, v10
	v_and_b32_e32 v3, 0xf0f0f0f, v123
	v_dot4c_i32_i8_e32 v140, v3, v7
	v_add_u32_e32 v3, 0x2158, v79
	ds_read2_b32 v[18:19], v3 offset1:1
	v_lshrrev_b32_e32 v15, 4, v123
	v_and_b32_e32 v15, 0xf0f0f0f, v15
	v_dot4c_i32_i8_e32 v140, v15, v11
	v_add_u32_e32 v15, 0x31d0, v79
	v_add_u32_e32 v106, 0x31d8, v79
	;; [unrolled: 1-line block ×3, first 2 shown]
	ds_read2_b32 v[20:21], v15 offset1:1
	ds_read2_b32 v[106:107], v106 offset1:1
	;; [unrolled: 1-line block ×3, first 2 shown]
	s_waitcnt lgkmcnt(3)
	v_and_b32_e32 v3, 0xf0f0f0f, v18
	v_lshrrev_b32_e32 v15, 4, v18
	v_and_b32_e32 v15, 0xf0f0f0f, v15
	v_dot4c_i32_i8_e32 v140, v3, v8
	v_dot4c_i32_i8_e32 v140, v15, v12
	v_and_b32_e32 v3, 0xf0f0f0f, v19
	v_lshrrev_b32_e32 v15, 4, v19
	v_and_b32_e32 v15, 0xf0f0f0f, v15
	v_dot4c_i32_i8_e32 v140, v3, v9
	v_dot4c_i32_i8_e32 v140, v15, v13
	s_waitcnt lgkmcnt(2)
	v_and_b32_e32 v3, 0xf0f0f0f, v20
	v_lshrrev_b32_e32 v15, 4, v20
	v_and_b32_e32 v15, 0xf0f0f0f, v15
	v_dot4c_i32_i8_e32 v141, v3, v6
	v_dot4c_i32_i8_e32 v141, v15, v10
	v_and_b32_e32 v3, 0xf0f0f0f, v21
	v_lshrrev_b32_e32 v6, 4, v21
	v_and_b32_e32 v6, 0xf0f0f0f, v6
	v_dot4c_i32_i8_e32 v141, v3, v7
	v_dot4c_i32_i8_e32 v141, v6, v11
	s_waitcnt lgkmcnt(1)
	v_and_b32_e32 v3, 0xf0f0f0f, v106
	v_lshrrev_b32_e32 v6, 4, v106
	v_and_b32_e32 v6, 0xf0f0f0f, v6
	v_dot4c_i32_i8_e32 v141, v3, v8
	v_dot4c_i32_i8_e32 v141, v6, v12
	v_and_b32_e32 v3, 0xf0f0f0f, v107
	v_dot4c_i32_i8_e32 v141, v3, v9
	v_cvt_f32_f16_sdwa v3, v4 dst_sel:DWORD dst_unused:UNUSED_PAD src0_sel:WORD_1
	ds_read_b128 v[120:123], v75 offset:64
	ds_read_b128 v[124:127], v75 offset:80
	v_lshrrev_b32_e32 v6, 4, v107
	v_and_b32_e32 v6, 0xf0f0f0f, v6
	ds_read2_b32 v[8:9], v85 offset0:4 offset1:5
	ds_read2_b32 v[18:19], v83 offset0:6 offset1:7
	;; [unrolled: 1-line block ×5, first 2 shown]
	v_dot4c_i32_i8_e32 v141, v6, v13
	v_mul_f32_e32 v6, 0x41000000, v3
	v_and_b32_e32 v3, 0xf0f0f0f, v110
	v_lshrrev_b32_e32 v7, 4, v110
	v_mov_b32_e32 v15, 0
	v_and_b32_e32 v7, 0xf0f0f0f, v7
	s_waitcnt lgkmcnt(6)
	v_dot4c_i32_i8_e32 v15, v3, v120
	s_waitcnt lgkmcnt(5)
	v_dot4c_i32_i8_e32 v15, v7, v124
	v_and_b32_e32 v3, 0xf0f0f0f, v111
	v_lshrrev_b32_e32 v7, 4, v111
	v_and_b32_e32 v7, 0xf0f0f0f, v7
	v_dot4c_i32_i8_e32 v15, v3, v121
	v_dot4c_i32_i8_e32 v15, v7, v125
	s_waitcnt lgkmcnt(0)
	v_and_b32_e32 v3, 0xf0f0f0f, v10
	v_lshrrev_b32_e32 v7, 4, v10
	v_and_b32_e32 v7, 0xf0f0f0f, v7
	v_dot4c_i32_i8_e32 v15, v3, v122
	v_dot4c_i32_i8_e32 v15, v7, v126
	v_and_b32_e32 v3, 0xf0f0f0f, v11
	v_lshrrev_b32_e32 v7, 4, v11
	v_and_b32_e32 v7, 0xf0f0f0f, v7
	v_dot4c_i32_i8_e32 v15, v3, v123
	v_dot4c_i32_i8_e32 v15, v7, v127
	v_and_b32_e32 v3, 0xf0f0f0f, v108
	v_lshrrev_b32_e32 v7, 4, v108
	v_and_b32_e32 v7, 0xf0f0f0f, v7
	v_dot4c_i32_i8_e32 v142, v3, v120
	v_dot4c_i32_i8_e32 v142, v7, v124
	v_and_b32_e32 v3, 0xf0f0f0f, v109
	v_dot4c_i32_i8_e32 v142, v3, v121
	v_add_u32_e32 v3, 0x10e8, v79
	ds_read2_b32 v[128:129], v79 offset0:28 offset1:29
	ds_read2_b32 v[130:131], v81 offset0:4 offset1:5
	;; [unrolled: 1-line block ×3, first 2 shown]
	ds_read2_b32 v[10:11], v3 offset1:1
	v_lshrrev_b32_e32 v7, 4, v109
	v_and_b32_e32 v7, 0xf0f0f0f, v7
	v_dot4c_i32_i8_e32 v142, v7, v125
	v_add_u32_e32 v7, 0x2160, v79
	v_add_u32_e32 v3, 0x31e0, v79
	;; [unrolled: 1-line block ×3, first 2 shown]
	ds_read2_b32 v[108:109], v7 offset1:1
	ds_read2_b32 v[110:111], v12 offset1:1
	;; [unrolled: 1-line block ×3, first 2 shown]
	s_waitcnt lgkmcnt(3)
	v_and_b32_e32 v3, 0xf0f0f0f, v10
	v_lshrrev_b32_e32 v7, 4, v10
	v_and_b32_e32 v7, 0xf0f0f0f, v7
	v_dot4c_i32_i8_e32 v142, v3, v122
	v_dot4c_i32_i8_e32 v142, v7, v126
	v_and_b32_e32 v3, 0xf0f0f0f, v11
	v_lshrrev_b32_e32 v7, 4, v11
	v_and_b32_e32 v7, 0xf0f0f0f, v7
	v_dot4c_i32_i8_e32 v142, v3, v123
	v_dot4c_i32_i8_e32 v142, v7, v127
	s_waitcnt lgkmcnt(2)
	v_and_b32_e32 v3, 0xf0f0f0f, v108
	v_lshrrev_b32_e32 v7, 4, v108
	v_mov_b32_e32 v143, 0
	v_and_b32_e32 v7, 0xf0f0f0f, v7
	v_dot4c_i32_i8_e32 v143, v3, v120
	v_dot4c_i32_i8_e32 v143, v7, v124
	v_and_b32_e32 v3, 0xf0f0f0f, v109
	v_lshrrev_b32_e32 v7, 4, v109
	v_and_b32_e32 v7, 0xf0f0f0f, v7
	v_dot4c_i32_i8_e32 v143, v3, v121
	v_dot4c_i32_i8_e32 v143, v7, v125
	s_waitcnt lgkmcnt(1)
	v_and_b32_e32 v3, 0xf0f0f0f, v110
	v_lshrrev_b32_e32 v7, 4, v110
	v_and_b32_e32 v7, 0xf0f0f0f, v7
	v_dot4c_i32_i8_e32 v143, v3, v122
	v_dot4c_i32_i8_e32 v143, v7, v126
	v_and_b32_e32 v3, 0xf0f0f0f, v111
	v_lshrrev_b32_e32 v7, 4, v111
	v_and_b32_e32 v7, 0xf0f0f0f, v7
	v_dot4c_i32_i8_e32 v143, v3, v123
	v_dot4c_i32_i8_e32 v143, v7, v127
	s_waitcnt lgkmcnt(0)
	v_and_b32_e32 v3, 0xf0f0f0f, v134
	v_lshrrev_b32_e32 v7, 4, v134
	v_mov_b32_e32 v144, 0
	v_and_b32_e32 v7, 0xf0f0f0f, v7
	v_dot4c_i32_i8_e32 v144, v3, v120
	v_dot4c_i32_i8_e32 v144, v7, v124
	v_and_b32_e32 v3, 0xf0f0f0f, v135
	v_dot4c_i32_i8_e32 v144, v3, v121
	v_add_u32_e32 v3, 0x31e8, v79
	ds_read2_b32 v[12:13], v87 offset0:4 offset1:5
	ds_read2_b32 v[10:11], v85 offset0:6 offset1:7
	ds_read2_b32 v[108:109], v3 offset1:1
	v_lshrrev_b32_e32 v7, 4, v135
	v_and_b32_e32 v7, 0xf0f0f0f, v7
	v_dot4c_i32_i8_e32 v144, v7, v125
	v_add_u32_e32 v7, 0x10f0, v79
	v_add_u32_e32 v3, 0x2170, v79
	;; [unrolled: 1-line block ×3, first 2 shown]
	ds_read2_b32 v[124:125], v7 offset1:1
	ds_read2_b32 v[134:135], v110 offset1:1
	;; [unrolled: 1-line block ×3, first 2 shown]
	s_waitcnt lgkmcnt(3)
	v_and_b32_e32 v3, 0xf0f0f0f, v108
	v_lshrrev_b32_e32 v7, 4, v108
	v_and_b32_e32 v7, 0xf0f0f0f, v7
	v_dot4c_i32_i8_e32 v144, v3, v122
	v_dot4c_i32_i8_e32 v144, v7, v126
	v_and_b32_e32 v3, 0xf0f0f0f, v109
	v_dot4c_i32_i8_e32 v144, v3, v123
	v_cvt_f32_f16_sdwa v3, v5 dst_sel:DWORD dst_unused:UNUSED_PAD src0_sel:WORD_1
	v_lshrrev_b32_e32 v7, 4, v109
	ds_read_b128 v[108:111], v75 offset:96
	ds_read_b128 v[120:123], v75 offset:112
	v_and_b32_e32 v7, 0xf0f0f0f, v7
	v_dot4c_i32_i8_e32 v144, v7, v127
	v_cvt_f32_f16_e32 v126, v5
	v_mul_f32_e32 v138, 0x41000000, v3
	v_and_b32_e32 v3, 0xf0f0f0f, v128
	v_lshrrev_b32_e32 v5, 4, v128
	v_mov_b32_e32 v7, 0
	v_and_b32_e32 v5, 0xf0f0f0f, v5
	s_waitcnt lgkmcnt(1)
	v_dot4c_i32_i8_e32 v7, v3, v108
	s_waitcnt lgkmcnt(0)
	v_dot4c_i32_i8_e32 v7, v5, v120
	v_and_b32_e32 v3, 0xf0f0f0f, v129
	v_lshrrev_b32_e32 v5, 4, v129
	v_and_b32_e32 v5, 0xf0f0f0f, v5
	v_dot4c_i32_i8_e32 v7, v3, v109
	v_dot4c_i32_i8_e32 v7, v5, v121
	v_and_b32_e32 v3, 0xf0f0f0f, v132
	v_lshrrev_b32_e32 v5, 4, v132
	v_and_b32_e32 v5, 0xf0f0f0f, v5
	v_dot4c_i32_i8_e32 v7, v3, v110
	;; [unrolled: 5-line block ×3, first 2 shown]
	v_dot4c_i32_i8_e32 v7, v5, v123
	v_and_b32_e32 v3, 0xf0f0f0f, v124
	v_lshrrev_b32_e32 v5, 4, v124
	v_mov_b32_e32 v127, 0
	v_cvt_f32_f16_sdwa v102, v2 dst_sel:DWORD dst_unused:UNUSED_PAD src0_sel:WORD_1
	v_and_b32_e32 v5, 0xf0f0f0f, v5
	v_dot4c_i32_i8_e32 v127, v3, v108
	v_cvt_f32_f16_e32 v2, v2
	v_dot4c_i32_i8_e32 v127, v5, v120
	v_and_b32_e32 v3, 0xf0f0f0f, v125
	v_lshrrev_b32_e32 v5, 4, v125
	v_cvt_f32_i32_e32 v125, v139
	v_cvt_f32_i32_e32 v124, v112
	v_and_b32_e32 v5, 0xf0f0f0f, v5
	v_dot4c_i32_i8_e32 v127, v3, v109
	v_dot4c_i32_i8_e32 v127, v5, v121
	v_and_b32_e32 v3, 0xf0f0f0f, v134
	v_mul_f32_e32 v102, 0x41000000, v102
	v_dot4c_i32_i8_e32 v127, v3, v110
	v_and_b32_e32 v3, 0xf0f0f0f, v135
	v_lshrrev_b32_e32 v5, 4, v134
	v_pk_fma_f32 v[124:125], v[2:3], v[124:125], v[102:103] op_sel_hi:[0,1,0] neg_lo:[0,0,1] neg_hi:[0,0,1]
	v_mov_b32_e32 v128, v130
	v_mov_b32_e32 v129, v106
	v_cvt_f32_i32_e32 v133, v115
	v_cvt_f32_i32_e32 v132, v17
	v_cvt_f32_f16_e32 v4, v4
	v_and_b32_e32 v5, 0xf0f0f0f, v5
	v_pk_fma_f32 v[92:93], v[128:129], v[124:125], v[92:93]
	v_cvt_f32_i32_e32 v125, v142
	v_cvt_f32_i32_e32 v124, v15
	v_dot4c_i32_i8_e32 v127, v5, v122
	v_lshrrev_b32_e32 v5, 4, v135
	v_mul_f32_e32 v16, 0x41000000, v16
	v_and_b32_e32 v5, 0xf0f0f0f, v5
	v_dot4c_i32_i8_e32 v127, v3, v111
	v_dot4c_i32_i8_e32 v127, v5, v123
	v_pk_fma_f32 v[128:129], v[14:15], v[132:133], v[16:17] op_sel_hi:[0,1,0] neg_lo:[0,0,1] neg_hi:[0,0,1]
	v_mov_b32_e32 v106, v131
	v_pk_fma_f32 v[92:93], v[106:107], v[128:129], v[92:93]
	v_pk_fma_f32 v[106:107], v[4:5], v[124:125], v[6:7] op_sel_hi:[0,1,0] neg_lo:[0,0,1] neg_hi:[0,0,1]
	v_cvt_f32_i32_e32 v125, v127
	v_cvt_f32_i32_e32 v124, v7
	v_and_b32_e32 v3, 0xf0f0f0f, v136
	v_lshrrev_b32_e32 v5, 4, v136
	v_mov_b32_e32 v17, 0
	v_and_b32_e32 v5, 0xf0f0f0f, v5
	v_dot4c_i32_i8_e32 v17, v3, v108
	v_mov_b32_e32 v128, v20
	v_mov_b32_e32 v129, v18
	v_dot4c_i32_i8_e32 v17, v5, v120
	v_and_b32_e32 v3, 0xf0f0f0f, v137
	v_pk_fma_f32 v[92:93], v[128:129], v[106:107], v[92:93]
	v_pk_fma_f32 v[106:107], v[126:127], v[124:125], v[138:139] op_sel_hi:[0,1,0] neg_lo:[0,0,1] neg_hi:[0,0,1]
	v_mov_b32_e32 v18, v21
	v_dot4c_i32_i8_e32 v17, v3, v109
	v_add_u32_e32 v3, 0x2178, v79
	v_pk_fma_f32 v[92:93], v[18:19], v[106:107], v[92:93]
	ds_read2_b32 v[18:19], v3 offset1:1
	v_lshrrev_b32_e32 v5, 4, v137
	v_and_b32_e32 v5, 0xf0f0f0f, v5
	v_dot4c_i32_i8_e32 v17, v5, v121
	v_add_u32_e32 v3, 0x31f0, v79
	v_add_u32_e32 v5, 0x31f8, v79
	ds_read2_b32 v[20:21], v3 offset1:1
	ds_read2_b32 v[106:107], v5 offset1:1
	s_waitcnt lgkmcnt(2)
	v_and_b32_e32 v3, 0xf0f0f0f, v18
	v_lshrrev_b32_e32 v5, 4, v18
	v_and_b32_e32 v5, 0xf0f0f0f, v5
	v_dot4c_i32_i8_e32 v17, v3, v110
	v_dot4c_i32_i8_e32 v17, v5, v122
	v_and_b32_e32 v3, 0xf0f0f0f, v19
	v_lshrrev_b32_e32 v5, 4, v19
	v_and_b32_e32 v5, 0xf0f0f0f, v5
	v_dot4c_i32_i8_e32 v17, v3, v111
	v_dot4c_i32_i8_e32 v17, v5, v123
	s_waitcnt lgkmcnt(1)
	v_and_b32_e32 v3, 0xf0f0f0f, v20
	v_lshrrev_b32_e32 v5, 4, v20
	v_mov_b32_e32 v7, 0
	v_and_b32_e32 v5, 0xf0f0f0f, v5
	v_dot4c_i32_i8_e32 v7, v3, v108
	v_dot4c_i32_i8_e32 v7, v5, v120
	v_and_b32_e32 v3, 0xf0f0f0f, v21
	v_lshrrev_b32_e32 v5, 4, v21
	v_and_b32_e32 v5, 0xf0f0f0f, v5
	v_dot4c_i32_i8_e32 v7, v3, v109
	v_cvt_f32_i32_e32 v19, v114
	v_cvt_f32_i32_e32 v18, v113
	v_dot4c_i32_i8_e32 v7, v5, v121
	s_waitcnt lgkmcnt(0)
	v_and_b32_e32 v3, 0xf0f0f0f, v106
	v_lshrrev_b32_e32 v5, 4, v106
	v_and_b32_e32 v5, 0xf0f0f0f, v5
	v_dot4c_i32_i8_e32 v7, v3, v110
	v_dot4c_i32_i8_e32 v7, v5, v122
	v_and_b32_e32 v3, 0xf0f0f0f, v107
	v_dot4c_i32_i8_e32 v7, v3, v111
	v_pk_fma_f32 v[2:3], v[2:3], v[18:19], v[102:103] op_sel_hi:[0,1,0] neg_lo:[0,0,1] neg_hi:[0,0,1]
	v_mov_b32_e32 v18, v8
	v_mov_b32_e32 v19, v12
	v_pk_fma_f32 v[2:3], v[18:19], v[2:3], v[88:89]
	v_cvt_f32_i32_e32 v19, v144
	v_cvt_f32_i32_e32 v18, v143
	v_lshrrev_b32_e32 v5, 4, v107
	v_and_b32_e32 v5, 0xf0f0f0f, v5
	v_cvt_f32_i32_e32 v21, v141
	v_cvt_f32_i32_e32 v20, v140
	v_dot4c_i32_i8_e32 v7, v5, v123
	v_mov_b32_e32 v12, v9
	v_mov_b32_e32 v8, v10
	v_pk_fma_f32 v[14:15], v[14:15], v[20:21], v[16:17] op_sel_hi:[0,1,0] neg_lo:[0,0,1] neg_hi:[0,0,1]
	v_pk_fma_f32 v[4:5], v[4:5], v[18:19], v[6:7] op_sel_hi:[0,1,0] neg_lo:[0,0,1] neg_hi:[0,0,1]
	v_cvt_f32_i32_e32 v7, v7
	v_cvt_f32_i32_e32 v6, v17
	v_pk_fma_f32 v[2:3], v[12:13], v[14:15], v[2:3]
	v_mov_b32_e32 v9, v104
	v_pk_fma_f32 v[2:3], v[8:9], v[4:5], v[2:3]
	v_pk_fma_f32 v[4:5], v[126:127], v[6:7], v[138:139] op_sel_hi:[0,1,0] neg_lo:[0,0,1] neg_hi:[0,0,1]
	v_mov_b32_e32 v104, v11
	v_pk_fma_f32 v[88:89], v[104:105], v[4:5], v[2:3]
	s_barrier
.LBB178_5:                              ;   in Loop: Header=BB178_6 Depth=1
	v_add_co_u32_e32 v56, vcc, 0x120, v56
	v_addc_co_u32_e32 v57, vcc, 0, v57, vcc
	v_add_co_u32_e32 v58, vcc, 0x90, v58
	v_addc_co_u32_e32 v1, vcc, 0, v1, vcc
	;; [unrolled: 2-line block ×20, first 2 shown]
	s_add_i32 s10, s10, 8
	s_addk_i32 s19, 0x100
	v_add_co_u32_e32 v100, vcc, 0x90, v100
	s_cmp_ge_i32 s10, s18
	v_addc_co_u32_e32 v63, vcc, 0, v63, vcc
	s_cbranch_scc1 .LBB178_19
.LBB178_6:                              ; =>This Inner Loop Header: Depth=1
	v_add_co_u32_e32 v2, vcc, s8, v58
	v_addc_co_u32_e32 v3, vcc, v1, v118, vcc
	global_load_dword v4, v[2:3], off
	v_add_co_u32_e32 v2, vcc, s8, v60
	v_addc_co_u32_e32 v3, vcc, v23, v118, vcc
	global_load_dword v5, v[2:3], off
	;; [unrolled: 3-line block ×16, first 2 shown]
	v_add_co_u32_e32 v2, vcc, s8, v94
	v_addc_co_u32_e32 v3, vcc, v53, v118, vcc
	global_load_ushort v20, v[2:3], off
	v_add_co_u32_e32 v2, vcc, s8, v96
	v_addc_co_u32_e32 v3, vcc, v59, v118, vcc
	global_load_ushort v21, v[2:3], off
	;; [unrolled: 3-line block ×4, first 2 shown]
	s_waitcnt vmcnt(19)
	ds_write_b32 v22, v4
	s_waitcnt vmcnt(18)
	ds_write_b32 v24, v5
	;; [unrolled: 2-line block ×15, first 2 shown]
	s_add_i32 s4, s19, 0xffffff80
	s_cmp_lt_i32 s4, s9
	s_waitcnt vmcnt(4)
	ds_write_b32 v52, v19
	s_waitcnt vmcnt(3)
	v_cvt_f32_f16_e32 v3, v20
	s_waitcnt vmcnt(2)
	v_cvt_f32_f16_e32 v4, v21
	ds_write_b32 v101, v3
	ds_write_b32 v103, v4
	s_waitcnt vmcnt(1)
	v_cvt_f32_f16_e32 v5, v102
	ds_write_b32 v116, v5
	s_waitcnt vmcnt(0)
	v_cvt_f32_f16_e32 v2, v2
	ds_write_b32 v117, v2
	s_cbranch_scc0 .LBB178_5
; %bb.7:                                ;   in Loop: Header=BB178_6 Depth=1
	v_add_u32_e32 v2, s10, v69
	v_cmp_gt_i32_e32 vcc, s12, v2
	s_and_b64 s[20:21], s[2:3], vcc
	s_and_saveexec_b64 s[4:5], s[20:21]
	s_cbranch_execz .LBB178_9
; %bb.8:                                ;   in Loop: Header=BB178_6 Depth=1
	v_add_u32_e32 v2, s10, v99
	v_mad_i64_i32 v[2:3], s[20:21], v2, 36, v[54:55]
	global_load_dword v2, v[2:3], off offset:4
	s_waitcnt vmcnt(0)
	ds_write_b32 v71, v2
.LBB178_9:                              ;   in Loop: Header=BB178_6 Depth=1
	s_or_b64 exec, exec, s[4:5]
	s_and_saveexec_b64 s[4:5], s[0:1]
	s_cbranch_execz .LBB178_12
; %bb.10:                               ;   in Loop: Header=BB178_6 Depth=1
	v_add_u32_e32 v2, s10, v67
	v_cmp_gt_i32_e32 vcc, s12, v2
	s_and_b64 s[20:21], s[2:3], vcc
	s_and_b64 exec, exec, s[20:21]
	s_cbranch_execz .LBB178_12
; %bb.11:                               ;   in Loop: Header=BB178_6 Depth=1
	v_add_u32_e32 v2, s10, v95
	v_mad_i64_i32 v[2:3], s[20:21], v2, 36, s[6:7]
	global_load_dword v2, v[2:3], off
	s_waitcnt vmcnt(0)
	ds_write_b32 v73, v2
.LBB178_12:                             ;   in Loop: Header=BB178_6 Depth=1
	s_or_b64 exec, exec, s[4:5]
	s_waitcnt lgkmcnt(0)
	s_barrier
	ds_read_b128 v[2:5], v77
	ds_read_b128 v[14:17], v75
	ds_read_b128 v[18:21], v75 offset:16
	ds_read2_b32 v[104:105], v79 offset1:1
	v_mov_b32_e32 v124, 0
	ds_read_b128 v[6:9], v75 offset:32
	ds_read_b128 v[10:13], v75 offset:48
	v_mov_b32_e32 v125, 0
	v_add_u32_e32 v120, 0x2108, v79
	s_waitcnt lgkmcnt(2)
	v_and_b32_e32 v106, 0xf0f0f0f, v104
	v_lshrrev_b32_e32 v104, 4, v104
	v_and_b32_e32 v104, 0xf0f0f0f, v104
	v_dot4c_i32_i8_e32 v124, v106, v14
	v_dot4c_i32_i8_e32 v124, v104, v18
	v_and_b32_e32 v104, 0xf0f0f0f, v105
	v_lshrrev_b32_e32 v105, 4, v105
	v_and_b32_e32 v106, 0xf0f0f0f, v105
	v_dot4c_i32_i8_e32 v124, v104, v15
	ds_read2_b32 v[104:105], v79 offset0:2 offset1:3
	v_dot4c_i32_i8_e32 v124, v106, v19
	ds_read2_b32 v[108:109], v79 offset0:4 offset1:5
	ds_read2_b32 v[110:111], v79 offset0:6 offset1:7
	;; [unrolled: 1-line block ×3, first 2 shown]
	v_add_u32_e32 v122, 0x3180, v79
	v_mov_b32_e32 v141, 0
	s_waitcnt lgkmcnt(3)
	v_and_b32_e32 v106, 0xf0f0f0f, v104
	v_dot4c_i32_i8_e32 v124, v106, v16
	ds_read2_b32 v[106:107], v119 offset1:1
	v_lshrrev_b32_e32 v104, 4, v104
	v_and_b32_e32 v104, 0xf0f0f0f, v104
	v_dot4c_i32_i8_e32 v124, v104, v20
	v_and_b32_e32 v104, 0xf0f0f0f, v105
	s_waitcnt lgkmcnt(0)
	v_and_b32_e32 v114, 0xf0f0f0f, v106
	v_lshrrev_b32_e32 v106, 4, v106
	v_and_b32_e32 v106, 0xf0f0f0f, v106
	v_dot4c_i32_i8_e32 v125, v114, v14
	v_lshrrev_b32_e32 v105, 4, v105
	v_dot4c_i32_i8_e32 v125, v106, v18
	v_and_b32_e32 v106, 0xf0f0f0f, v107
	v_lshrrev_b32_e32 v107, 4, v107
	v_and_b32_e32 v105, 0xf0f0f0f, v105
	v_dot4c_i32_i8_e32 v124, v104, v17
	v_and_b32_e32 v107, 0xf0f0f0f, v107
	v_dot4c_i32_i8_e32 v125, v106, v15
	v_add_u32_e32 v106, 0x1088, v79
	v_dot4c_i32_i8_e32 v124, v105, v21
	ds_read2_b32 v[104:105], v87 offset0:2 offset1:3
	v_dot4c_i32_i8_e32 v125, v107, v19
	ds_read2_b32 v[106:107], v106 offset1:1
	v_add_u32_e32 v114, 0x2100, v79
	ds_read2_b32 v[114:115], v114 offset1:1
	ds_read2_b32 v[120:121], v120 offset1:1
	;; [unrolled: 1-line block ×3, first 2 shown]
	v_mov_b32_e32 v143, 0
	v_cvt_f32_f16_e32 v140, v5
	s_waitcnt lgkmcnt(3)
	v_and_b32_e32 v126, 0xf0f0f0f, v106
	v_lshrrev_b32_e32 v106, 4, v106
	v_and_b32_e32 v106, 0xf0f0f0f, v106
	v_dot4c_i32_i8_e32 v125, v126, v16
	v_dot4c_i32_i8_e32 v125, v106, v20
	v_and_b32_e32 v106, 0xf0f0f0f, v107
	v_lshrrev_b32_e32 v107, 4, v107
	v_and_b32_e32 v107, 0xf0f0f0f, v107
	v_dot4c_i32_i8_e32 v125, v106, v17
	v_dot4c_i32_i8_e32 v125, v107, v21
	v_cvt_f32_i32_e32 v106, v124
	s_waitcnt lgkmcnt(2)
	v_and_b32_e32 v124, 0xf0f0f0f, v114
	v_lshrrev_b32_e32 v114, 4, v114
	v_cvt_f32_i32_e32 v107, v125
	v_mov_b32_e32 v125, 0
	v_and_b32_e32 v114, 0xf0f0f0f, v114
	v_dot4c_i32_i8_e32 v125, v124, v14
	v_dot4c_i32_i8_e32 v125, v114, v18
	v_and_b32_e32 v114, 0xf0f0f0f, v115
	v_lshrrev_b32_e32 v115, 4, v115
	v_and_b32_e32 v115, 0xf0f0f0f, v115
	v_dot4c_i32_i8_e32 v125, v114, v15
	v_dot4c_i32_i8_e32 v125, v115, v19
	s_waitcnt lgkmcnt(1)
	v_and_b32_e32 v114, 0xf0f0f0f, v120
	v_lshrrev_b32_e32 v115, 4, v120
	v_and_b32_e32 v115, 0xf0f0f0f, v115
	v_dot4c_i32_i8_e32 v125, v114, v16
	v_dot4c_i32_i8_e32 v125, v115, v20
	v_and_b32_e32 v114, 0xf0f0f0f, v121
	v_lshrrev_b32_e32 v115, 4, v121
	v_and_b32_e32 v115, 0xf0f0f0f, v115
	v_dot4c_i32_i8_e32 v125, v114, v17
	v_dot4c_i32_i8_e32 v125, v115, v21
	s_waitcnt lgkmcnt(0)
	v_and_b32_e32 v114, 0xf0f0f0f, v122
	v_lshrrev_b32_e32 v115, 4, v122
	v_mov_b32_e32 v124, 0
	v_and_b32_e32 v115, 0xf0f0f0f, v115
	v_dot4c_i32_i8_e32 v124, v114, v14
	v_dot4c_i32_i8_e32 v124, v115, v18
	v_and_b32_e32 v14, 0xf0f0f0f, v123
	v_dot4c_i32_i8_e32 v124, v14, v15
	v_add_u32_e32 v14, 0x3188, v79
	ds_read2_b32 v[14:15], v14 offset1:1
	v_lshrrev_b32_e32 v18, 4, v123
	v_and_b32_e32 v18, 0xf0f0f0f, v18
	v_dot4c_i32_i8_e32 v124, v18, v19
	v_add_u32_e32 v18, 0x1090, v79
	v_add_u32_e32 v122, 0x2110, v79
	;; [unrolled: 1-line block ×3, first 2 shown]
	ds_read2_b32 v[114:115], v18 offset1:1
	ds_read2_b32 v[120:121], v19 offset1:1
	;; [unrolled: 1-line block ×3, first 2 shown]
	s_waitcnt lgkmcnt(3)
	v_and_b32_e32 v18, 0xf0f0f0f, v14
	v_lshrrev_b32_e32 v14, 4, v14
	v_and_b32_e32 v14, 0xf0f0f0f, v14
	v_dot4c_i32_i8_e32 v124, v18, v16
	v_dot4c_i32_i8_e32 v124, v14, v20
	v_and_b32_e32 v14, 0xf0f0f0f, v15
	v_lshrrev_b32_e32 v15, 4, v15
	v_and_b32_e32 v15, 0xf0f0f0f, v15
	v_dot4c_i32_i8_e32 v124, v14, v17
	v_dot4c_i32_i8_e32 v124, v15, v21
	v_cvt_f32_f16_sdwa v15, v3 dst_sel:DWORD dst_unused:UNUSED_PAD src0_sel:WORD_1
	v_cvt_f32_f16_e32 v14, v3
	v_and_b32_e32 v3, 0xf0f0f0f, v108
	v_mov_b32_e32 v17, 0
	v_mul_f32_e32 v16, 0x41000000, v15
	v_lshrrev_b32_e32 v15, 4, v108
	v_and_b32_e32 v15, 0xf0f0f0f, v15
	v_dot4c_i32_i8_e32 v17, v3, v6
	v_dot4c_i32_i8_e32 v17, v15, v10
	v_and_b32_e32 v3, 0xf0f0f0f, v109
	v_lshrrev_b32_e32 v15, 4, v109
	v_and_b32_e32 v15, 0xf0f0f0f, v15
	v_dot4c_i32_i8_e32 v17, v3, v7
	v_dot4c_i32_i8_e32 v17, v15, v11
	v_and_b32_e32 v3, 0xf0f0f0f, v110
	;; [unrolled: 5-line block ×3, first 2 shown]
	v_lshrrev_b32_e32 v15, 4, v111
	v_and_b32_e32 v15, 0xf0f0f0f, v15
	v_dot4c_i32_i8_e32 v17, v3, v9
	v_dot4c_i32_i8_e32 v17, v15, v13
	s_waitcnt lgkmcnt(2)
	v_and_b32_e32 v3, 0xf0f0f0f, v114
	v_lshrrev_b32_e32 v15, 4, v114
	v_mov_b32_e32 v20, 0
	v_and_b32_e32 v15, 0xf0f0f0f, v15
	v_dot4c_i32_i8_e32 v20, v3, v6
	v_dot4c_i32_i8_e32 v20, v15, v10
	v_and_b32_e32 v3, 0xf0f0f0f, v115
	v_lshrrev_b32_e32 v15, 4, v115
	v_and_b32_e32 v15, 0xf0f0f0f, v15
	v_dot4c_i32_i8_e32 v20, v3, v7
	v_dot4c_i32_i8_e32 v20, v15, v11
	s_waitcnt lgkmcnt(1)
	v_and_b32_e32 v3, 0xf0f0f0f, v120
	v_lshrrev_b32_e32 v15, 4, v120
	v_and_b32_e32 v15, 0xf0f0f0f, v15
	v_dot4c_i32_i8_e32 v20, v3, v8
	v_dot4c_i32_i8_e32 v20, v15, v12
	v_and_b32_e32 v3, 0xf0f0f0f, v121
	v_lshrrev_b32_e32 v15, 4, v121
	v_and_b32_e32 v15, 0xf0f0f0f, v15
	v_dot4c_i32_i8_e32 v20, v3, v9
	v_dot4c_i32_i8_e32 v20, v15, v13
	s_waitcnt lgkmcnt(0)
	v_and_b32_e32 v3, 0xf0f0f0f, v122
	v_lshrrev_b32_e32 v15, 4, v122
	v_and_b32_e32 v15, 0xf0f0f0f, v15
	v_cvt_f32_i32_e32 v21, v20
	v_cvt_f32_i32_e32 v20, v17
	v_mov_b32_e32 v17, 0
	v_dot4c_i32_i8_e32 v17, v3, v6
	v_dot4c_i32_i8_e32 v17, v15, v10
	v_and_b32_e32 v3, 0xf0f0f0f, v123
	v_dot4c_i32_i8_e32 v17, v3, v7
	v_add_u32_e32 v3, 0x2118, v79
	ds_read2_b32 v[108:109], v3 offset1:1
	v_lshrrev_b32_e32 v15, 4, v123
	v_and_b32_e32 v15, 0xf0f0f0f, v15
	v_dot4c_i32_i8_e32 v17, v15, v11
	v_add_u32_e32 v15, 0x3190, v79
	v_add_u32_e32 v114, 0x3198, v79
	;; [unrolled: 1-line block ×3, first 2 shown]
	ds_read2_b32 v[110:111], v15 offset1:1
	ds_read2_b32 v[114:115], v114 offset1:1
	ds_read2_b32 v[128:129], v3 offset1:1
	s_waitcnt lgkmcnt(3)
	v_and_b32_e32 v3, 0xf0f0f0f, v108
	v_lshrrev_b32_e32 v15, 4, v108
	v_and_b32_e32 v15, 0xf0f0f0f, v15
	v_dot4c_i32_i8_e32 v17, v3, v8
	v_dot4c_i32_i8_e32 v17, v15, v12
	v_and_b32_e32 v3, 0xf0f0f0f, v109
	v_lshrrev_b32_e32 v15, 4, v109
	v_and_b32_e32 v15, 0xf0f0f0f, v15
	v_dot4c_i32_i8_e32 v17, v3, v9
	v_dot4c_i32_i8_e32 v17, v15, v13
	s_waitcnt lgkmcnt(2)
	v_and_b32_e32 v3, 0xf0f0f0f, v110
	v_lshrrev_b32_e32 v15, 4, v110
	v_mov_b32_e32 v108, 0
	v_and_b32_e32 v15, 0xf0f0f0f, v15
	v_dot4c_i32_i8_e32 v108, v3, v6
	v_dot4c_i32_i8_e32 v108, v15, v10
	v_and_b32_e32 v3, 0xf0f0f0f, v111
	v_lshrrev_b32_e32 v6, 4, v111
	v_and_b32_e32 v6, 0xf0f0f0f, v6
	v_dot4c_i32_i8_e32 v108, v3, v7
	v_dot4c_i32_i8_e32 v108, v6, v11
	s_waitcnt lgkmcnt(1)
	v_and_b32_e32 v3, 0xf0f0f0f, v114
	v_lshrrev_b32_e32 v6, 4, v114
	v_and_b32_e32 v6, 0xf0f0f0f, v6
	v_dot4c_i32_i8_e32 v108, v3, v8
	v_dot4c_i32_i8_e32 v108, v6, v12
	v_and_b32_e32 v3, 0xf0f0f0f, v115
	v_lshrrev_b32_e32 v6, 4, v115
	v_dot4c_i32_i8_e32 v108, v3, v9
	v_cvt_f32_f16_sdwa v3, v4 dst_sel:DWORD dst_unused:UNUSED_PAD src0_sel:WORD_1
	v_cvt_f32_i32_e32 v19, v124
	v_cvt_f32_i32_e32 v18, v125
	v_and_b32_e32 v6, 0xf0f0f0f, v6
	ds_read_b128 v[120:123], v75 offset:64
	ds_read_b128 v[124:127], v75 offset:80
	v_dot4c_i32_i8_e32 v108, v6, v13
	v_mul_f32_e32 v8, 0x41000000, v3
	v_and_b32_e32 v3, 0xf0f0f0f, v112
	v_lshrrev_b32_e32 v9, 4, v112
	v_cvt_f32_i32_e32 v7, v108
	ds_read2_b32 v[10:11], v85 offset1:1
	ds_read2_b32 v[108:109], v83 offset0:2 offset1:3
	ds_read2_b32 v[114:115], v83 offset1:1
	ds_read2_b32 v[110:111], v81 offset0:2 offset1:3
	ds_read2_b32 v[12:13], v79 offset0:10 offset1:11
	v_mov_b32_e32 v15, 0
	v_and_b32_e32 v9, 0xf0f0f0f, v9
	s_waitcnt lgkmcnt(6)
	v_dot4c_i32_i8_e32 v15, v3, v120
	s_waitcnt lgkmcnt(5)
	v_dot4c_i32_i8_e32 v15, v9, v124
	v_and_b32_e32 v3, 0xf0f0f0f, v113
	v_lshrrev_b32_e32 v9, 4, v113
	v_and_b32_e32 v9, 0xf0f0f0f, v9
	v_dot4c_i32_i8_e32 v15, v3, v121
	v_dot4c_i32_i8_e32 v15, v9, v125
	s_waitcnt lgkmcnt(0)
	v_and_b32_e32 v3, 0xf0f0f0f, v12
	v_lshrrev_b32_e32 v9, 4, v12
	v_and_b32_e32 v9, 0xf0f0f0f, v9
	v_dot4c_i32_i8_e32 v15, v3, v122
	v_dot4c_i32_i8_e32 v15, v9, v126
	v_and_b32_e32 v3, 0xf0f0f0f, v13
	v_lshrrev_b32_e32 v9, 4, v13
	v_and_b32_e32 v9, 0xf0f0f0f, v9
	v_dot4c_i32_i8_e32 v15, v3, v123
	v_cvt_f32_i32_e32 v6, v17
	v_dot4c_i32_i8_e32 v15, v9, v127
	v_and_b32_e32 v3, 0xf0f0f0f, v128
	v_lshrrev_b32_e32 v9, 4, v128
	v_mov_b32_e32 v17, 0
	v_and_b32_e32 v9, 0xf0f0f0f, v9
	v_dot4c_i32_i8_e32 v17, v3, v120
	v_dot4c_i32_i8_e32 v17, v9, v124
	v_and_b32_e32 v3, 0xf0f0f0f, v129
	v_dot4c_i32_i8_e32 v17, v3, v121
	v_add_u32_e32 v3, 0x10a8, v79
	ds_read2_b32 v[130:131], v79 offset0:12 offset1:13
	ds_read2_b32 v[132:133], v81 offset1:1
	ds_read2_b32 v[134:135], v79 offset0:14 offset1:15
	ds_read2_b32 v[12:13], v3 offset1:1
	v_lshrrev_b32_e32 v9, 4, v129
	v_and_b32_e32 v9, 0xf0f0f0f, v9
	v_dot4c_i32_i8_e32 v17, v9, v125
	v_add_u32_e32 v9, 0x2120, v79
	v_add_u32_e32 v3, 0x31a0, v79
	v_add_u32_e32 v112, 0x2128, v79
	ds_read2_b32 v[128:129], v9 offset1:1
	ds_read2_b32 v[136:137], v112 offset1:1
	;; [unrolled: 1-line block ×3, first 2 shown]
	s_waitcnt lgkmcnt(3)
	v_and_b32_e32 v3, 0xf0f0f0f, v12
	v_lshrrev_b32_e32 v9, 4, v12
	v_and_b32_e32 v9, 0xf0f0f0f, v9
	v_dot4c_i32_i8_e32 v17, v3, v122
	v_dot4c_i32_i8_e32 v17, v9, v126
	v_and_b32_e32 v3, 0xf0f0f0f, v13
	v_lshrrev_b32_e32 v9, 4, v13
	v_and_b32_e32 v9, 0xf0f0f0f, v9
	v_dot4c_i32_i8_e32 v17, v3, v123
	v_dot4c_i32_i8_e32 v17, v9, v127
	s_waitcnt lgkmcnt(2)
	v_and_b32_e32 v3, 0xf0f0f0f, v128
	v_lshrrev_b32_e32 v9, 4, v128
	v_and_b32_e32 v9, 0xf0f0f0f, v9
	v_dot4c_i32_i8_e32 v141, v3, v120
	v_dot4c_i32_i8_e32 v141, v9, v124
	v_and_b32_e32 v3, 0xf0f0f0f, v129
	v_lshrrev_b32_e32 v9, 4, v129
	v_and_b32_e32 v9, 0xf0f0f0f, v9
	v_dot4c_i32_i8_e32 v141, v3, v121
	v_dot4c_i32_i8_e32 v141, v9, v125
	;; [unrolled: 11-line block ×3, first 2 shown]
	s_waitcnt lgkmcnt(0)
	v_and_b32_e32 v3, 0xf0f0f0f, v138
	v_lshrrev_b32_e32 v9, 4, v138
	v_and_b32_e32 v9, 0xf0f0f0f, v9
	v_dot4c_i32_i8_e32 v143, v3, v120
	v_dot4c_i32_i8_e32 v143, v9, v124
	v_and_b32_e32 v3, 0xf0f0f0f, v139
	v_dot4c_i32_i8_e32 v143, v3, v121
	v_add_u32_e32 v3, 0x31a8, v79
	ds_read2_b32 v[112:113], v87 offset1:1
	ds_read2_b32 v[12:13], v85 offset0:2 offset1:3
	ds_read2_b32 v[120:121], v3 offset1:1
	v_lshrrev_b32_e32 v9, 4, v139
	v_and_b32_e32 v9, 0xf0f0f0f, v9
	v_dot4c_i32_i8_e32 v143, v9, v125
	v_add_u32_e32 v9, 0x10b0, v79
	v_add_u32_e32 v3, 0x2130, v79
	;; [unrolled: 1-line block ×3, first 2 shown]
	ds_read2_b32 v[128:129], v9 offset1:1
	ds_read2_b32 v[136:137], v124 offset1:1
	;; [unrolled: 1-line block ×3, first 2 shown]
	s_waitcnt lgkmcnt(3)
	v_and_b32_e32 v3, 0xf0f0f0f, v120
	v_lshrrev_b32_e32 v9, 4, v120
	v_and_b32_e32 v9, 0xf0f0f0f, v9
	v_dot4c_i32_i8_e32 v143, v3, v122
	v_dot4c_i32_i8_e32 v143, v9, v126
	v_and_b32_e32 v3, 0xf0f0f0f, v121
	v_lshrrev_b32_e32 v9, 4, v121
	v_and_b32_e32 v9, 0xf0f0f0f, v9
	v_dot4c_i32_i8_e32 v143, v3, v123
	v_cvt_f32_f16_sdwa v3, v5 dst_sel:DWORD dst_unused:UNUSED_PAD src0_sel:WORD_1
	v_dot4c_i32_i8_e32 v143, v9, v127
	ds_read_b128 v[120:123], v75 offset:96
	ds_read_b128 v[124:127], v75 offset:112
	v_lshrrev_b32_e32 v5, 4, v130
	v_mul_f32_e32 v142, 0x41000000, v3
	v_and_b32_e32 v3, 0xf0f0f0f, v130
	v_mov_b32_e32 v9, 0
	v_and_b32_e32 v5, 0xf0f0f0f, v5
	s_waitcnt lgkmcnt(1)
	v_dot4c_i32_i8_e32 v9, v3, v120
	s_waitcnt lgkmcnt(0)
	v_dot4c_i32_i8_e32 v9, v5, v124
	v_and_b32_e32 v3, 0xf0f0f0f, v131
	v_lshrrev_b32_e32 v5, 4, v131
	v_and_b32_e32 v5, 0xf0f0f0f, v5
	v_dot4c_i32_i8_e32 v9, v3, v121
	v_dot4c_i32_i8_e32 v9, v5, v125
	v_and_b32_e32 v3, 0xf0f0f0f, v134
	v_lshrrev_b32_e32 v5, 4, v134
	v_and_b32_e32 v5, 0xf0f0f0f, v5
	v_dot4c_i32_i8_e32 v9, v3, v122
	;; [unrolled: 5-line block ×3, first 2 shown]
	v_dot4c_i32_i8_e32 v9, v5, v127
	v_and_b32_e32 v3, 0xf0f0f0f, v128
	v_lshrrev_b32_e32 v5, 4, v128
	v_mov_b32_e32 v130, 0
	v_cvt_f32_f16_sdwa v102, v2 dst_sel:DWORD dst_unused:UNUSED_PAD src0_sel:WORD_1
	v_and_b32_e32 v5, 0xf0f0f0f, v5
	v_dot4c_i32_i8_e32 v130, v3, v120
	v_cvt_f32_f16_e32 v2, v2
	v_dot4c_i32_i8_e32 v130, v5, v124
	v_and_b32_e32 v3, 0xf0f0f0f, v129
	v_lshrrev_b32_e32 v5, 4, v129
	v_and_b32_e32 v5, 0xf0f0f0f, v5
	v_dot4c_i32_i8_e32 v130, v3, v121
	v_dot4c_i32_i8_e32 v130, v5, v125
	v_and_b32_e32 v3, 0xf0f0f0f, v136
	v_mul_f32_e32 v102, 0x41000000, v102
	v_dot4c_i32_i8_e32 v130, v3, v122
	v_and_b32_e32 v3, 0xf0f0f0f, v137
	v_lshrrev_b32_e32 v5, 4, v136
	v_pk_fma_f32 v[106:107], v[2:3], v[106:107], v[102:103] op_sel_hi:[0,1,0] neg_lo:[0,0,1] neg_hi:[0,0,1]
	v_mov_b32_e32 v128, v132
	v_mov_b32_e32 v129, v114
	v_cvt_f32_f16_e32 v4, v4
	v_and_b32_e32 v5, 0xf0f0f0f, v5
	v_pk_fma_f32 v[92:93], v[128:129], v[106:107], v[92:93]
	v_cvt_f32_i32_e32 v107, v17
	v_cvt_f32_i32_e32 v106, v15
	v_dot4c_i32_i8_e32 v130, v5, v126
	v_lshrrev_b32_e32 v5, 4, v137
	v_and_b32_e32 v5, 0xf0f0f0f, v5
	v_dot4c_i32_i8_e32 v130, v3, v123
	v_dot4c_i32_i8_e32 v130, v5, v127
	v_pk_fma_f32 v[20:21], v[14:15], v[20:21], v[16:17] op_sel_hi:[0,1,0] neg_lo:[0,0,1] neg_hi:[0,0,1]
	v_mov_b32_e32 v114, v133
	v_pk_fma_f32 v[20:21], v[114:115], v[20:21], v[92:93]
	v_pk_fma_f32 v[92:93], v[4:5], v[106:107], v[8:9] op_sel_hi:[0,1,0] neg_lo:[0,0,1] neg_hi:[0,0,1]
	v_cvt_f32_i32_e32 v107, v130
	v_cvt_f32_i32_e32 v106, v9
	v_and_b32_e32 v3, 0xf0f0f0f, v138
	v_lshrrev_b32_e32 v5, 4, v138
	v_mov_b32_e32 v9, 0
	v_and_b32_e32 v5, 0xf0f0f0f, v5
	v_dot4c_i32_i8_e32 v9, v3, v120
	v_mov_b32_e32 v114, v110
	v_mov_b32_e32 v115, v108
	v_dot4c_i32_i8_e32 v9, v5, v124
	v_and_b32_e32 v3, 0xf0f0f0f, v139
	v_pk_fma_f32 v[20:21], v[114:115], v[92:93], v[20:21]
	v_pk_fma_f32 v[92:93], v[140:141], v[106:107], v[142:143] op_sel_hi:[0,1,0] neg_lo:[0,0,1] neg_hi:[0,0,1]
	v_mov_b32_e32 v108, v111
	v_dot4c_i32_i8_e32 v9, v3, v121
	v_add_u32_e32 v3, 0x2138, v79
	v_pk_fma_f32 v[92:93], v[108:109], v[92:93], v[20:21]
	ds_read2_b32 v[20:21], v3 offset1:1
	v_lshrrev_b32_e32 v5, 4, v139
	v_and_b32_e32 v5, 0xf0f0f0f, v5
	v_dot4c_i32_i8_e32 v9, v5, v125
	v_add_u32_e32 v3, 0x31b0, v79
	v_add_u32_e32 v5, 0x31b8, v79
	ds_read2_b32 v[106:107], v3 offset1:1
	ds_read2_b32 v[108:109], v5 offset1:1
	s_waitcnt lgkmcnt(2)
	v_and_b32_e32 v3, 0xf0f0f0f, v20
	v_lshrrev_b32_e32 v5, 4, v20
	v_and_b32_e32 v5, 0xf0f0f0f, v5
	v_dot4c_i32_i8_e32 v9, v3, v122
	v_dot4c_i32_i8_e32 v9, v5, v126
	v_and_b32_e32 v3, 0xf0f0f0f, v21
	v_lshrrev_b32_e32 v5, 4, v21
	v_and_b32_e32 v5, 0xf0f0f0f, v5
	v_dot4c_i32_i8_e32 v9, v3, v123
	v_dot4c_i32_i8_e32 v9, v5, v127
	s_waitcnt lgkmcnt(1)
	v_and_b32_e32 v3, 0xf0f0f0f, v106
	v_lshrrev_b32_e32 v5, 4, v106
	v_mov_b32_e32 v15, 0
	v_and_b32_e32 v5, 0xf0f0f0f, v5
	v_dot4c_i32_i8_e32 v15, v3, v120
	v_dot4c_i32_i8_e32 v15, v5, v124
	v_and_b32_e32 v3, 0xf0f0f0f, v107
	v_lshrrev_b32_e32 v5, 4, v107
	v_and_b32_e32 v5, 0xf0f0f0f, v5
	v_dot4c_i32_i8_e32 v15, v3, v121
	v_dot4c_i32_i8_e32 v15, v5, v125
	s_waitcnt lgkmcnt(0)
	v_and_b32_e32 v3, 0xf0f0f0f, v108
	v_lshrrev_b32_e32 v5, 4, v108
	v_and_b32_e32 v5, 0xf0f0f0f, v5
	v_dot4c_i32_i8_e32 v15, v3, v122
	v_dot4c_i32_i8_e32 v15, v5, v126
	v_and_b32_e32 v3, 0xf0f0f0f, v109
	v_lshrrev_b32_e32 v5, 4, v109
	v_and_b32_e32 v5, 0xf0f0f0f, v5
	v_dot4c_i32_i8_e32 v15, v3, v123
	v_dot4c_i32_i8_e32 v15, v5, v127
	v_pk_fma_f32 v[2:3], v[2:3], v[18:19], v[102:103] op_sel_hi:[0,1,0] neg_lo:[0,0,1] neg_hi:[0,0,1]
	v_mov_b32_e32 v18, v10
	v_mov_b32_e32 v19, v112
	v_pk_fma_f32 v[2:3], v[18:19], v[2:3], v[88:89]
	v_cvt_f32_i32_e32 v19, v143
	v_cvt_f32_i32_e32 v18, v141
	v_pk_fma_f32 v[6:7], v[14:15], v[6:7], v[16:17] op_sel_hi:[0,1,0] neg_lo:[0,0,1] neg_hi:[0,0,1]
	v_mov_b32_e32 v112, v11
	v_pk_fma_f32 v[2:3], v[112:113], v[6:7], v[2:3]
	v_cvt_f32_i32_e32 v7, v15
	v_cvt_f32_i32_e32 v6, v9
	v_pk_fma_f32 v[4:5], v[4:5], v[18:19], v[8:9] op_sel_hi:[0,1,0] neg_lo:[0,0,1] neg_hi:[0,0,1]
	v_mov_b32_e32 v8, v12
	v_mov_b32_e32 v9, v104
	v_pk_fma_f32 v[2:3], v[8:9], v[4:5], v[2:3]
	v_pk_fma_f32 v[4:5], v[140:141], v[6:7], v[142:143] op_sel_hi:[0,1,0] neg_lo:[0,0,1] neg_hi:[0,0,1]
	v_mov_b32_e32 v104, v13
	v_pk_fma_f32 v[88:89], v[104:105], v[4:5], v[2:3]
	s_cmp_ge_i32 s19, s9
	s_barrier
	s_cbranch_scc1 .LBB178_5
; %bb.13:                               ;   in Loop: Header=BB178_6 Depth=1
	v_add_u32_e32 v2, s10, v91
	v_cmp_gt_i32_e32 vcc, s12, v2
	s_and_b64 s[20:21], s[2:3], vcc
	s_and_saveexec_b64 s[4:5], s[20:21]
	s_cbranch_execz .LBB178_15
; %bb.14:                               ;   in Loop: Header=BB178_6 Depth=1
	v_add_u32_e32 v2, s10, v97
	v_mad_i64_i32 v[2:3], s[20:21], v2, 36, v[54:55]
	global_load_dword v2, v[2:3], off offset:4
	s_waitcnt vmcnt(0)
	ds_write_b32 v71, v2
.LBB178_15:                             ;   in Loop: Header=BB178_6 Depth=1
	s_or_b64 exec, exec, s[4:5]
	s_and_saveexec_b64 s[4:5], s[0:1]
	s_cbranch_execz .LBB178_4
; %bb.16:                               ;   in Loop: Header=BB178_6 Depth=1
	v_add3_u32 v2, v67, s10, 4
	v_cmp_gt_i32_e32 vcc, s12, v2
	s_and_b64 s[20:21], s[2:3], vcc
	s_and_b64 exec, exec, s[20:21]
	s_cbranch_execz .LBB178_4
; %bb.17:                               ;   in Loop: Header=BB178_6 Depth=1
	global_load_dword v2, v[56:57], off
	s_waitcnt vmcnt(0)
	ds_write_b32 v73, v2
	s_branch .LBB178_4
.LBB178_18:
	v_mov_b32_e32 v88, v89
	v_mov_b32_e32 v93, v89
	;; [unrolled: 1-line block ×3, first 2 shown]
.LBB178_19:
	s_mul_i32 s0, s14, s11
	s_waitcnt vmcnt(0)
	v_cmp_gt_i32_e32 vcc, s0, v65
	s_and_saveexec_b64 s[0:1], vcc
	s_cbranch_execz .LBB178_28
; %bb.20:
	v_and_b32_e32 v0, 0x3ff, v0
	v_add_u32_e32 v1, s15, v0
	v_mul_lo_u32 v0, v65, s13
	v_cmp_gt_u32_e32 vcc, s13, v1
	s_and_saveexec_b64 s[0:1], vcc
	s_cbranch_execz .LBB178_22
; %bb.21:
	v_add_u32_e32 v2, v0, v1
	v_mov_b32_e32 v3, 0
	v_lshlrev_b64 v[2:3], 2, v[2:3]
	v_mov_b32_e32 v4, s17
	v_add_co_u32_e32 v2, vcc, s16, v2
	v_addc_co_u32_e32 v3, vcc, v4, v3, vcc
	global_store_dword v[2:3], v92, off
.LBB178_22:
	s_or_b64 exec, exec, s[0:1]
	v_add_u32_e32 v2, 32, v1
	v_cmp_gt_u32_e32 vcc, s13, v2
	s_and_saveexec_b64 s[0:1], vcc
	s_cbranch_execz .LBB178_24
; %bb.23:
	v_add_u32_e32 v2, v0, v2
	v_mov_b32_e32 v3, 0
	v_lshlrev_b64 v[2:3], 2, v[2:3]
	v_mov_b32_e32 v4, s17
	v_add_co_u32_e32 v2, vcc, s16, v2
	v_addc_co_u32_e32 v3, vcc, v4, v3, vcc
	global_store_dword v[2:3], v93, off
.LBB178_24:
	s_or_b64 exec, exec, s[0:1]
	v_add_u32_e32 v2, 64, v1
	;; [unrolled: 14-line block ×3, first 2 shown]
	v_cmp_gt_u32_e32 vcc, s13, v1
	s_and_b64 exec, exec, vcc
	s_cbranch_execz .LBB178_28
; %bb.27:
	v_add_u32_e32 v0, v0, v1
	v_mov_b32_e32 v1, 0
	v_lshlrev_b64 v[0:1], 2, v[0:1]
	v_mov_b32_e32 v2, s17
	v_add_co_u32_e32 v0, vcc, s16, v0
	v_addc_co_u32_e32 v1, vcc, v2, v1, vcc
	global_store_dword v[0:1], v89, off
.LBB178_28:
	s_endpgm
	.section	.rodata,"a",@progbits
	.p2align	6, 0x0
	.amdhsa_kernel _ZL8moe_q4_0IfLb1EEvPKvS1_PT_PKiS5_S5_iiiiiii
		.amdhsa_group_segment_fixed_size 22272
		.amdhsa_private_segment_fixed_size 0
		.amdhsa_kernarg_size 76
		.amdhsa_user_sgpr_count 6
		.amdhsa_user_sgpr_private_segment_buffer 1
		.amdhsa_user_sgpr_dispatch_ptr 0
		.amdhsa_user_sgpr_queue_ptr 0
		.amdhsa_user_sgpr_kernarg_segment_ptr 1
		.amdhsa_user_sgpr_dispatch_id 0
		.amdhsa_user_sgpr_flat_scratch_init 0
		.amdhsa_user_sgpr_kernarg_preload_length 0
		.amdhsa_user_sgpr_kernarg_preload_offset 0
		.amdhsa_user_sgpr_private_segment_size 0
		.amdhsa_uses_dynamic_stack 0
		.amdhsa_system_sgpr_private_segment_wavefront_offset 0
		.amdhsa_system_sgpr_workgroup_id_x 1
		.amdhsa_system_sgpr_workgroup_id_y 1
		.amdhsa_system_sgpr_workgroup_id_z 0
		.amdhsa_system_sgpr_workgroup_info 0
		.amdhsa_system_vgpr_workitem_id 1
		.amdhsa_next_free_vgpr 145
		.amdhsa_next_free_sgpr 24
		.amdhsa_accum_offset 148
		.amdhsa_reserve_vcc 1
		.amdhsa_reserve_flat_scratch 0
		.amdhsa_float_round_mode_32 0
		.amdhsa_float_round_mode_16_64 0
		.amdhsa_float_denorm_mode_32 3
		.amdhsa_float_denorm_mode_16_64 3
		.amdhsa_dx10_clamp 1
		.amdhsa_ieee_mode 1
		.amdhsa_fp16_overflow 0
		.amdhsa_tg_split 0
		.amdhsa_exception_fp_ieee_invalid_op 0
		.amdhsa_exception_fp_denorm_src 0
		.amdhsa_exception_fp_ieee_div_zero 0
		.amdhsa_exception_fp_ieee_overflow 0
		.amdhsa_exception_fp_ieee_underflow 0
		.amdhsa_exception_fp_ieee_inexact 0
		.amdhsa_exception_int_div_zero 0
	.end_amdhsa_kernel
	.section	.text._ZL8moe_q4_0IfLb1EEvPKvS1_PT_PKiS5_S5_iiiiiii,"axG",@progbits,_ZL8moe_q4_0IfLb1EEvPKvS1_PT_PKiS5_S5_iiiiiii,comdat
.Lfunc_end178:
	.size	_ZL8moe_q4_0IfLb1EEvPKvS1_PT_PKiS5_S5_iiiiiii, .Lfunc_end178-_ZL8moe_q4_0IfLb1EEvPKvS1_PT_PKiS5_S5_iiiiiii
                                        ; -- End function
	.section	.AMDGPU.csdata,"",@progbits
; Kernel info:
; codeLenInByte = 9108
; NumSgprs: 28
; NumVgprs: 145
; NumAgprs: 0
; TotalNumVgprs: 145
; ScratchSize: 0
; MemoryBound: 0
; FloatMode: 240
; IeeeMode: 1
; LDSByteSize: 22272 bytes/workgroup (compile time only)
; SGPRBlocks: 3
; VGPRBlocks: 18
; NumSGPRsForWavesPerEU: 28
; NumVGPRsForWavesPerEU: 145
; AccumOffset: 148
; Occupancy: 2
; WaveLimiterHint : 1
; COMPUTE_PGM_RSRC2:SCRATCH_EN: 0
; COMPUTE_PGM_RSRC2:USER_SGPR: 6
; COMPUTE_PGM_RSRC2:TRAP_HANDLER: 0
; COMPUTE_PGM_RSRC2:TGID_X_EN: 1
; COMPUTE_PGM_RSRC2:TGID_Y_EN: 1
; COMPUTE_PGM_RSRC2:TGID_Z_EN: 0
; COMPUTE_PGM_RSRC2:TIDIG_COMP_CNT: 1
; COMPUTE_PGM_RSRC3_GFX90A:ACCUM_OFFSET: 36
; COMPUTE_PGM_RSRC3_GFX90A:TG_SPLIT: 0
	.section	.text._ZL8moe_q4_1IfLb0EEvPKvS1_PT_PKiS5_S5_iiiiiii,"axG",@progbits,_ZL8moe_q4_1IfLb0EEvPKvS1_PT_PKiS5_S5_iiiiiii,comdat
	.globl	_ZL8moe_q4_1IfLb0EEvPKvS1_PT_PKiS5_S5_iiiiiii ; -- Begin function _ZL8moe_q4_1IfLb0EEvPKvS1_PT_PKiS5_S5_iiiiiii
	.p2align	8
	.type	_ZL8moe_q4_1IfLb0EEvPKvS1_PT_PKiS5_S5_iiiiiii,@function
_ZL8moe_q4_1IfLb0EEvPKvS1_PT_PKiS5_S5_iiiiiii: ; @_ZL8moe_q4_1IfLb0EEvPKvS1_PT_PKiS5_S5_iiiiiii
; %bb.0:
	s_load_dwordx4 s[0:3], s[4:5], 0x18
	s_mov_b32 s8, s7
	s_mov_b32 s9, 0
	s_lshl_b64 s[10:11], s[8:9], 2
	s_waitcnt lgkmcnt(0)
	s_add_u32 s2, s2, s10
	s_addc_u32 s3, s3, s11
	s_load_dword s2, s[2:3], 0x0
	s_waitcnt lgkmcnt(0)
	s_cmpk_gt_u32 s2, 0xff
	s_cbranch_scc1 .LBB179_28
; %bb.1:
	s_load_dwordx2 s[10:11], s[4:5], 0x28
	s_lshl_b32 s3, s8, 3
	s_waitcnt lgkmcnt(0)
	s_load_dword s7, s[10:11], 0x0
	s_waitcnt lgkmcnt(0)
	s_cmp_gt_u32 s3, s7
	s_cbranch_scc1 .LBB179_28
; %bb.2:
	v_bfe_u32 v1, v0, 10, 10
	v_add_u32_e32 v62, s3, v1
	v_mov_b32_e32 v63, 0
	v_lshlrev_b64 v[2:3], 2, v[62:63]
	v_mov_b32_e32 v4, s1
	v_add_co_u32_e32 v2, vcc, s0, v2
	v_addc_co_u32_e32 v3, vcc, v4, v3, vcc
	global_load_dword v69, v[2:3], off
	s_load_dwordx2 s[14:15], s[4:5], 0x30
	s_load_dwordx2 s[12:13], s[4:5], 0x10
	s_load_dwordx4 s[8:11], s[4:5], 0x3c
	s_lshl_b32 s16, s6, 7
	s_waitcnt lgkmcnt(0)
	s_cmp_lt_i32 s15, 32
	s_cbranch_scc1 .LBB179_18
; %bb.3:
	v_and_b32_e32 v96, 0x3ff, v0
	s_ashr_i32 s0, s15, 31
	v_lshlrev_b32_e32 v3, 2, v1
	v_lshrrev_b32_e32 v113, 3, v96
	s_load_dwordx4 s[4:7], s[4:5], 0x0
	s_lshr_b32 s0, s0, 27
	s_ashr_i32 s1, s9, 31
	v_and_b32_e32 v60, 7, v96
	v_add_u32_e32 v22, v113, v3
	s_add_i32 s0, s15, s0
	s_lshr_b32 s1, s1, 27
	s_mul_i32 s14, s2, s14
	v_and_b32_e32 v23, 0x1ffc, v22
	v_lshlrev_b32_e32 v24, 2, v60
	s_movk_i32 s2, 0x4200
	s_ashr_i32 s17, s0, 5
	s_add_i32 s1, s9, s1
	v_add3_u32 v61, v23, v24, s2
	v_add_u32_e32 v23, 32, v22
	s_ashr_i32 s9, s1, 5
	v_lshlrev_b32_e32 v2, 2, v96
	s_movk_i32 s1, 0x84
	v_mul_lo_u32 v57, s17, v22
	v_lshlrev_b32_e32 v62, 5, v22
	v_and_b32_e32 v25, 0x3ffc, v23
	v_lshlrev_b32_e32 v70, 5, v23
	v_add_u32_e32 v23, 64, v22
	v_add_u32_e32 v22, 0x60, v22
	v_and_b32_e32 v6, 12, v2
	v_mad_u32_u24 v97, v1, s1, v2
	v_add3_u32 v63, v25, v24, s2
	v_and_b32_e32 v25, 0x3ffc, v23
	v_lshlrev_b32_e32 v72, 5, v23
	v_and_b32_e32 v23, 0x3ffc, v22
	v_and_b32_e32 v2, 28, v2
	v_add3_u32 v71, v25, v24, s2
	v_add3_u32 v73, v23, v24, s2
	v_lshlrev_b32_e32 v74, 5, v22
	v_and_b32_e32 v24, 31, v96
	s_waitcnt lgkmcnt(0)
	v_add_co_u32_e32 v22, vcc, s6, v2
	v_lshlrev_b32_e32 v2, 7, v1
	v_lshl_or_b32 v24, v24, 2, v2
	v_add_u32_e32 v114, 0x5280, v24
	v_mov_b32_e32 v24, 0x5680
	v_mul_lo_u32 v5, s17, v1
	v_add_u32_e32 v116, 0x5280, v2
	v_lshl_add_u32 v117, v1, 4, v24
	v_and_b32_e32 v1, 0xfc, v96
	v_lshlrev_b32_e32 v2, 5, v96
	v_or_b32_e32 v3, v3, v96
	v_add3_u32 v119, v2, v1, s2
	v_add_u32_e32 v1, 32, v96
	v_lshl_add_u32 v115, v3, 2, v24
	v_and_b32_e32 v2, 0x1fc, v1
	v_lshlrev_b32_e32 v3, 5, v1
	v_add3_u32 v120, v3, v2, s2
	v_add_u32_e32 v2, 64, v96
	v_and_b32_e32 v3, 0x1fc, v2
	v_lshlrev_b32_e32 v2, 5, v2
	s_abs_i32 s3, s11
	v_add3_u32 v121, v2, v3, s2
	v_cvt_f32_u32_e32 v3, s3
	v_add_u32_e32 v2, 0x60, v96
	v_and_b32_e32 v24, 0x1fc, v2
	v_lshlrev_b32_e32 v2, 5, v2
	v_add3_u32 v122, v2, v24, s2
	v_rcp_iflag_f32_e32 v2, v3
	s_sub_i32 s2, 0, s3
	s_waitcnt vmcnt(0)
	v_sub_u32_e32 v3, 0, v69
	v_max_i32_e32 v3, v69, v3
	v_mul_f32_e32 v2, 0x4f7ffffe, v2
	v_cvt_u32_f32_e32 v2, v2
	v_mov_b32_e32 v23, s7
	v_addc_co_u32_e32 v23, vcc, 0, v23, vcc
	v_mul_lo_u32 v24, s2, v2
	v_mul_hi_u32 v24, v2, v24
	v_add_u32_e32 v2, v2, v24
	v_mul_hi_u32 v2, v3, v2
	v_mul_lo_u32 v24, v2, s3
	v_sub_u32_e32 v3, v3, v24
	v_add_u32_e32 v24, 1, v2
	v_cmp_le_u32_e32 vcc, s3, v3
	v_cndmask_b32_e32 v2, v2, v24, vcc
	v_subrev_u32_e32 v24, s3, v3
	v_cndmask_b32_e32 v3, v3, v24, vcc
	v_lshrrev_b32_e32 v123, 3, v1
	v_xor_b32_e32 v1, s11, v69
	v_add_u32_e32 v24, 1, v2
	v_cmp_le_u32_e32 vcc, s3, v3
	v_ashrrev_i32_e32 v1, 31, v1
	v_cndmask_b32_e32 v2, v2, v24, vcc
	v_xor_b32_e32 v2, v2, v1
	v_sub_u32_e32 v1, v2, v1
	v_cmp_gt_i32_e64 s[2:3], s8, v1
	v_mul_lo_u32 v1, v1, s9
	v_ashrrev_i32_e32 v2, 31, v1
	v_add_co_u32_e32 v3, vcc, v1, v96
	s_mul_i32 s19, s17, s16
	v_addc_co_u32_e32 v24, vcc, 0, v2, vcc
	v_mad_u64_u32 v[2:3], s[22:23], v3, 36, s[6:7]
	s_movk_i32 s21, 0x90
	v_mad_i32_i24 v3, v24, 36, v3
	v_add_co_u32_e32 v24, vcc, s21, v2
	s_mul_hi_i32 s21, s19, 20
	s_mul_i32 s22, s19, 20
	v_lshrrev_b32_e32 v4, 2, v96
	v_addc_co_u32_e32 v25, vcc, 0, v3, vcc
	v_mov_b32_e32 v2, s22
	v_mov_b32_e32 v3, s21
	s_lshl_b32 s1, s17, 3
	v_mad_u64_u32 v[2:3], s[22:23], v4, 20, v[2:3]
	v_add_u32_e32 v7, s1, v5
	v_mad_u64_u32 v[4:5], s[22:23], v5, 20, v[2:3]
	v_add_u32_e32 v124, v96, v1
	v_add_u32_e32 v125, v123, v1
	;; [unrolled: 1-line block ×3, first 2 shown]
	v_add_co_u32_e32 v1, vcc, v4, v6
	v_addc_co_u32_e32 v4, vcc, 0, v5, vcc
	v_mov_b32_e32 v55, s5
	v_add_co_u32_e32 v1, vcc, s4, v1
	v_addc_co_u32_e32 v4, vcc, v4, v55, vcc
	v_add_co_u32_e32 v26, vcc, 4, v1
	v_addc_co_u32_e32 v1, vcc, 0, v4, vcc
	v_mad_u64_u32 v[4:5], s[22:23], v7, 20, v[2:3]
	v_add_co_u32_e32 v4, vcc, v4, v6
	v_addc_co_u32_e32 v5, vcc, 0, v5, vcc
	v_add_co_u32_e32 v4, vcc, s4, v4
	v_addc_co_u32_e32 v5, vcc, v5, v55, vcc
	v_add_u32_e32 v8, s1, v7
	v_add_co_u32_e32 v28, vcc, 4, v4
	v_addc_co_u32_e32 v27, vcc, 0, v5, vcc
	v_mad_u64_u32 v[4:5], s[22:23], v8, 20, v[2:3]
	v_add_co_u32_e32 v4, vcc, v4, v6
	v_addc_co_u32_e32 v5, vcc, 0, v5, vcc
	v_add_co_u32_e32 v4, vcc, s4, v4
	v_addc_co_u32_e32 v5, vcc, v5, v55, vcc
	v_add_u32_e32 v9, s1, v8
	;; [unrolled: 8-line block ×14, first 2 shown]
	v_add_co_u32_e32 v54, vcc, 4, v4
	v_addc_co_u32_e32 v53, vcc, 0, v5, vcc
	v_mad_u64_u32 v[2:3], s[22:23], v21, 20, v[2:3]
	v_add_co_u32_e32 v2, vcc, v2, v6
	v_addc_co_u32_e32 v3, vcc, 0, v3, vcc
	v_add_co_u32_e32 v2, vcc, s4, v2
	v_addc_co_u32_e32 v3, vcc, v3, v55, vcc
	;; [unrolled: 2-line block ×3, first 2 shown]
	v_mad_u64_u32 v[2:3], s[22:23], v57, 20, 0
	v_mad_i64_i32 v[2:3], s[22:23], s19, 20, v[2:3]
	s_andn2_b32 s0, s0, 31
	v_mad_u64_u32 v[2:3], s[22:23], v60, 20, v[2:3]
	v_add_u32_e32 v59, s0, v57
	v_mov_b32_e32 v4, s5
	v_add_co_u32_e32 v58, vcc, s4, v2
	v_addc_co_u32_e32 v57, vcc, v4, v3, vcc
	v_mad_u64_u32 v[2:3], s[22:23], v59, 20, 0
	v_mad_i64_i32 v[2:3], s[22:23], s19, 20, v[2:3]
	v_mad_u64_u32 v[2:3], s[22:23], v60, 20, v[2:3]
	v_add_u32_e32 v65, s0, v59
	v_add_co_u32_e32 v64, vcc, s4, v2
	v_addc_co_u32_e32 v59, vcc, v4, v3, vcc
	v_mad_u64_u32 v[2:3], s[22:23], v65, 20, 0
	v_mad_i64_i32 v[2:3], s[22:23], s19, 20, v[2:3]
	v_mad_u64_u32 v[2:3], s[22:23], v60, 20, v[2:3]
	v_add_u32_e32 v67, s0, v65
	v_add_co_u32_e32 v66, vcc, s4, v2
	v_addc_co_u32_e32 v65, vcc, v4, v3, vcc
	v_mad_u64_u32 v[2:3], s[22:23], v67, 20, 0
	v_mad_i64_i32 v[2:3], s[22:23], s19, 20, v[2:3]
	v_mad_u64_u32 v[2:3], s[22:23], v60, 20, v[2:3]
	s_ashr_i32 s20, s14, 31
	v_mul_u32_u24_e32 v118, 0x84, v96
	v_add_co_u32_e32 v68, vcc, s4, v2
	v_mov_b32_e32 v60, 0
	s_mov_b32 s18, 0
	v_add_u32_e32 v98, 0x420, v97
	v_add_u32_e32 v99, 0x840, v97
	;; [unrolled: 1-line block ×15, first 2 shown]
	v_cmp_gt_u32_e64 s[0:1], 4, v96
	v_addc_co_u32_e32 v67, vcc, v4, v3, vcc
	s_movk_i32 s19, 0x80
	v_add_u32_e32 v127, v61, v62
	v_add_u32_e32 v128, v63, v70
	;; [unrolled: 1-line block ×4, first 2 shown]
	v_mov_b32_e32 v131, s20
	v_add_u32_e32 v132, 0x1080, v118
	v_add_u32_e32 v133, 0x1088, v118
	v_mov_b32_e32 v61, v60
	v_mov_b32_e32 v62, v60
	;; [unrolled: 1-line block ×3, first 2 shown]
	s_branch .LBB179_6
.LBB179_4:                              ;   in Loop: Header=BB179_6 Depth=1
	s_or_b64 exec, exec, s[4:5]
	s_waitcnt lgkmcnt(0)
	s_barrier
	ds_read_b128 v[2:5], v117
	ds_read2_b32 v[70:71], v118 offset0:16 offset1:17
	ds_read_b128 v[14:17], v116
	ds_read_b128 v[18:21], v116 offset:16
	ds_read_b128 v[6:9], v116 offset:32
	ds_read_b128 v[10:13], v116 offset:48
	ds_read2_b32 v[72:73], v119 offset0:4 offset1:5
	s_waitcnt lgkmcnt(5)
	v_and_b32_e32 v74, 0xf0f0f0f, v70
	v_lshrrev_b32_e32 v70, 4, v70
	v_mov_b32_e32 v90, 0
	v_and_b32_e32 v70, 0xf0f0f0f, v70
	s_waitcnt lgkmcnt(4)
	v_dot4c_i32_i8_e32 v90, v74, v14
	s_waitcnt lgkmcnt(3)
	v_dot4c_i32_i8_e32 v90, v70, v18
	v_and_b32_e32 v70, 0xf0f0f0f, v71
	v_lshrrev_b32_e32 v71, 4, v71
	v_and_b32_e32 v74, 0xf0f0f0f, v71
	v_dot4c_i32_i8_e32 v90, v70, v15
	ds_read2_b32 v[70:71], v118 offset0:18 offset1:19
	v_dot4c_i32_i8_e32 v90, v74, v19
	ds_read2_b32 v[80:81], v118 offset0:20 offset1:21
	ds_read2_b32 v[82:83], v118 offset0:22 offset1:23
	;; [unrolled: 1-line block ×3, first 2 shown]
	s_waitcnt lgkmcnt(4)
	v_pk_mul_f16 v91, v2, v72
	v_mov_b32_e32 v140, 0
	s_waitcnt lgkmcnt(3)
	v_and_b32_e32 v74, 0xf0f0f0f, v70
	v_lshrrev_b32_e32 v70, 4, v70
	v_and_b32_e32 v70, 0xf0f0f0f, v70
	v_dot4c_i32_i8_e32 v90, v74, v16
	v_dot4c_i32_i8_e32 v90, v70, v20
	v_and_b32_e32 v70, 0xf0f0f0f, v71
	v_dot4c_i32_i8_e32 v90, v70, v17
	v_add_u32_e32 v70, 0x10c0, v118
	ds_read2_b32 v[76:77], v70 offset1:1
	ds_read2_b32 v[88:89], v118 offset0:26 offset1:27
	ds_read2_b32 v[74:75], v118 offset0:28 offset1:29
	;; [unrolled: 1-line block ×3, first 2 shown]
	v_lshrrev_b32_e32 v71, 4, v71
	s_waitcnt lgkmcnt(3)
	v_and_b32_e32 v72, 0xf0f0f0f, v76
	v_lshrrev_b32_e32 v76, 4, v76
	v_and_b32_e32 v76, 0xf0f0f0f, v76
	v_dot4c_i32_i8_e32 v140, v72, v14
	v_dot4c_i32_i8_e32 v140, v76, v18
	v_and_b32_e32 v72, 0xf0f0f0f, v77
	v_lshrrev_b32_e32 v76, 4, v77
	v_and_b32_e32 v71, 0xf0f0f0f, v71
	v_and_b32_e32 v76, 0xf0f0f0f, v76
	v_dot4c_i32_i8_e32 v140, v72, v15
	v_add_u32_e32 v72, 0x10c8, v118
	v_dot4c_i32_i8_e32 v90, v71, v21
	ds_read2_b32 v[92:93], v120 offset0:4 offset1:5
	ds_read2_b32 v[70:71], v122 offset0:6 offset1:7
	v_dot4c_i32_i8_e32 v140, v76, v19
	ds_read2_b32 v[76:77], v72 offset1:1
	v_add_u32_e32 v84, 0x2140, v118
	v_add_u32_e32 v72, 0x31c0, v118
	;; [unrolled: 1-line block ×3, first 2 shown]
	ds_read2_b32 v[94:95], v84 offset1:1
	ds_read2_b32 v[134:135], v85 offset1:1
	;; [unrolled: 1-line block ×3, first 2 shown]
	s_waitcnt lgkmcnt(3)
	v_and_b32_e32 v72, 0xf0f0f0f, v76
	v_lshrrev_b32_e32 v76, 4, v76
	v_and_b32_e32 v76, 0xf0f0f0f, v76
	v_dot4c_i32_i8_e32 v140, v72, v16
	v_dot4c_i32_i8_e32 v140, v76, v20
	v_and_b32_e32 v72, 0xf0f0f0f, v77
	v_dot4c_i32_i8_e32 v140, v72, v17
	s_waitcnt lgkmcnt(2)
	v_lshrrev_b32_e32 v72, 4, v94
	v_and_b32_e32 v141, 0xf0f0f0f, v94
	v_and_b32_e32 v94, 0xf0f0f0f, v72
	v_mov_b32_e32 v72, 0
	v_dot4c_i32_i8_e32 v72, v141, v14
	v_dot4c_i32_i8_e32 v72, v94, v18
	v_and_b32_e32 v94, 0xf0f0f0f, v95
	v_lshrrev_b32_e32 v95, 4, v95
	v_and_b32_e32 v95, 0xf0f0f0f, v95
	v_dot4c_i32_i8_e32 v72, v94, v15
	v_dot4c_i32_i8_e32 v72, v95, v19
	s_waitcnt lgkmcnt(1)
	v_and_b32_e32 v94, 0xf0f0f0f, v134
	v_lshrrev_b32_e32 v95, 4, v134
	v_and_b32_e32 v95, 0xf0f0f0f, v95
	v_dot4c_i32_i8_e32 v72, v94, v16
	v_dot4c_i32_i8_e32 v72, v95, v20
	v_and_b32_e32 v94, 0xf0f0f0f, v135
	v_lshrrev_b32_e32 v95, 4, v135
	v_and_b32_e32 v95, 0xf0f0f0f, v95
	v_dot4c_i32_i8_e32 v72, v94, v17
	v_dot4c_i32_i8_e32 v72, v95, v21
	s_waitcnt lgkmcnt(0)
	v_and_b32_e32 v94, 0xf0f0f0f, v136
	v_lshrrev_b32_e32 v95, 4, v136
	v_mov_b32_e32 v141, 0
	v_and_b32_e32 v95, 0xf0f0f0f, v95
	v_dot4c_i32_i8_e32 v141, v94, v14
	v_lshrrev_b32_e32 v76, 4, v77
	v_dot4c_i32_i8_e32 v141, v95, v18
	v_and_b32_e32 v14, 0xf0f0f0f, v137
	v_and_b32_e32 v76, 0xf0f0f0f, v76
	v_dot4c_i32_i8_e32 v141, v14, v15
	v_add_u32_e32 v14, 0x31c8, v118
	v_dot4c_i32_i8_e32 v140, v76, v21
	ds_read2_b32 v[138:139], v121 offset0:4 offset1:5
	ds_read2_b32 v[76:77], v120 offset0:6 offset1:7
	;; [unrolled: 1-line block ×3, first 2 shown]
	ds_read2_b32 v[14:15], v14 offset1:1
	v_lshrrev_b32_e32 v18, 4, v137
	v_and_b32_e32 v18, 0xf0f0f0f, v18
	v_dot4c_i32_i8_e32 v141, v18, v19
	v_add_u32_e32 v18, 0x10d0, v118
	v_add_u32_e32 v94, 0x10d8, v118
	;; [unrolled: 1-line block ×3, first 2 shown]
	s_waitcnt lgkmcnt(0)
	v_and_b32_e32 v136, 0xf0f0f0f, v14
	ds_read2_b32 v[18:19], v18 offset1:1
	ds_read2_b32 v[94:95], v94 offset1:1
	;; [unrolled: 1-line block ×3, first 2 shown]
	v_dot4c_i32_i8_e32 v141, v136, v16
	ds_read2_b32 v[136:137], v122 offset0:4 offset1:5
	v_lshrrev_b32_e32 v14, 4, v14
	v_and_b32_e32 v14, 0xf0f0f0f, v14
	v_dot4c_i32_i8_e32 v141, v14, v20
	v_and_b32_e32 v14, 0xf0f0f0f, v15
	v_lshrrev_b32_e32 v15, 4, v15
	v_and_b32_e32 v15, 0xf0f0f0f, v15
	v_dot4c_i32_i8_e32 v141, v14, v17
	v_pk_mul_f16 v92, v2, v92
	v_pk_mul_f16 v138, v2, v138
	v_dot4c_i32_i8_e32 v141, v15, v21
	ds_read2_b32 v[14:15], v121 offset0:6 offset1:7
	s_waitcnt lgkmcnt(1)
	v_pk_mul_f16 v136, v2, v136
	v_and_b32_e32 v2, 0xf0f0f0f, v80
	v_lshrrev_b32_e32 v16, 4, v80
	v_mov_b32_e32 v142, 0
	v_and_b32_e32 v16, 0xf0f0f0f, v16
	v_dot4c_i32_i8_e32 v142, v2, v6
	v_dot4c_i32_i8_e32 v142, v16, v10
	v_and_b32_e32 v2, 0xf0f0f0f, v81
	v_lshrrev_b32_e32 v16, 4, v81
	v_and_b32_e32 v16, 0xf0f0f0f, v16
	v_dot4c_i32_i8_e32 v142, v2, v7
	v_dot4c_i32_i8_e32 v142, v16, v11
	v_and_b32_e32 v2, 0xf0f0f0f, v82
	v_lshrrev_b32_e32 v16, 4, v82
	;; [unrolled: 5-line block ×4, first 2 shown]
	v_mov_b32_e32 v82, 0
	v_and_b32_e32 v16, 0xf0f0f0f, v16
	v_dot4c_i32_i8_e32 v82, v2, v6
	v_dot4c_i32_i8_e32 v82, v16, v10
	v_and_b32_e32 v2, 0xf0f0f0f, v19
	v_lshrrev_b32_e32 v16, 4, v19
	v_and_b32_e32 v16, 0xf0f0f0f, v16
	v_dot4c_i32_i8_e32 v82, v2, v7
	v_dot4c_i32_i8_e32 v82, v16, v11
	v_and_b32_e32 v2, 0xf0f0f0f, v94
	v_lshrrev_b32_e32 v16, 4, v94
	v_and_b32_e32 v16, 0xf0f0f0f, v16
	v_dot4c_i32_i8_e32 v82, v2, v8
	v_dot4c_i32_i8_e32 v82, v16, v12
	v_and_b32_e32 v2, 0xf0f0f0f, v95
	v_lshrrev_b32_e32 v16, 4, v95
	v_and_b32_e32 v16, 0xf0f0f0f, v16
	v_dot4c_i32_i8_e32 v82, v2, v9
	v_dot4c_i32_i8_e32 v82, v16, v13
	v_pk_mul_f16 v83, v3, v93
	v_and_b32_e32 v2, 0xf0f0f0f, v134
	v_lshrrev_b32_e32 v16, 4, v134
	v_mov_b32_e32 v93, 0
	v_and_b32_e32 v16, 0xf0f0f0f, v16
	v_dot4c_i32_i8_e32 v93, v2, v6
	v_dot4c_i32_i8_e32 v93, v16, v10
	v_and_b32_e32 v2, 0xf0f0f0f, v135
	v_lshrrev_b32_e32 v16, 4, v135
	v_and_b32_e32 v16, 0xf0f0f0f, v16
	v_dot4c_i32_i8_e32 v93, v2, v7
	v_add_u32_e32 v2, 0x2158, v118
	v_dot4c_i32_i8_e32 v93, v16, v11
	ds_read2_b32 v[16:17], v2 offset1:1
	v_add_u32_e32 v18, 0x31d0, v118
	v_add_u32_e32 v20, 0x31d8, v118
	;; [unrolled: 1-line block ×3, first 2 shown]
	ds_read2_b32 v[18:19], v18 offset1:1
	ds_read2_b32 v[20:21], v20 offset1:1
	;; [unrolled: 1-line block ×3, first 2 shown]
	s_waitcnt lgkmcnt(3)
	v_and_b32_e32 v2, 0xf0f0f0f, v16
	v_lshrrev_b32_e32 v16, 4, v16
	v_and_b32_e32 v16, 0xf0f0f0f, v16
	v_dot4c_i32_i8_e32 v93, v2, v8
	v_dot4c_i32_i8_e32 v93, v16, v12
	v_and_b32_e32 v2, 0xf0f0f0f, v17
	v_lshrrev_b32_e32 v16, 4, v17
	v_and_b32_e32 v16, 0xf0f0f0f, v16
	v_dot4c_i32_i8_e32 v93, v2, v9
	v_dot4c_i32_i8_e32 v93, v16, v13
	s_waitcnt lgkmcnt(2)
	v_and_b32_e32 v2, 0xf0f0f0f, v18
	v_lshrrev_b32_e32 v16, 4, v18
	v_mov_b32_e32 v95, 0
	v_and_b32_e32 v16, 0xf0f0f0f, v16
	v_dot4c_i32_i8_e32 v95, v2, v6
	v_dot4c_i32_i8_e32 v95, v16, v10
	v_and_b32_e32 v2, 0xf0f0f0f, v19
	v_lshrrev_b32_e32 v6, 4, v19
	v_and_b32_e32 v6, 0xf0f0f0f, v6
	v_dot4c_i32_i8_e32 v95, v2, v7
	v_dot4c_i32_i8_e32 v95, v6, v11
	s_waitcnt lgkmcnt(1)
	v_and_b32_e32 v2, 0xf0f0f0f, v20
	v_lshrrev_b32_e32 v6, 4, v20
	v_and_b32_e32 v6, 0xf0f0f0f, v6
	v_dot4c_i32_i8_e32 v95, v2, v8
	v_dot4c_i32_i8_e32 v95, v6, v12
	v_and_b32_e32 v2, 0xf0f0f0f, v21
	v_lshrrev_b32_e32 v6, 4, v21
	v_and_b32_e32 v6, 0xf0f0f0f, v6
	v_dot4c_i32_i8_e32 v95, v2, v9
	v_dot4c_i32_i8_e32 v95, v6, v13
	ds_read_b128 v[6:9], v116 offset:64
	ds_read_b128 v[10:13], v116 offset:80
	v_pk_mul_f16 v73, v3, v73
	v_pk_mul_f16 v94, v3, v139
	;; [unrolled: 1-line block ×3, first 2 shown]
	v_and_b32_e32 v2, 0xf0f0f0f, v86
	v_lshrrev_b32_e32 v3, 4, v86
	v_mov_b32_e32 v86, 0
	v_and_b32_e32 v3, 0xf0f0f0f, v3
	s_waitcnt lgkmcnt(1)
	v_dot4c_i32_i8_e32 v86, v2, v6
	s_waitcnt lgkmcnt(0)
	v_dot4c_i32_i8_e32 v86, v3, v10
	v_and_b32_e32 v2, 0xf0f0f0f, v87
	v_lshrrev_b32_e32 v3, 4, v87
	v_and_b32_e32 v3, 0xf0f0f0f, v3
	v_dot4c_i32_i8_e32 v86, v2, v7
	v_dot4c_i32_i8_e32 v86, v3, v11
	v_and_b32_e32 v2, 0xf0f0f0f, v88
	v_lshrrev_b32_e32 v3, 4, v88
	v_and_b32_e32 v3, 0xf0f0f0f, v3
	v_dot4c_i32_i8_e32 v86, v2, v8
	;; [unrolled: 5-line block ×3, first 2 shown]
	v_dot4c_i32_i8_e32 v86, v3, v13
	v_and_b32_e32 v2, 0xf0f0f0f, v80
	v_lshrrev_b32_e32 v3, 4, v80
	v_mov_b32_e32 v87, 0
	v_and_b32_e32 v3, 0xf0f0f0f, v3
	v_dot4c_i32_i8_e32 v87, v2, v6
	v_dot4c_i32_i8_e32 v87, v3, v10
	v_and_b32_e32 v2, 0xf0f0f0f, v81
	v_lshrrev_b32_e32 v3, 4, v81
	v_and_b32_e32 v3, 0xf0f0f0f, v3
	v_dot4c_i32_i8_e32 v87, v2, v7
	v_add_u32_e32 v2, 0x10e8, v118
	v_dot4c_i32_i8_e32 v87, v3, v11
	ds_read2_b32 v[2:3], v2 offset1:1
	v_add_u32_e32 v16, 0x2160, v118
	v_add_u32_e32 v18, 0x2168, v118
	v_add_u32_e32 v20, 0x31e0, v118
	ds_read2_b32 v[16:17], v16 offset1:1
	ds_read2_b32 v[18:19], v18 offset1:1
	;; [unrolled: 1-line block ×3, first 2 shown]
	s_waitcnt lgkmcnt(3)
	v_and_b32_e32 v80, 0xf0f0f0f, v2
	v_lshrrev_b32_e32 v2, 4, v2
	v_and_b32_e32 v2, 0xf0f0f0f, v2
	v_dot4c_i32_i8_e32 v87, v80, v8
	v_dot4c_i32_i8_e32 v87, v2, v12
	v_and_b32_e32 v2, 0xf0f0f0f, v3
	v_lshrrev_b32_e32 v3, 4, v3
	v_and_b32_e32 v3, 0xf0f0f0f, v3
	v_dot4c_i32_i8_e32 v87, v2, v9
	v_dot4c_i32_i8_e32 v87, v3, v13
	s_waitcnt lgkmcnt(2)
	v_and_b32_e32 v2, 0xf0f0f0f, v16
	v_lshrrev_b32_e32 v3, 4, v16
	v_mov_b32_e32 v88, 0
	v_and_b32_e32 v3, 0xf0f0f0f, v3
	v_dot4c_i32_i8_e32 v88, v2, v6
	v_dot4c_i32_i8_e32 v88, v3, v10
	v_and_b32_e32 v2, 0xf0f0f0f, v17
	v_lshrrev_b32_e32 v3, 4, v17
	v_and_b32_e32 v3, 0xf0f0f0f, v3
	v_dot4c_i32_i8_e32 v88, v2, v7
	v_dot4c_i32_i8_e32 v88, v3, v11
	s_waitcnt lgkmcnt(1)
	v_and_b32_e32 v2, 0xf0f0f0f, v18
	v_lshrrev_b32_e32 v3, 4, v18
	v_and_b32_e32 v3, 0xf0f0f0f, v3
	v_dot4c_i32_i8_e32 v88, v2, v8
	v_dot4c_i32_i8_e32 v88, v3, v12
	v_and_b32_e32 v2, 0xf0f0f0f, v19
	v_lshrrev_b32_e32 v3, 4, v19
	v_and_b32_e32 v3, 0xf0f0f0f, v3
	v_dot4c_i32_i8_e32 v88, v2, v9
	v_dot4c_i32_i8_e32 v88, v3, v13
	s_waitcnt lgkmcnt(0)
	v_and_b32_e32 v2, 0xf0f0f0f, v20
	v_lshrrev_b32_e32 v3, 4, v20
	v_mov_b32_e32 v135, 0
	v_and_b32_e32 v3, 0xf0f0f0f, v3
	v_dot4c_i32_i8_e32 v135, v2, v6
	v_dot4c_i32_i8_e32 v135, v3, v10
	v_and_b32_e32 v2, 0xf0f0f0f, v21
	v_lshrrev_b32_e32 v3, 4, v21
	v_and_b32_e32 v3, 0xf0f0f0f, v3
	v_dot4c_i32_i8_e32 v135, v2, v7
	v_add_u32_e32 v2, 0x31e8, v118
	v_dot4c_i32_i8_e32 v135, v3, v11
	ds_read2_b32 v[2:3], v2 offset1:1
	v_add_u32_e32 v6, 0x10f0, v118
	v_add_u32_e32 v7, 0x10f8, v118
	v_add_u32_e32 v10, 0x2170, v118
	ds_read2_b32 v[16:17], v6 offset1:1
	ds_read2_b32 v[18:19], v7 offset1:1
	;; [unrolled: 1-line block ×3, first 2 shown]
	s_waitcnt lgkmcnt(3)
	v_and_b32_e32 v6, 0xf0f0f0f, v2
	v_lshrrev_b32_e32 v2, 4, v2
	v_and_b32_e32 v2, 0xf0f0f0f, v2
	v_dot4c_i32_i8_e32 v135, v6, v8
	v_dot4c_i32_i8_e32 v135, v2, v12
	v_and_b32_e32 v2, 0xf0f0f0f, v3
	v_lshrrev_b32_e32 v3, 4, v3
	v_and_b32_e32 v3, 0xf0f0f0f, v3
	v_dot4c_i32_i8_e32 v135, v2, v9
	v_dot4c_i32_i8_e32 v135, v3, v13
	ds_read_b128 v[6:9], v116 offset:96
	ds_read_b128 v[10:13], v116 offset:112
	v_pk_mul_f16 v84, v4, v84
	v_pk_mul_f16 v76, v4, v76
	;; [unrolled: 1-line block ×4, first 2 shown]
	v_and_b32_e32 v2, 0xf0f0f0f, v74
	v_lshrrev_b32_e32 v3, 4, v74
	v_mov_b32_e32 v4, 0
	v_and_b32_e32 v3, 0xf0f0f0f, v3
	s_waitcnt lgkmcnt(1)
	v_dot4c_i32_i8_e32 v4, v2, v6
	s_waitcnt lgkmcnt(0)
	v_dot4c_i32_i8_e32 v4, v3, v10
	v_and_b32_e32 v2, 0xf0f0f0f, v75
	v_lshrrev_b32_e32 v3, 4, v75
	v_and_b32_e32 v3, 0xf0f0f0f, v3
	v_dot4c_i32_i8_e32 v4, v2, v7
	v_dot4c_i32_i8_e32 v4, v3, v11
	v_and_b32_e32 v2, 0xf0f0f0f, v78
	v_lshrrev_b32_e32 v3, 4, v78
	v_and_b32_e32 v3, 0xf0f0f0f, v3
	v_dot4c_i32_i8_e32 v4, v2, v8
	;; [unrolled: 5-line block ×3, first 2 shown]
	v_dot4c_i32_i8_e32 v4, v3, v13
	v_pk_mul_f16 v14, v5, v85
	v_and_b32_e32 v2, 0xf0f0f0f, v16
	v_lshrrev_b32_e32 v3, 4, v16
	v_mov_b32_e32 v85, 0
	v_and_b32_e32 v3, 0xf0f0f0f, v3
	v_dot4c_i32_i8_e32 v85, v2, v6
	v_dot4c_i32_i8_e32 v85, v3, v10
	v_and_b32_e32 v2, 0xf0f0f0f, v17
	v_lshrrev_b32_e32 v3, 4, v17
	v_and_b32_e32 v3, 0xf0f0f0f, v3
	v_dot4c_i32_i8_e32 v85, v2, v7
	v_dot4c_i32_i8_e32 v85, v3, v11
	v_and_b32_e32 v2, 0xf0f0f0f, v18
	v_lshrrev_b32_e32 v3, 4, v18
	;; [unrolled: 5-line block ×3, first 2 shown]
	v_and_b32_e32 v3, 0xf0f0f0f, v3
	v_dot4c_i32_i8_e32 v85, v2, v9
	v_dot4c_i32_i8_e32 v85, v3, v13
	v_cvt_f32_f16_e32 v3, v92
	v_cvt_f32_f16_e32 v2, v91
	v_cvt_f32_f16_sdwa v17, v92 dst_sel:DWORD dst_unused:UNUSED_PAD src0_sel:WORD_1
	v_cvt_f32_f16_sdwa v16, v91 dst_sel:DWORD dst_unused:UNUSED_PAD src0_sel:WORD_1
	v_cvt_f32_i32_e32 v19, v140
	v_cvt_f32_i32_e32 v18, v90
	v_cvt_f32_f16_e32 v75, v83
	v_cvt_f32_f16_e32 v74, v73
	v_cvt_f32_f16_sdwa v79, v83 dst_sel:DWORD dst_unused:UNUSED_PAD src0_sel:WORD_1
	v_cvt_f32_f16_sdwa v78, v73 dst_sel:DWORD dst_unused:UNUSED_PAD src0_sel:WORD_1
	v_cvt_f32_i32_e32 v81, v82
	v_cvt_f32_i32_e32 v80, v142
	v_pk_fma_f32 v[2:3], v[2:3], v[18:19], v[16:17]
	v_pk_mul_f16 v73, v5, v77
	v_pk_add_f32 v[2:3], v[60:61], v[2:3]
	v_pk_fma_f32 v[16:17], v[74:75], v[80:81], v[78:79]
	v_cvt_f32_f16_e32 v19, v76
	v_cvt_f32_f16_e32 v18, v84
	v_cvt_f32_f16_sdwa v61, v76 dst_sel:DWORD dst_unused:UNUSED_PAD src0_sel:WORD_1
	v_cvt_f32_f16_sdwa v60, v84 dst_sel:DWORD dst_unused:UNUSED_PAD src0_sel:WORD_1
	v_cvt_f32_i32_e32 v75, v87
	v_cvt_f32_i32_e32 v74, v86
	v_cvt_f32_f16_e32 v77, v73
	v_cvt_f32_f16_e32 v76, v14
	v_cvt_f32_f16_sdwa v79, v73 dst_sel:DWORD dst_unused:UNUSED_PAD src0_sel:WORD_1
	v_cvt_f32_f16_sdwa v78, v14 dst_sel:DWORD dst_unused:UNUSED_PAD src0_sel:WORD_1
	v_cvt_f32_i32_e32 v81, v85
	v_cvt_f32_i32_e32 v80, v4
	v_pk_add_f32 v[2:3], v[2:3], v[16:17]
	v_pk_fma_f32 v[16:17], v[18:19], v[74:75], v[60:61]
	v_pk_add_f32 v[2:3], v[2:3], v[16:17]
	v_pk_fma_f32 v[16:17], v[76:77], v[80:81], v[78:79]
	v_pk_add_f32 v[60:61], v[2:3], v[16:17]
	v_and_b32_e32 v2, 0xf0f0f0f, v20
	v_lshrrev_b32_e32 v3, 4, v20
	v_mov_b32_e32 v20, 0
	v_and_b32_e32 v3, 0xf0f0f0f, v3
	v_dot4c_i32_i8_e32 v20, v2, v6
	v_dot4c_i32_i8_e32 v20, v3, v10
	v_and_b32_e32 v2, 0xf0f0f0f, v21
	v_lshrrev_b32_e32 v3, 4, v21
	v_and_b32_e32 v3, 0xf0f0f0f, v3
	v_dot4c_i32_i8_e32 v20, v2, v7
	v_add_u32_e32 v2, 0x2178, v118
	v_dot4c_i32_i8_e32 v20, v3, v11
	ds_read2_b32 v[2:3], v2 offset1:1
	v_add_u32_e32 v4, 0x31f0, v118
	v_add_u32_e32 v14, 0x31f8, v118
	ds_read2_b32 v[16:17], v4 offset1:1
	ds_read2_b32 v[18:19], v14 offset1:1
	v_pk_mul_f16 v21, v5, v15
	s_waitcnt lgkmcnt(2)
	v_and_b32_e32 v4, 0xf0f0f0f, v2
	v_lshrrev_b32_e32 v2, 4, v2
	v_and_b32_e32 v2, 0xf0f0f0f, v2
	v_dot4c_i32_i8_e32 v20, v4, v8
	v_dot4c_i32_i8_e32 v20, v2, v12
	v_and_b32_e32 v2, 0xf0f0f0f, v3
	v_lshrrev_b32_e32 v3, 4, v3
	v_and_b32_e32 v3, 0xf0f0f0f, v3
	v_dot4c_i32_i8_e32 v20, v2, v9
	v_dot4c_i32_i8_e32 v20, v3, v13
	s_waitcnt lgkmcnt(1)
	v_and_b32_e32 v2, 0xf0f0f0f, v16
	v_lshrrev_b32_e32 v3, 4, v16
	v_mov_b32_e32 v16, 0
	v_and_b32_e32 v3, 0xf0f0f0f, v3
	v_dot4c_i32_i8_e32 v16, v2, v6
	v_dot4c_i32_i8_e32 v16, v3, v10
	v_and_b32_e32 v2, 0xf0f0f0f, v17
	v_lshrrev_b32_e32 v3, 4, v17
	v_and_b32_e32 v3, 0xf0f0f0f, v3
	v_dot4c_i32_i8_e32 v16, v2, v7
	v_dot4c_i32_i8_e32 v16, v3, v11
	s_waitcnt lgkmcnt(0)
	v_and_b32_e32 v2, 0xf0f0f0f, v18
	v_lshrrev_b32_e32 v3, 4, v18
	v_and_b32_e32 v3, 0xf0f0f0f, v3
	v_dot4c_i32_i8_e32 v16, v2, v8
	v_dot4c_i32_i8_e32 v16, v3, v12
	v_and_b32_e32 v2, 0xf0f0f0f, v19
	v_lshrrev_b32_e32 v3, 4, v19
	v_and_b32_e32 v3, 0xf0f0f0f, v3
	v_dot4c_i32_i8_e32 v16, v2, v9
	v_dot4c_i32_i8_e32 v16, v3, v13
	v_cvt_f32_f16_e32 v3, v136
	v_cvt_f32_f16_e32 v2, v138
	v_cvt_f32_f16_sdwa v7, v136 dst_sel:DWORD dst_unused:UNUSED_PAD src0_sel:WORD_1
	v_cvt_f32_f16_sdwa v6, v138 dst_sel:DWORD dst_unused:UNUSED_PAD src0_sel:WORD_1
	v_cvt_f32_i32_e32 v9, v141
	v_cvt_f32_i32_e32 v8, v72
	v_cvt_f32_f16_e32 v11, v134
	v_cvt_f32_f16_e32 v10, v94
	v_cvt_f32_f16_sdwa v13, v134 dst_sel:DWORD dst_unused:UNUSED_PAD src0_sel:WORD_1
	v_cvt_f32_f16_sdwa v12, v94 dst_sel:DWORD dst_unused:UNUSED_PAD src0_sel:WORD_1
	v_cvt_f32_i32_e32 v15, v95
	v_cvt_f32_i32_e32 v14, v93
	v_pk_mul_f16 v17, v5, v71
	v_pk_fma_f32 v[2:3], v[2:3], v[8:9], v[6:7]
	v_cvt_f32_f16_e32 v7, v70
	v_pk_fma_f32 v[4:5], v[10:11], v[14:15], v[12:13]
	v_cvt_f32_f16_e32 v6, v89
	v_cvt_f32_f16_sdwa v9, v70 dst_sel:DWORD dst_unused:UNUSED_PAD src0_sel:WORD_1
	v_cvt_f32_f16_sdwa v8, v89 dst_sel:DWORD dst_unused:UNUSED_PAD src0_sel:WORD_1
	v_cvt_f32_i32_e32 v11, v135
	v_cvt_f32_i32_e32 v10, v88
	v_cvt_f32_f16_e32 v13, v17
	v_cvt_f32_f16_e32 v12, v21
	v_cvt_f32_f16_sdwa v15, v17 dst_sel:DWORD dst_unused:UNUSED_PAD src0_sel:WORD_1
	v_cvt_f32_f16_sdwa v14, v21 dst_sel:DWORD dst_unused:UNUSED_PAD src0_sel:WORD_1
	v_cvt_f32_i32_e32 v17, v16
	v_cvt_f32_i32_e32 v16, v20
	v_pk_add_f32 v[2:3], v[62:63], v[2:3]
	v_pk_add_f32 v[2:3], v[2:3], v[4:5]
	v_pk_fma_f32 v[4:5], v[6:7], v[10:11], v[8:9]
	v_pk_add_f32 v[2:3], v[2:3], v[4:5]
	v_pk_fma_f32 v[4:5], v[12:13], v[16:17], v[14:15]
	v_pk_add_f32 v[62:63], v[2:3], v[4:5]
	s_barrier
.LBB179_5:                              ;   in Loop: Header=BB179_6 Depth=1
	v_add_co_u32_e32 v24, vcc, 0x120, v24
	v_addc_co_u32_e32 v25, vcc, 0, v25, vcc
	v_add_co_u32_e32 v26, vcc, 0xa0, v26
	v_addc_co_u32_e32 v1, vcc, 0, v1, vcc
	;; [unrolled: 2-line block ×20, first 2 shown]
	s_add_i32 s18, s18, 8
	s_addk_i32 s19, 0x100
	v_add_co_u32_e32 v68, vcc, 0xa0, v68
	s_cmp_ge_i32 s18, s17
	v_addc_co_u32_e32 v67, vcc, 0, v67, vcc
	s_cbranch_scc1 .LBB179_19
.LBB179_6:                              ; =>This Inner Loop Header: Depth=1
	v_add_co_u32_e32 v2, vcc, s14, v26
	v_addc_co_u32_e32 v3, vcc, v1, v131, vcc
	global_load_dword v4, v[2:3], off
	v_add_co_u32_e32 v2, vcc, s14, v28
	v_addc_co_u32_e32 v3, vcc, v27, v131, vcc
	global_load_dword v5, v[2:3], off
	;; [unrolled: 3-line block ×20, first 2 shown]
	s_add_i32 s4, s19, 0xffffff80
	s_cmp_lt_i32 s4, s15
	s_waitcnt vmcnt(19)
	ds_write_b32 v97, v4
	s_waitcnt vmcnt(18)
	ds_write_b32 v98, v5
	;; [unrolled: 2-line block ×20, first 2 shown]
	s_cbranch_scc0 .LBB179_5
; %bb.7:                                ;   in Loop: Header=BB179_6 Depth=1
	v_add_u32_e32 v2, s18, v113
	v_cmp_gt_i32_e32 vcc, s9, v2
	s_and_b64 s[20:21], s[2:3], vcc
	s_and_saveexec_b64 s[4:5], s[20:21]
	s_cbranch_execz .LBB179_9
; %bb.8:                                ;   in Loop: Header=BB179_6 Depth=1
	v_add_u32_e32 v2, s18, v126
	v_mad_i64_i32 v[2:3], s[20:21], v2, 36, v[22:23]
	global_load_dword v2, v[2:3], off offset:4
	s_waitcnt vmcnt(0)
	ds_write_b32 v114, v2
.LBB179_9:                              ;   in Loop: Header=BB179_6 Depth=1
	s_or_b64 exec, exec, s[4:5]
	s_and_saveexec_b64 s[4:5], s[0:1]
	s_cbranch_execz .LBB179_12
; %bb.10:                               ;   in Loop: Header=BB179_6 Depth=1
	v_add_u32_e32 v2, s18, v96
	v_cmp_gt_i32_e32 vcc, s9, v2
	s_and_b64 s[20:21], s[2:3], vcc
	s_and_b64 exec, exec, s[20:21]
	s_cbranch_execz .LBB179_12
; %bb.11:                               ;   in Loop: Header=BB179_6 Depth=1
	v_add_u32_e32 v2, s18, v124
	v_mad_i64_i32 v[2:3], s[20:21], v2, 36, s[6:7]
	global_load_dword v2, v[2:3], off
	s_waitcnt vmcnt(0)
	ds_write_b32 v115, v2
.LBB179_12:                             ;   in Loop: Header=BB179_6 Depth=1
	s_or_b64 exec, exec, s[4:5]
	s_waitcnt lgkmcnt(0)
	s_barrier
	ds_read_b128 v[2:5], v117
	ds_read2_b32 v[70:71], v118 offset1:1
	ds_read_b128 v[14:17], v116
	ds_read_b128 v[18:21], v116 offset:16
	ds_read_b128 v[6:9], v116 offset:32
	;; [unrolled: 1-line block ×3, first 2 shown]
	ds_read2_b32 v[72:73], v119 offset1:1
	s_waitcnt lgkmcnt(5)
	v_and_b32_e32 v74, 0xf0f0f0f, v70
	v_lshrrev_b32_e32 v70, 4, v70
	v_mov_b32_e32 v84, 0
	v_and_b32_e32 v70, 0xf0f0f0f, v70
	s_waitcnt lgkmcnt(4)
	v_dot4c_i32_i8_e32 v84, v74, v14
	s_waitcnt lgkmcnt(3)
	v_dot4c_i32_i8_e32 v84, v70, v18
	v_and_b32_e32 v70, 0xf0f0f0f, v71
	v_lshrrev_b32_e32 v71, 4, v71
	v_and_b32_e32 v74, 0xf0f0f0f, v71
	v_dot4c_i32_i8_e32 v84, v70, v15
	ds_read2_b32 v[70:71], v118 offset0:2 offset1:3
	v_dot4c_i32_i8_e32 v84, v74, v19
	ds_read2_b32 v[86:87], v118 offset0:4 offset1:5
	ds_read2_b32 v[88:89], v118 offset0:6 offset1:7
	;; [unrolled: 1-line block ×3, first 2 shown]
	s_waitcnt lgkmcnt(4)
	v_pk_mul_f16 v144, v2, v72
	v_mov_b32_e32 v85, 0
	s_waitcnt lgkmcnt(3)
	v_and_b32_e32 v74, 0xf0f0f0f, v70
	v_dot4c_i32_i8_e32 v84, v74, v16
	ds_read2_b32 v[94:95], v118 offset0:10 offset1:11
	ds_read2_b32 v[78:79], v118 offset0:12 offset1:13
	;; [unrolled: 1-line block ×3, first 2 shown]
	ds_read2_b32 v[74:75], v132 offset1:1
	v_lshrrev_b32_e32 v70, 4, v70
	v_and_b32_e32 v70, 0xf0f0f0f, v70
	v_dot4c_i32_i8_e32 v84, v70, v20
	v_and_b32_e32 v70, 0xf0f0f0f, v71
	s_waitcnt lgkmcnt(0)
	v_and_b32_e32 v72, 0xf0f0f0f, v74
	v_lshrrev_b32_e32 v74, 4, v74
	v_and_b32_e32 v74, 0xf0f0f0f, v74
	v_dot4c_i32_i8_e32 v85, v72, v14
	v_lshrrev_b32_e32 v71, 4, v71
	v_dot4c_i32_i8_e32 v85, v74, v18
	v_and_b32_e32 v72, 0xf0f0f0f, v75
	v_lshrrev_b32_e32 v74, 4, v75
	v_and_b32_e32 v71, 0xf0f0f0f, v71
	v_dot4c_i32_i8_e32 v84, v70, v17
	v_and_b32_e32 v74, 0xf0f0f0f, v74
	v_dot4c_i32_i8_e32 v85, v72, v15
	v_dot4c_i32_i8_e32 v84, v71, v21
	ds_read2_b32 v[134:135], v120 offset1:1
	ds_read2_b32 v[70:71], v122 offset0:2 offset1:3
	v_dot4c_i32_i8_e32 v85, v74, v19
	ds_read2_b32 v[74:75], v133 offset1:1
	v_add_u32_e32 v72, 0x2100, v118
	v_add_u32_e32 v77, 0x2108, v118
	;; [unrolled: 1-line block ×3, first 2 shown]
	ds_read2_b32 v[136:137], v72 offset1:1
	ds_read2_b32 v[138:139], v77 offset1:1
	;; [unrolled: 1-line block ×3, first 2 shown]
	s_waitcnt lgkmcnt(3)
	v_and_b32_e32 v72, 0xf0f0f0f, v74
	v_lshrrev_b32_e32 v74, 4, v74
	v_and_b32_e32 v74, 0xf0f0f0f, v74
	v_dot4c_i32_i8_e32 v85, v72, v16
	v_dot4c_i32_i8_e32 v85, v74, v20
	v_and_b32_e32 v72, 0xf0f0f0f, v75
	v_lshrrev_b32_e32 v74, 4, v75
	v_and_b32_e32 v74, 0xf0f0f0f, v74
	v_dot4c_i32_i8_e32 v85, v72, v17
	v_dot4c_i32_i8_e32 v85, v74, v21
	s_waitcnt lgkmcnt(2)
	v_and_b32_e32 v72, 0xf0f0f0f, v136
	v_lshrrev_b32_e32 v74, 4, v136
	v_mov_b32_e32 v145, 0
	v_and_b32_e32 v74, 0xf0f0f0f, v74
	v_dot4c_i32_i8_e32 v145, v72, v14
	v_dot4c_i32_i8_e32 v145, v74, v18
	v_and_b32_e32 v72, 0xf0f0f0f, v137
	v_lshrrev_b32_e32 v74, 4, v137
	v_and_b32_e32 v74, 0xf0f0f0f, v74
	v_dot4c_i32_i8_e32 v145, v72, v15
	v_dot4c_i32_i8_e32 v145, v74, v19
	s_waitcnt lgkmcnt(1)
	v_and_b32_e32 v72, 0xf0f0f0f, v138
	v_lshrrev_b32_e32 v74, 4, v138
	v_and_b32_e32 v74, 0xf0f0f0f, v74
	v_dot4c_i32_i8_e32 v145, v72, v16
	v_dot4c_i32_i8_e32 v145, v74, v20
	v_and_b32_e32 v72, 0xf0f0f0f, v139
	v_dot4c_i32_i8_e32 v145, v72, v17
	s_waitcnt lgkmcnt(0)
	v_and_b32_e32 v72, 0xf0f0f0f, v140
	v_lshrrev_b32_e32 v75, 4, v140
	v_mov_b32_e32 v146, 0
	v_and_b32_e32 v75, 0xf0f0f0f, v75
	v_dot4c_i32_i8_e32 v146, v72, v14
	v_dot4c_i32_i8_e32 v146, v75, v18
	v_and_b32_e32 v14, 0xf0f0f0f, v141
	v_dot4c_i32_i8_e32 v146, v14, v15
	v_add_u32_e32 v14, 0x3188, v118
	ds_read2_b32 v[142:143], v121 offset1:1
	ds_read2_b32 v[82:83], v120 offset0:2 offset1:3
	ds_read2_b32 v[90:91], v119 offset0:2 offset1:3
	v_lshrrev_b32_e32 v18, 4, v141
	ds_read2_b32 v[14:15], v14 offset1:1
	v_and_b32_e32 v18, 0xf0f0f0f, v18
	v_dot4c_i32_i8_e32 v146, v18, v19
	v_add_u32_e32 v18, 0x1090, v118
	v_lshrrev_b32_e32 v74, 4, v139
	v_add_u32_e32 v72, 0x1098, v118
	v_add_u32_e32 v75, 0x2110, v118
	ds_read2_b32 v[18:19], v18 offset1:1
	ds_read2_b32 v[136:137], v72 offset1:1
	;; [unrolled: 1-line block ×4, first 2 shown]
	s_waitcnt lgkmcnt(4)
	v_and_b32_e32 v72, 0xf0f0f0f, v14
	v_lshrrev_b32_e32 v14, 4, v14
	v_and_b32_e32 v74, 0xf0f0f0f, v74
	v_and_b32_e32 v14, 0xf0f0f0f, v14
	v_dot4c_i32_i8_e32 v146, v72, v16
	v_dot4c_i32_i8_e32 v145, v74, v21
	;; [unrolled: 1-line block ×3, first 2 shown]
	v_and_b32_e32 v14, 0xf0f0f0f, v15
	v_pk_mul_f16 v134, v2, v134
	v_pk_mul_f16 v142, v2, v142
	v_dot4c_i32_i8_e32 v146, v14, v17
	ds_read2_b32 v[16:17], v121 offset0:2 offset1:3
	s_waitcnt lgkmcnt(1)
	v_pk_mul_f16 v140, v2, v140
	v_cvt_f32_i32_e32 v14, v145
	v_and_b32_e32 v2, 0xf0f0f0f, v86
	v_lshrrev_b32_e32 v20, 4, v86
	v_mov_b32_e32 v145, 0
	v_and_b32_e32 v20, 0xf0f0f0f, v20
	v_dot4c_i32_i8_e32 v145, v2, v6
	v_dot4c_i32_i8_e32 v145, v20, v10
	v_and_b32_e32 v2, 0xf0f0f0f, v87
	v_lshrrev_b32_e32 v20, 4, v87
	v_and_b32_e32 v20, 0xf0f0f0f, v20
	v_dot4c_i32_i8_e32 v145, v2, v7
	v_dot4c_i32_i8_e32 v145, v20, v11
	v_and_b32_e32 v2, 0xf0f0f0f, v88
	v_lshrrev_b32_e32 v20, 4, v88
	;; [unrolled: 5-line block ×3, first 2 shown]
	v_dot4c_i32_i8_e32 v145, v2, v9
	v_and_b32_e32 v2, 0xf0f0f0f, v18
	v_lshrrev_b32_e32 v18, 4, v18
	v_mov_b32_e32 v89, 0
	v_and_b32_e32 v18, 0xf0f0f0f, v18
	v_dot4c_i32_i8_e32 v89, v2, v6
	v_dot4c_i32_i8_e32 v89, v18, v10
	v_and_b32_e32 v2, 0xf0f0f0f, v19
	v_lshrrev_b32_e32 v18, 4, v19
	v_and_b32_e32 v18, 0xf0f0f0f, v18
	v_dot4c_i32_i8_e32 v89, v2, v7
	v_dot4c_i32_i8_e32 v89, v18, v11
	v_and_b32_e32 v2, 0xf0f0f0f, v136
	v_lshrrev_b32_e32 v18, 4, v136
	;; [unrolled: 5-line block ×4, first 2 shown]
	v_mov_b32_e32 v136, 0
	v_and_b32_e32 v18, 0xf0f0f0f, v18
	v_dot4c_i32_i8_e32 v136, v2, v6
	v_dot4c_i32_i8_e32 v136, v18, v10
	v_and_b32_e32 v2, 0xf0f0f0f, v139
	v_lshrrev_b32_e32 v18, 4, v139
	v_and_b32_e32 v18, 0xf0f0f0f, v18
	v_dot4c_i32_i8_e32 v136, v2, v7
	v_add_u32_e32 v2, 0x2118, v118
	v_dot4c_i32_i8_e32 v136, v18, v11
	ds_read2_b32 v[18:19], v2 offset1:1
	v_lshrrev_b32_e32 v15, 4, v15
	v_and_b32_e32 v20, 0xf0f0f0f, v20
	v_and_b32_e32 v15, 0xf0f0f0f, v15
	v_dot4c_i32_i8_e32 v145, v20, v13
	v_add_u32_e32 v20, 0x3190, v118
	v_add_u32_e32 v72, 0x3198, v118
	;; [unrolled: 1-line block ×3, first 2 shown]
	v_dot4c_i32_i8_e32 v146, v15, v21
	v_pk_mul_f16 v88, v3, v73
	ds_read2_b32 v[20:21], v20 offset1:1
	ds_read2_b32 v[72:73], v72 offset1:1
	;; [unrolled: 1-line block ×3, first 2 shown]
	s_waitcnt lgkmcnt(3)
	v_and_b32_e32 v2, 0xf0f0f0f, v18
	v_lshrrev_b32_e32 v18, 4, v18
	v_and_b32_e32 v18, 0xf0f0f0f, v18
	v_dot4c_i32_i8_e32 v136, v2, v8
	v_dot4c_i32_i8_e32 v136, v18, v12
	v_and_b32_e32 v2, 0xf0f0f0f, v19
	v_lshrrev_b32_e32 v18, 4, v19
	v_and_b32_e32 v18, 0xf0f0f0f, v18
	v_dot4c_i32_i8_e32 v136, v2, v9
	v_dot4c_i32_i8_e32 v136, v18, v13
	s_waitcnt lgkmcnt(2)
	v_and_b32_e32 v2, 0xf0f0f0f, v20
	v_lshrrev_b32_e32 v18, 4, v20
	v_mov_b32_e32 v138, 0
	v_and_b32_e32 v18, 0xf0f0f0f, v18
	v_dot4c_i32_i8_e32 v138, v2, v6
	v_dot4c_i32_i8_e32 v138, v18, v10
	v_and_b32_e32 v2, 0xf0f0f0f, v21
	v_lshrrev_b32_e32 v6, 4, v21
	v_and_b32_e32 v6, 0xf0f0f0f, v6
	v_dot4c_i32_i8_e32 v138, v2, v7
	v_dot4c_i32_i8_e32 v138, v6, v11
	s_waitcnt lgkmcnt(1)
	v_and_b32_e32 v2, 0xf0f0f0f, v72
	v_lshrrev_b32_e32 v6, 4, v72
	v_and_b32_e32 v6, 0xf0f0f0f, v6
	v_dot4c_i32_i8_e32 v138, v2, v8
	v_dot4c_i32_i8_e32 v138, v6, v12
	v_and_b32_e32 v2, 0xf0f0f0f, v73
	v_lshrrev_b32_e32 v6, 4, v73
	v_and_b32_e32 v6, 0xf0f0f0f, v6
	v_dot4c_i32_i8_e32 v138, v2, v9
	v_dot4c_i32_i8_e32 v138, v6, v13
	ds_read_b128 v[6:9], v116 offset:64
	ds_read_b128 v[10:13], v116 offset:80
	v_pk_mul_f16 v135, v3, v135
	v_pk_mul_f16 v137, v3, v143
	;; [unrolled: 1-line block ×3, first 2 shown]
	v_and_b32_e32 v2, 0xf0f0f0f, v92
	v_lshrrev_b32_e32 v3, 4, v92
	v_mov_b32_e32 v92, 0
	v_and_b32_e32 v3, 0xf0f0f0f, v3
	s_waitcnt lgkmcnt(1)
	v_dot4c_i32_i8_e32 v92, v2, v6
	s_waitcnt lgkmcnt(0)
	v_dot4c_i32_i8_e32 v92, v3, v10
	v_and_b32_e32 v2, 0xf0f0f0f, v93
	v_lshrrev_b32_e32 v3, 4, v93
	v_and_b32_e32 v3, 0xf0f0f0f, v3
	v_dot4c_i32_i8_e32 v92, v2, v7
	v_dot4c_i32_i8_e32 v92, v3, v11
	v_and_b32_e32 v2, 0xf0f0f0f, v94
	v_lshrrev_b32_e32 v3, 4, v94
	v_and_b32_e32 v3, 0xf0f0f0f, v3
	v_dot4c_i32_i8_e32 v92, v2, v8
	;; [unrolled: 5-line block ×3, first 2 shown]
	v_dot4c_i32_i8_e32 v92, v3, v13
	v_and_b32_e32 v2, 0xf0f0f0f, v86
	v_lshrrev_b32_e32 v3, 4, v86
	v_mov_b32_e32 v86, 0
	v_and_b32_e32 v3, 0xf0f0f0f, v3
	v_dot4c_i32_i8_e32 v86, v2, v6
	v_dot4c_i32_i8_e32 v86, v3, v10
	v_and_b32_e32 v2, 0xf0f0f0f, v87
	v_lshrrev_b32_e32 v3, 4, v87
	v_and_b32_e32 v3, 0xf0f0f0f, v3
	v_dot4c_i32_i8_e32 v86, v2, v7
	v_add_u32_e32 v2, 0x10a8, v118
	v_dot4c_i32_i8_e32 v86, v3, v11
	ds_read2_b32 v[2:3], v2 offset1:1
	v_add_u32_e32 v18, 0x2120, v118
	v_add_u32_e32 v20, 0x2128, v118
	;; [unrolled: 1-line block ×3, first 2 shown]
	ds_read2_b32 v[18:19], v18 offset1:1
	ds_read2_b32 v[20:21], v20 offset1:1
	;; [unrolled: 1-line block ×3, first 2 shown]
	s_waitcnt lgkmcnt(3)
	v_and_b32_e32 v87, 0xf0f0f0f, v2
	v_lshrrev_b32_e32 v2, 4, v2
	v_and_b32_e32 v2, 0xf0f0f0f, v2
	v_dot4c_i32_i8_e32 v86, v87, v8
	v_dot4c_i32_i8_e32 v86, v2, v12
	v_and_b32_e32 v2, 0xf0f0f0f, v3
	v_lshrrev_b32_e32 v3, 4, v3
	v_and_b32_e32 v3, 0xf0f0f0f, v3
	v_dot4c_i32_i8_e32 v86, v2, v9
	v_dot4c_i32_i8_e32 v86, v3, v13
	s_waitcnt lgkmcnt(2)
	v_and_b32_e32 v2, 0xf0f0f0f, v18
	v_lshrrev_b32_e32 v3, 4, v18
	v_mov_b32_e32 v87, 0
	v_and_b32_e32 v3, 0xf0f0f0f, v3
	v_dot4c_i32_i8_e32 v87, v2, v6
	v_dot4c_i32_i8_e32 v87, v3, v10
	v_and_b32_e32 v2, 0xf0f0f0f, v19
	v_lshrrev_b32_e32 v3, 4, v19
	v_and_b32_e32 v3, 0xf0f0f0f, v3
	v_dot4c_i32_i8_e32 v87, v2, v7
	v_dot4c_i32_i8_e32 v87, v3, v11
	s_waitcnt lgkmcnt(1)
	v_and_b32_e32 v2, 0xf0f0f0f, v20
	v_lshrrev_b32_e32 v3, 4, v20
	v_and_b32_e32 v3, 0xf0f0f0f, v3
	v_dot4c_i32_i8_e32 v87, v2, v8
	v_dot4c_i32_i8_e32 v87, v3, v12
	v_and_b32_e32 v2, 0xf0f0f0f, v21
	v_lshrrev_b32_e32 v3, 4, v21
	v_and_b32_e32 v3, 0xf0f0f0f, v3
	v_dot4c_i32_i8_e32 v87, v2, v9
	v_dot4c_i32_i8_e32 v87, v3, v13
	s_waitcnt lgkmcnt(0)
	v_and_b32_e32 v2, 0xf0f0f0f, v72
	v_lshrrev_b32_e32 v3, 4, v72
	v_mov_b32_e32 v93, 0
	v_and_b32_e32 v3, 0xf0f0f0f, v3
	v_dot4c_i32_i8_e32 v93, v2, v6
	v_dot4c_i32_i8_e32 v93, v3, v10
	v_and_b32_e32 v2, 0xf0f0f0f, v73
	v_lshrrev_b32_e32 v3, 4, v73
	v_and_b32_e32 v3, 0xf0f0f0f, v3
	v_dot4c_i32_i8_e32 v93, v2, v7
	v_add_u32_e32 v2, 0x31a8, v118
	v_dot4c_i32_i8_e32 v93, v3, v11
	ds_read2_b32 v[2:3], v2 offset1:1
	v_add_u32_e32 v6, 0x10b0, v118
	v_add_u32_e32 v7, 0x10b8, v118
	;; [unrolled: 1-line block ×3, first 2 shown]
	ds_read2_b32 v[18:19], v6 offset1:1
	ds_read2_b32 v[20:21], v7 offset1:1
	;; [unrolled: 1-line block ×3, first 2 shown]
	s_waitcnt lgkmcnt(3)
	v_and_b32_e32 v6, 0xf0f0f0f, v2
	v_lshrrev_b32_e32 v2, 4, v2
	v_and_b32_e32 v2, 0xf0f0f0f, v2
	v_dot4c_i32_i8_e32 v93, v6, v8
	v_dot4c_i32_i8_e32 v93, v2, v12
	v_and_b32_e32 v2, 0xf0f0f0f, v3
	v_lshrrev_b32_e32 v3, 4, v3
	v_and_b32_e32 v3, 0xf0f0f0f, v3
	v_dot4c_i32_i8_e32 v93, v2, v9
	v_dot4c_i32_i8_e32 v93, v3, v13
	ds_read_b128 v[6:9], v116 offset:96
	ds_read_b128 v[10:13], v116 offset:112
	v_pk_mul_f16 v90, v4, v90
	v_pk_mul_f16 v82, v4, v82
	;; [unrolled: 1-line block ×4, first 2 shown]
	v_and_b32_e32 v2, 0xf0f0f0f, v78
	v_lshrrev_b32_e32 v3, 4, v78
	v_mov_b32_e32 v4, 0
	v_and_b32_e32 v3, 0xf0f0f0f, v3
	s_waitcnt lgkmcnt(1)
	v_dot4c_i32_i8_e32 v4, v2, v6
	s_waitcnt lgkmcnt(0)
	v_dot4c_i32_i8_e32 v4, v3, v10
	v_and_b32_e32 v2, 0xf0f0f0f, v79
	v_lshrrev_b32_e32 v3, 4, v79
	v_and_b32_e32 v3, 0xf0f0f0f, v3
	v_dot4c_i32_i8_e32 v4, v2, v7
	v_dot4c_i32_i8_e32 v4, v3, v11
	v_and_b32_e32 v2, 0xf0f0f0f, v80
	v_lshrrev_b32_e32 v3, 4, v80
	v_and_b32_e32 v3, 0xf0f0f0f, v3
	v_dot4c_i32_i8_e32 v4, v2, v8
	;; [unrolled: 5-line block ×3, first 2 shown]
	v_dot4c_i32_i8_e32 v4, v3, v13
	v_pk_mul_f16 v80, v5, v91
	v_and_b32_e32 v2, 0xf0f0f0f, v18
	v_lshrrev_b32_e32 v3, 4, v18
	v_mov_b32_e32 v91, 0
	v_and_b32_e32 v3, 0xf0f0f0f, v3
	v_dot4c_i32_i8_e32 v91, v2, v6
	v_dot4c_i32_i8_e32 v91, v3, v10
	v_and_b32_e32 v2, 0xf0f0f0f, v19
	v_lshrrev_b32_e32 v3, 4, v19
	v_and_b32_e32 v3, 0xf0f0f0f, v3
	v_dot4c_i32_i8_e32 v91, v2, v7
	v_dot4c_i32_i8_e32 v91, v3, v11
	v_and_b32_e32 v2, 0xf0f0f0f, v20
	v_lshrrev_b32_e32 v3, 4, v20
	;; [unrolled: 5-line block ×3, first 2 shown]
	v_and_b32_e32 v3, 0xf0f0f0f, v3
	v_dot4c_i32_i8_e32 v91, v2, v9
	v_cvt_f32_f16_e32 v76, v144
	v_cvt_f32_f16_e32 v77, v134
	v_cvt_f32_i32_e32 v85, v85
	v_cvt_f32_i32_e32 v84, v84
	v_dot4c_i32_i8_e32 v91, v3, v13
	v_cvt_f32_f16_sdwa v3, v134 dst_sel:DWORD dst_unused:UNUSED_PAD src0_sel:WORD_1
	v_cvt_f32_f16_sdwa v2, v144 dst_sel:DWORD dst_unused:UNUSED_PAD src0_sel:WORD_1
	v_cvt_f32_f16_e32 v19, v135
	v_cvt_f32_f16_e32 v18, v88
	v_cvt_f32_f16_sdwa v21, v135 dst_sel:DWORD dst_unused:UNUSED_PAD src0_sel:WORD_1
	v_cvt_f32_f16_sdwa v20, v88 dst_sel:DWORD dst_unused:UNUSED_PAD src0_sel:WORD_1
	v_cvt_f32_i32_e32 v79, v89
	v_cvt_f32_i32_e32 v78, v145
	v_pk_fma_f32 v[2:3], v[76:77], v[84:85], v[2:3]
	v_pk_mul_f16 v81, v5, v83
	v_pk_add_f32 v[2:3], v[60:61], v[2:3]
	v_pk_fma_f32 v[18:19], v[18:19], v[78:79], v[20:21]
	v_cvt_f32_f16_e32 v21, v82
	v_cvt_f32_f16_e32 v20, v90
	v_cvt_f32_f16_sdwa v61, v82 dst_sel:DWORD dst_unused:UNUSED_PAD src0_sel:WORD_1
	v_cvt_f32_f16_sdwa v60, v90 dst_sel:DWORD dst_unused:UNUSED_PAD src0_sel:WORD_1
	v_cvt_f32_i32_e32 v77, v86
	v_cvt_f32_i32_e32 v76, v92
	v_cvt_f32_f16_e32 v79, v81
	v_cvt_f32_f16_e32 v78, v80
	v_cvt_f32_f16_sdwa v81, v81 dst_sel:DWORD dst_unused:UNUSED_PAD src0_sel:WORD_1
	v_cvt_f32_f16_sdwa v80, v80 dst_sel:DWORD dst_unused:UNUSED_PAD src0_sel:WORD_1
	v_cvt_f32_i32_e32 v83, v91
	v_cvt_f32_i32_e32 v82, v4
	v_pk_add_f32 v[2:3], v[2:3], v[18:19]
	v_pk_fma_f32 v[18:19], v[20:21], v[76:77], v[60:61]
	v_pk_add_f32 v[2:3], v[2:3], v[18:19]
	v_pk_fma_f32 v[18:19], v[78:79], v[82:83], v[80:81]
	v_pk_add_f32 v[60:61], v[2:3], v[18:19]
	v_and_b32_e32 v2, 0xf0f0f0f, v72
	v_lshrrev_b32_e32 v3, 4, v72
	v_mov_b32_e32 v72, 0
	v_and_b32_e32 v3, 0xf0f0f0f, v3
	v_dot4c_i32_i8_e32 v72, v2, v6
	v_dot4c_i32_i8_e32 v72, v3, v10
	v_and_b32_e32 v2, 0xf0f0f0f, v73
	v_lshrrev_b32_e32 v3, 4, v73
	v_and_b32_e32 v3, 0xf0f0f0f, v3
	v_dot4c_i32_i8_e32 v72, v2, v7
	v_add_u32_e32 v2, 0x2138, v118
	v_dot4c_i32_i8_e32 v72, v3, v11
	ds_read2_b32 v[2:3], v2 offset1:1
	v_add_u32_e32 v4, 0x31b0, v118
	v_add_u32_e32 v20, 0x31b8, v118
	ds_read2_b32 v[18:19], v4 offset1:1
	ds_read2_b32 v[20:21], v20 offset1:1
	v_cvt_f32_f16_e32 v74, v142
	s_waitcnt lgkmcnt(2)
	v_and_b32_e32 v4, 0xf0f0f0f, v2
	v_lshrrev_b32_e32 v2, 4, v2
	v_and_b32_e32 v2, 0xf0f0f0f, v2
	v_dot4c_i32_i8_e32 v72, v4, v8
	v_dot4c_i32_i8_e32 v72, v2, v12
	v_and_b32_e32 v2, 0xf0f0f0f, v3
	v_lshrrev_b32_e32 v3, 4, v3
	v_and_b32_e32 v3, 0xf0f0f0f, v3
	v_dot4c_i32_i8_e32 v72, v2, v9
	v_dot4c_i32_i8_e32 v72, v3, v13
	s_waitcnt lgkmcnt(1)
	v_and_b32_e32 v2, 0xf0f0f0f, v18
	v_lshrrev_b32_e32 v3, 4, v18
	v_mov_b32_e32 v18, 0
	v_and_b32_e32 v3, 0xf0f0f0f, v3
	v_dot4c_i32_i8_e32 v18, v2, v6
	v_dot4c_i32_i8_e32 v18, v3, v10
	v_and_b32_e32 v2, 0xf0f0f0f, v19
	v_lshrrev_b32_e32 v3, 4, v19
	v_and_b32_e32 v3, 0xf0f0f0f, v3
	v_dot4c_i32_i8_e32 v18, v2, v7
	v_dot4c_i32_i8_e32 v18, v3, v11
	s_waitcnt lgkmcnt(0)
	v_and_b32_e32 v2, 0xf0f0f0f, v20
	v_lshrrev_b32_e32 v3, 4, v20
	v_and_b32_e32 v3, 0xf0f0f0f, v3
	v_dot4c_i32_i8_e32 v18, v2, v8
	v_dot4c_i32_i8_e32 v18, v3, v12
	v_and_b32_e32 v2, 0xf0f0f0f, v21
	v_lshrrev_b32_e32 v3, 4, v21
	v_and_b32_e32 v3, 0xf0f0f0f, v3
	v_dot4c_i32_i8_e32 v18, v2, v9
	v_cvt_f32_f16_e32 v7, v139
	v_cvt_f32_f16_e32 v6, v137
	v_cvt_f32_f16_sdwa v9, v139 dst_sel:DWORD dst_unused:UNUSED_PAD src0_sel:WORD_1
	v_cvt_f32_f16_sdwa v8, v137 dst_sel:DWORD dst_unused:UNUSED_PAD src0_sel:WORD_1
	v_cvt_f32_i32_e32 v11, v138
	v_cvt_f32_i32_e32 v10, v136
	v_cvt_f32_f16_e32 v75, v140
	v_cvt_f32_i32_e32 v15, v146
	v_dot4c_i32_i8_e32 v18, v3, v13
	v_cvt_f32_f16_sdwa v3, v140 dst_sel:DWORD dst_unused:UNUSED_PAD src0_sel:WORD_1
	v_cvt_f32_f16_sdwa v2, v142 dst_sel:DWORD dst_unused:UNUSED_PAD src0_sel:WORD_1
	v_pk_mul_f16 v17, v5, v17
	v_pk_mul_f16 v19, v5, v71
	v_pk_fma_f32 v[4:5], v[6:7], v[10:11], v[8:9]
	v_cvt_f32_f16_e32 v7, v70
	v_cvt_f32_f16_e32 v6, v16
	v_cvt_f32_f16_sdwa v9, v70 dst_sel:DWORD dst_unused:UNUSED_PAD src0_sel:WORD_1
	v_cvt_f32_f16_sdwa v8, v16 dst_sel:DWORD dst_unused:UNUSED_PAD src0_sel:WORD_1
	v_cvt_f32_i32_e32 v11, v93
	v_cvt_f32_i32_e32 v10, v87
	v_pk_fma_f32 v[2:3], v[74:75], v[14:15], v[2:3]
	v_cvt_f32_f16_e32 v13, v19
	v_cvt_f32_f16_e32 v12, v17
	v_cvt_f32_f16_sdwa v15, v19 dst_sel:DWORD dst_unused:UNUSED_PAD src0_sel:WORD_1
	v_cvt_f32_f16_sdwa v14, v17 dst_sel:DWORD dst_unused:UNUSED_PAD src0_sel:WORD_1
	v_cvt_f32_i32_e32 v17, v18
	v_cvt_f32_i32_e32 v16, v72
	v_pk_add_f32 v[2:3], v[62:63], v[2:3]
	v_pk_add_f32 v[2:3], v[2:3], v[4:5]
	v_pk_fma_f32 v[4:5], v[6:7], v[10:11], v[8:9]
	v_pk_add_f32 v[2:3], v[2:3], v[4:5]
	v_pk_fma_f32 v[4:5], v[12:13], v[16:17], v[14:15]
	v_pk_add_f32 v[62:63], v[2:3], v[4:5]
	s_cmp_ge_i32 s19, s15
	s_barrier
	s_cbranch_scc1 .LBB179_5
; %bb.13:                               ;   in Loop: Header=BB179_6 Depth=1
	v_add_u32_e32 v2, s18, v123
	v_cmp_gt_i32_e32 vcc, s9, v2
	s_and_b64 s[20:21], s[2:3], vcc
	s_and_saveexec_b64 s[4:5], s[20:21]
	s_cbranch_execz .LBB179_15
; %bb.14:                               ;   in Loop: Header=BB179_6 Depth=1
	v_add_u32_e32 v2, s18, v125
	v_mad_i64_i32 v[2:3], s[20:21], v2, 36, v[22:23]
	global_load_dword v2, v[2:3], off offset:4
	s_waitcnt vmcnt(0)
	ds_write_b32 v114, v2
.LBB179_15:                             ;   in Loop: Header=BB179_6 Depth=1
	s_or_b64 exec, exec, s[4:5]
	s_and_saveexec_b64 s[4:5], s[0:1]
	s_cbranch_execz .LBB179_4
; %bb.16:                               ;   in Loop: Header=BB179_6 Depth=1
	v_add3_u32 v2, v96, s18, 4
	v_cmp_gt_i32_e32 vcc, s9, v2
	s_and_b64 s[20:21], s[2:3], vcc
	s_and_b64 exec, exec, s[20:21]
	s_cbranch_execz .LBB179_4
; %bb.17:                               ;   in Loop: Header=BB179_6 Depth=1
	global_load_dword v2, v[24:25], off
	s_waitcnt vmcnt(0)
	ds_write_b32 v115, v2
	s_branch .LBB179_4
.LBB179_18:
	v_mov_b32_e32 v62, v63
	v_mov_b32_e32 v61, v63
	;; [unrolled: 1-line block ×3, first 2 shown]
.LBB179_19:
	s_mul_i32 s0, s11, s8
	s_waitcnt vmcnt(0)
	v_cmp_gt_i32_e32 vcc, s0, v69
	s_and_saveexec_b64 s[0:1], vcc
	s_cbranch_execz .LBB179_28
; %bb.20:
	v_and_b32_e32 v0, 0x3ff, v0
	v_add_u32_e32 v1, s16, v0
	v_mul_lo_u32 v0, v69, s10
	v_cmp_gt_u32_e32 vcc, s10, v1
	s_and_saveexec_b64 s[0:1], vcc
	s_cbranch_execz .LBB179_22
; %bb.21:
	v_add_u32_e32 v2, v0, v1
	v_mov_b32_e32 v3, 0
	v_lshlrev_b64 v[2:3], 2, v[2:3]
	v_mov_b32_e32 v4, s13
	v_add_co_u32_e32 v2, vcc, s12, v2
	v_addc_co_u32_e32 v3, vcc, v4, v3, vcc
	global_store_dword v[2:3], v60, off
.LBB179_22:
	s_or_b64 exec, exec, s[0:1]
	v_add_u32_e32 v2, 32, v1
	v_cmp_gt_u32_e32 vcc, s10, v2
	s_and_saveexec_b64 s[0:1], vcc
	s_cbranch_execz .LBB179_24
; %bb.23:
	v_add_u32_e32 v2, v0, v2
	v_mov_b32_e32 v3, 0
	v_lshlrev_b64 v[2:3], 2, v[2:3]
	v_mov_b32_e32 v4, s13
	v_add_co_u32_e32 v2, vcc, s12, v2
	v_addc_co_u32_e32 v3, vcc, v4, v3, vcc
	global_store_dword v[2:3], v61, off
.LBB179_24:
	s_or_b64 exec, exec, s[0:1]
	v_add_u32_e32 v2, 64, v1
	;; [unrolled: 14-line block ×3, first 2 shown]
	v_cmp_gt_u32_e32 vcc, s10, v1
	s_and_b64 exec, exec, vcc
	s_cbranch_execz .LBB179_28
; %bb.27:
	v_add_u32_e32 v0, v0, v1
	v_mov_b32_e32 v1, 0
	v_lshlrev_b64 v[0:1], 2, v[0:1]
	v_mov_b32_e32 v2, s13
	v_add_co_u32_e32 v0, vcc, s12, v0
	v_addc_co_u32_e32 v1, vcc, v2, v1, vcc
	global_store_dword v[0:1], v63, off
.LBB179_28:
	s_endpgm
	.section	.rodata,"a",@progbits
	.p2align	6, 0x0
	.amdhsa_kernel _ZL8moe_q4_1IfLb0EEvPKvS1_PT_PKiS5_S5_iiiiiii
		.amdhsa_group_segment_fixed_size 22272
		.amdhsa_private_segment_fixed_size 0
		.amdhsa_kernarg_size 76
		.amdhsa_user_sgpr_count 6
		.amdhsa_user_sgpr_private_segment_buffer 1
		.amdhsa_user_sgpr_dispatch_ptr 0
		.amdhsa_user_sgpr_queue_ptr 0
		.amdhsa_user_sgpr_kernarg_segment_ptr 1
		.amdhsa_user_sgpr_dispatch_id 0
		.amdhsa_user_sgpr_flat_scratch_init 0
		.amdhsa_user_sgpr_kernarg_preload_length 0
		.amdhsa_user_sgpr_kernarg_preload_offset 0
		.amdhsa_user_sgpr_private_segment_size 0
		.amdhsa_uses_dynamic_stack 0
		.amdhsa_system_sgpr_private_segment_wavefront_offset 0
		.amdhsa_system_sgpr_workgroup_id_x 1
		.amdhsa_system_sgpr_workgroup_id_y 1
		.amdhsa_system_sgpr_workgroup_id_z 0
		.amdhsa_system_sgpr_workgroup_info 0
		.amdhsa_system_vgpr_workitem_id 1
		.amdhsa_next_free_vgpr 147
		.amdhsa_next_free_sgpr 24
		.amdhsa_accum_offset 148
		.amdhsa_reserve_vcc 1
		.amdhsa_reserve_flat_scratch 0
		.amdhsa_float_round_mode_32 0
		.amdhsa_float_round_mode_16_64 0
		.amdhsa_float_denorm_mode_32 3
		.amdhsa_float_denorm_mode_16_64 3
		.amdhsa_dx10_clamp 1
		.amdhsa_ieee_mode 1
		.amdhsa_fp16_overflow 0
		.amdhsa_tg_split 0
		.amdhsa_exception_fp_ieee_invalid_op 0
		.amdhsa_exception_fp_denorm_src 0
		.amdhsa_exception_fp_ieee_div_zero 0
		.amdhsa_exception_fp_ieee_overflow 0
		.amdhsa_exception_fp_ieee_underflow 0
		.amdhsa_exception_fp_ieee_inexact 0
		.amdhsa_exception_int_div_zero 0
	.end_amdhsa_kernel
	.section	.text._ZL8moe_q4_1IfLb0EEvPKvS1_PT_PKiS5_S5_iiiiiii,"axG",@progbits,_ZL8moe_q4_1IfLb0EEvPKvS1_PT_PKiS5_S5_iiiiiii,comdat
.Lfunc_end179:
	.size	_ZL8moe_q4_1IfLb0EEvPKvS1_PT_PKiS5_S5_iiiiiii, .Lfunc_end179-_ZL8moe_q4_1IfLb0EEvPKvS1_PT_PKiS5_S5_iiiiiii
                                        ; -- End function
	.section	.AMDGPU.csdata,"",@progbits
; Kernel info:
; codeLenInByte = 9212
; NumSgprs: 28
; NumVgprs: 147
; NumAgprs: 0
; TotalNumVgprs: 147
; ScratchSize: 0
; MemoryBound: 0
; FloatMode: 240
; IeeeMode: 1
; LDSByteSize: 22272 bytes/workgroup (compile time only)
; SGPRBlocks: 3
; VGPRBlocks: 18
; NumSGPRsForWavesPerEU: 28
; NumVGPRsForWavesPerEU: 147
; AccumOffset: 148
; Occupancy: 2
; WaveLimiterHint : 1
; COMPUTE_PGM_RSRC2:SCRATCH_EN: 0
; COMPUTE_PGM_RSRC2:USER_SGPR: 6
; COMPUTE_PGM_RSRC2:TRAP_HANDLER: 0
; COMPUTE_PGM_RSRC2:TGID_X_EN: 1
; COMPUTE_PGM_RSRC2:TGID_Y_EN: 1
; COMPUTE_PGM_RSRC2:TGID_Z_EN: 0
; COMPUTE_PGM_RSRC2:TIDIG_COMP_CNT: 1
; COMPUTE_PGM_RSRC3_GFX90A:ACCUM_OFFSET: 36
; COMPUTE_PGM_RSRC3_GFX90A:TG_SPLIT: 0
	.section	.text._ZL8moe_q4_1IfLb1EEvPKvS1_PT_PKiS5_S5_iiiiiii,"axG",@progbits,_ZL8moe_q4_1IfLb1EEvPKvS1_PT_PKiS5_S5_iiiiiii,comdat
	.globl	_ZL8moe_q4_1IfLb1EEvPKvS1_PT_PKiS5_S5_iiiiiii ; -- Begin function _ZL8moe_q4_1IfLb1EEvPKvS1_PT_PKiS5_S5_iiiiiii
	.p2align	8
	.type	_ZL8moe_q4_1IfLb1EEvPKvS1_PT_PKiS5_S5_iiiiiii,@function
_ZL8moe_q4_1IfLb1EEvPKvS1_PT_PKiS5_S5_iiiiiii: ; @_ZL8moe_q4_1IfLb1EEvPKvS1_PT_PKiS5_S5_iiiiiii
; %bb.0:
	s_load_dwordx4 s[0:3], s[4:5], 0x18
	s_mov_b32 s8, s7
	s_mov_b32 s9, 0
	s_lshl_b64 s[10:11], s[8:9], 2
	s_waitcnt lgkmcnt(0)
	s_add_u32 s2, s2, s10
	s_addc_u32 s3, s3, s11
	s_load_dword s2, s[2:3], 0x0
	s_waitcnt lgkmcnt(0)
	s_cmpk_gt_u32 s2, 0xff
	s_cbranch_scc1 .LBB180_28
; %bb.1:
	s_load_dwordx2 s[10:11], s[4:5], 0x28
	s_lshl_b32 s3, s8, 3
	s_waitcnt lgkmcnt(0)
	s_load_dword s7, s[10:11], 0x0
	s_waitcnt lgkmcnt(0)
	s_cmp_gt_u32 s3, s7
	s_cbranch_scc1 .LBB180_28
; %bb.2:
	v_bfe_u32 v1, v0, 10, 10
	v_add_u32_e32 v94, s3, v1
	v_mov_b32_e32 v95, 0
	v_lshlrev_b64 v[2:3], 2, v[94:95]
	v_mov_b32_e32 v4, s1
	v_add_co_u32_e32 v2, vcc, s0, v2
	v_addc_co_u32_e32 v3, vcc, v4, v3, vcc
	global_load_dword v65, v[2:3], off
	s_load_dwordx8 s[8:15], s[4:5], 0x30
	s_load_dwordx2 s[16:17], s[4:5], 0x10
	s_waitcnt lgkmcnt(0)
	s_lshl_b32 s15, s6, 7
	s_cmp_lt_i32 s9, 32
	s_cbranch_scc1 .LBB180_18
; %bb.3:
	s_ashr_i32 s0, s9, 31
	s_lshr_b32 s0, s0, 27
	s_add_i32 s0, s9, s0
	s_ashr_i32 s18, s0, 5
	s_ashr_i32 s0, s12, 31
	s_lshr_b32 s0, s0, 27
	s_add_i32 s0, s12, s0
	s_ashr_i32 s12, s0, 5
	s_not_b32 s0, s15
	s_mul_i32 s8, s2, s8
	s_add_i32 s2, s0, s10
	v_and_b32_e32 v67, 0x3ff, v0
	v_lshlrev_b32_e32 v2, 2, v67
	v_min_i32_e32 v3, s2, v1
	s_movk_i32 s3, 0x84
	v_mul_lo_u32 v5, v3, s18
	v_mad_u64_u32 v[22:23], s[0:1], v3, s3, v[2:3]
	v_add_u32_e32 v3, 8, v1
	v_min_i32_e32 v3, s2, v3
	v_mul_lo_u32 v7, v3, s18
	v_mad_u64_u32 v[24:25], s[0:1], v3, s3, v[2:3]
	v_add_u32_e32 v3, 16, v1
	v_min_i32_e32 v3, s2, v3
	;; [unrolled: 4-line block ×15, first 2 shown]
	v_mul_lo_u32 v21, v3, s18
	v_mad_u64_u32 v[52:53], s[0:1], v3, s3, v[2:3]
	v_lshlrev_b32_e32 v3, 2, v1
	v_lshrrev_b32_e32 v69, 3, v67
	v_add_u32_e32 v23, v69, v3
	v_min_i32_e32 v25, s2, v23
	v_ashrrev_i32_e32 v27, 31, v25
	v_lshrrev_b32_e32 v27, 30, v27
	v_and_b32_e32 v63, 7, v67
	v_mul_lo_u32 v53, v25, s18
	v_add_u32_e32 v27, v25, v27
	v_lshlrev_b32_e32 v94, 5, v25
	v_add_u32_e32 v25, 32, v23
	v_and_b32_e32 v27, -4, v27
	v_lshlrev_b32_e32 v29, 2, v63
	s_movk_i32 s3, 0x4200
	v_min_i32_e32 v25, s2, v25
	v_add3_u32 v93, v27, v29, s3
	v_ashrrev_i32_e32 v27, 31, v25
	v_lshrrev_b32_e32 v27, 30, v27
	v_mul_lo_u32 v59, v25, s18
	v_add_u32_e32 v27, v25, v27
	v_lshlrev_b32_e32 v102, 5, v25
	v_add_u32_e32 v25, 64, v23
	s_load_dwordx4 s[4:7], s[4:5], 0x0
	v_and_b32_e32 v27, -4, v27
	v_min_i32_e32 v25, s2, v25
	v_add3_u32 v95, v27, v29, s3
	v_ashrrev_i32_e32 v27, 31, v25
	v_add_u32_e32 v23, 0x60, v23
	v_lshrrev_b32_e32 v27, 30, v27
	v_min_i32_e32 v23, s2, v23
	v_mul_lo_u32 v61, v25, s18
	v_add_u32_e32 v27, v25, v27
	v_lshlrev_b32_e32 v104, 5, v25
	v_ashrrev_i32_e32 v25, 31, v23
	v_and_b32_e32 v6, 12, v2
	v_lshrrev_b32_e32 v25, 30, v25
	v_and_b32_e32 v2, 28, v2
	v_mul_lo_u32 v92, v23, s18
	v_add_u32_e32 v25, v23, v25
	v_lshlrev_b32_e32 v106, 5, v23
	v_and_b32_e32 v23, 31, v67
	s_waitcnt lgkmcnt(0)
	v_add_co_u32_e32 v54, vcc, s6, v2
	v_lshlrev_b32_e32 v2, 7, v1
	v_lshl_or_b32 v23, v23, 2, v2
	v_add_u32_e32 v71, 0x5280, v23
	v_mov_b32_e32 v23, 0x5680
	v_add_u32_e32 v75, 0x5280, v2
	v_lshl_add_u32 v77, v1, 4, v23
	v_and_b32_e32 v1, 0xfc, v67
	v_lshlrev_b32_e32 v2, 5, v67
	v_or_b32_e32 v3, v3, v67
	v_add3_u32 v81, v2, v1, s3
	v_add_u32_e32 v1, 32, v67
	v_lshl_add_u32 v73, v3, 2, v23
	v_and_b32_e32 v2, 0x1fc, v1
	v_lshlrev_b32_e32 v3, 5, v1
	v_add3_u32 v83, v3, v2, s3
	v_add_u32_e32 v2, 64, v67
	v_and_b32_e32 v3, 0x1fc, v2
	v_lshlrev_b32_e32 v2, 5, v2
	s_abs_i32 s2, s14
	v_add3_u32 v85, v2, v3, s3
	v_cvt_f32_u32_e32 v3, s2
	v_add_u32_e32 v2, 0x60, v67
	v_and_b32_e32 v23, 0x1fc, v2
	v_lshlrev_b32_e32 v2, 5, v2
	v_add3_u32 v87, v2, v23, s3
	v_rcp_iflag_f32_e32 v2, v3
	v_and_b32_e32 v27, -4, v27
	v_and_b32_e32 v25, -4, v25
	v_add3_u32 v103, v27, v29, s3
	v_mul_f32_e32 v2, 0x4f7ffffe, v2
	v_cvt_u32_f32_e32 v2, v2
	v_add3_u32 v105, v25, v29, s3
	s_sub_i32 s3, 0, s2
	s_waitcnt vmcnt(0)
	v_sub_u32_e32 v3, 0, v65
	v_mul_lo_u32 v23, s3, v2
	v_mul_hi_u32 v23, v2, v23
	v_max_i32_e32 v3, v65, v3
	v_add_u32_e32 v2, v2, v23
	v_mul_hi_u32 v2, v3, v2
	v_mov_b32_e32 v25, s7
	v_mul_lo_u32 v23, v2, s2
	v_addc_co_u32_e32 v55, vcc, 0, v25, vcc
	v_sub_u32_e32 v3, v3, v23
	v_add_u32_e32 v23, 1, v2
	v_cmp_le_u32_e32 vcc, s2, v3
	v_cndmask_b32_e32 v2, v2, v23, vcc
	v_subrev_u32_e32 v23, s2, v3
	v_cndmask_b32_e32 v3, v3, v23, vcc
	v_lshrrev_b32_e32 v89, 3, v1
	v_xor_b32_e32 v1, s14, v65
	v_add_u32_e32 v23, 1, v2
	v_cmp_le_u32_e32 vcc, s2, v3
	v_ashrrev_i32_e32 v1, 31, v1
	v_cndmask_b32_e32 v2, v2, v23, vcc
	v_xor_b32_e32 v2, v2, v1
	v_sub_u32_e32 v1, v2, v1
	v_cmp_gt_i32_e64 s[2:3], s11, v1
	v_mul_lo_u32 v1, v1, s12
	v_ashrrev_i32_e32 v2, 31, v1
	v_add_co_u32_e32 v3, vcc, v1, v67
	s_mul_i32 s19, s18, s15
	v_addc_co_u32_e32 v23, vcc, 0, v2, vcc
	v_mad_u64_u32 v[2:3], s[22:23], v3, 36, s[6:7]
	s_movk_i32 s21, 0x90
	v_mad_i32_i24 v3, v23, 36, v3
	v_add_co_u32_e32 v56, vcc, s21, v2
	s_mul_hi_i32 s21, s19, 20
	s_mul_i32 s22, s19, 20
	v_lshrrev_b32_e32 v4, 2, v67
	v_addc_co_u32_e32 v57, vcc, 0, v3, vcc
	v_mov_b32_e32 v2, s22
	v_mov_b32_e32 v3, s21
	v_mad_u64_u32 v[2:3], s[22:23], v4, 20, v[2:3]
	v_mad_i64_i32 v[4:5], s[22:23], v5, 20, v[2:3]
	v_add_u32_e32 v91, v67, v1
	v_add_u32_e32 v97, v89, v1
	;; [unrolled: 1-line block ×3, first 2 shown]
	v_add_co_u32_e32 v1, vcc, v4, v6
	v_addc_co_u32_e32 v4, vcc, 0, v5, vcc
	v_mov_b32_e32 v51, s5
	v_add_co_u32_e32 v1, vcc, s4, v1
	v_addc_co_u32_e32 v4, vcc, v4, v51, vcc
	v_add_co_u32_e32 v58, vcc, 4, v1
	v_addc_co_u32_e32 v1, vcc, 0, v4, vcc
	v_mad_i64_i32 v[4:5], s[22:23], v7, 20, v[2:3]
	v_add_co_u32_e32 v4, vcc, v4, v6
	v_addc_co_u32_e32 v5, vcc, 0, v5, vcc
	v_add_co_u32_e32 v4, vcc, s4, v4
	v_addc_co_u32_e32 v5, vcc, v5, v51, vcc
	v_add_co_u32_e32 v60, vcc, 4, v4
	v_addc_co_u32_e32 v23, vcc, 0, v5, vcc
	v_mad_i64_i32 v[4:5], s[22:23], v8, 20, v[2:3]
	v_add_co_u32_e32 v4, vcc, v4, v6
	v_addc_co_u32_e32 v5, vcc, 0, v5, vcc
	v_add_co_u32_e32 v4, vcc, s4, v4
	v_addc_co_u32_e32 v5, vcc, v5, v51, vcc
	v_add_co_u32_e32 v62, vcc, 4, v4
	v_addc_co_u32_e32 v25, vcc, 0, v5, vcc
	v_mad_i64_i32 v[4:5], s[22:23], v9, 20, v[2:3]
	v_add_co_u32_e32 v4, vcc, v4, v6
	v_addc_co_u32_e32 v5, vcc, 0, v5, vcc
	v_add_co_u32_e32 v4, vcc, s4, v4
	v_addc_co_u32_e32 v5, vcc, v5, v51, vcc
	v_add_co_u32_e32 v64, vcc, 4, v4
	v_addc_co_u32_e32 v27, vcc, 0, v5, vcc
	v_mad_i64_i32 v[4:5], s[22:23], v10, 20, v[2:3]
	v_add_co_u32_e32 v4, vcc, v4, v6
	v_addc_co_u32_e32 v5, vcc, 0, v5, vcc
	v_add_co_u32_e32 v4, vcc, s4, v4
	v_addc_co_u32_e32 v5, vcc, v5, v51, vcc
	v_add_co_u32_e32 v66, vcc, 4, v4
	v_addc_co_u32_e32 v29, vcc, 0, v5, vcc
	v_mad_i64_i32 v[4:5], s[22:23], v11, 20, v[2:3]
	v_add_co_u32_e32 v4, vcc, v4, v6
	v_addc_co_u32_e32 v5, vcc, 0, v5, vcc
	v_add_co_u32_e32 v4, vcc, s4, v4
	v_addc_co_u32_e32 v5, vcc, v5, v51, vcc
	v_add_co_u32_e32 v68, vcc, 4, v4
	v_addc_co_u32_e32 v31, vcc, 0, v5, vcc
	v_mad_i64_i32 v[4:5], s[22:23], v12, 20, v[2:3]
	v_add_co_u32_e32 v4, vcc, v4, v6
	v_addc_co_u32_e32 v5, vcc, 0, v5, vcc
	v_add_co_u32_e32 v4, vcc, s4, v4
	v_addc_co_u32_e32 v5, vcc, v5, v51, vcc
	v_add_co_u32_e32 v70, vcc, 4, v4
	v_addc_co_u32_e32 v33, vcc, 0, v5, vcc
	v_mad_i64_i32 v[4:5], s[22:23], v13, 20, v[2:3]
	v_add_co_u32_e32 v4, vcc, v4, v6
	v_addc_co_u32_e32 v5, vcc, 0, v5, vcc
	v_add_co_u32_e32 v4, vcc, s4, v4
	v_addc_co_u32_e32 v5, vcc, v5, v51, vcc
	v_add_co_u32_e32 v72, vcc, 4, v4
	v_addc_co_u32_e32 v35, vcc, 0, v5, vcc
	v_mad_i64_i32 v[4:5], s[22:23], v14, 20, v[2:3]
	v_add_co_u32_e32 v4, vcc, v4, v6
	v_addc_co_u32_e32 v5, vcc, 0, v5, vcc
	v_add_co_u32_e32 v4, vcc, s4, v4
	v_addc_co_u32_e32 v5, vcc, v5, v51, vcc
	v_add_co_u32_e32 v74, vcc, 4, v4
	v_addc_co_u32_e32 v37, vcc, 0, v5, vcc
	v_mad_i64_i32 v[4:5], s[22:23], v15, 20, v[2:3]
	v_add_co_u32_e32 v4, vcc, v4, v6
	v_addc_co_u32_e32 v5, vcc, 0, v5, vcc
	v_add_co_u32_e32 v4, vcc, s4, v4
	v_addc_co_u32_e32 v5, vcc, v5, v51, vcc
	v_add_co_u32_e32 v76, vcc, 4, v4
	v_addc_co_u32_e32 v39, vcc, 0, v5, vcc
	v_mad_i64_i32 v[4:5], s[22:23], v16, 20, v[2:3]
	v_add_co_u32_e32 v4, vcc, v4, v6
	v_addc_co_u32_e32 v5, vcc, 0, v5, vcc
	v_add_co_u32_e32 v4, vcc, s4, v4
	v_addc_co_u32_e32 v5, vcc, v5, v51, vcc
	v_add_co_u32_e32 v78, vcc, 4, v4
	v_addc_co_u32_e32 v41, vcc, 0, v5, vcc
	v_mad_i64_i32 v[4:5], s[22:23], v17, 20, v[2:3]
	v_add_co_u32_e32 v4, vcc, v4, v6
	v_addc_co_u32_e32 v5, vcc, 0, v5, vcc
	v_add_co_u32_e32 v4, vcc, s4, v4
	v_addc_co_u32_e32 v5, vcc, v5, v51, vcc
	v_add_co_u32_e32 v80, vcc, 4, v4
	v_addc_co_u32_e32 v43, vcc, 0, v5, vcc
	v_mad_i64_i32 v[4:5], s[22:23], v18, 20, v[2:3]
	v_add_co_u32_e32 v4, vcc, v4, v6
	v_addc_co_u32_e32 v5, vcc, 0, v5, vcc
	v_add_co_u32_e32 v4, vcc, s4, v4
	v_addc_co_u32_e32 v5, vcc, v5, v51, vcc
	v_add_co_u32_e32 v82, vcc, 4, v4
	v_addc_co_u32_e32 v45, vcc, 0, v5, vcc
	v_mad_i64_i32 v[4:5], s[22:23], v19, 20, v[2:3]
	v_add_co_u32_e32 v4, vcc, v4, v6
	v_addc_co_u32_e32 v5, vcc, 0, v5, vcc
	v_add_co_u32_e32 v4, vcc, s4, v4
	v_addc_co_u32_e32 v5, vcc, v5, v51, vcc
	v_add_co_u32_e32 v84, vcc, 4, v4
	v_addc_co_u32_e32 v47, vcc, 0, v5, vcc
	v_mad_i64_i32 v[4:5], s[22:23], v20, 20, v[2:3]
	v_add_co_u32_e32 v4, vcc, v4, v6
	v_addc_co_u32_e32 v5, vcc, 0, v5, vcc
	v_add_co_u32_e32 v4, vcc, s4, v4
	v_addc_co_u32_e32 v5, vcc, v5, v51, vcc
	v_add_co_u32_e32 v86, vcc, 4, v4
	v_addc_co_u32_e32 v49, vcc, 0, v5, vcc
	v_mad_i64_i32 v[2:3], s[22:23], v21, 20, v[2:3]
	v_add_co_u32_e32 v2, vcc, v2, v6
	v_addc_co_u32_e32 v3, vcc, 0, v3, vcc
	v_add_co_u32_e32 v2, vcc, s4, v2
	v_addc_co_u32_e32 v3, vcc, v3, v51, vcc
	v_add_co_u32_e32 v88, vcc, 4, v2
	v_addc_co_u32_e32 v51, vcc, 0, v3, vcc
	v_mad_i64_i32 v[2:3], s[22:23], v53, 20, 0
	v_mad_i64_i32 v[2:3], s[22:23], s19, 20, v[2:3]
	v_mad_u64_u32 v[2:3], s[22:23], v63, 20, v[2:3]
	v_mov_b32_e32 v4, s5
	v_add_co_u32_e32 v90, vcc, s4, v2
	v_addc_co_u32_e32 v53, vcc, v4, v3, vcc
	v_mad_i64_i32 v[2:3], s[22:23], v59, 20, 0
	v_mad_i64_i32 v[2:3], s[22:23], s19, 20, v[2:3]
	v_mad_u64_u32 v[2:3], s[22:23], v63, 20, v[2:3]
	v_add_co_u32_e32 v96, vcc, s4, v2
	v_addc_co_u32_e32 v59, vcc, v4, v3, vcc
	v_mad_i64_i32 v[2:3], s[22:23], v61, 20, 0
	v_mad_i64_i32 v[2:3], s[22:23], s19, 20, v[2:3]
	v_mad_u64_u32 v[2:3], s[22:23], v63, 20, v[2:3]
	;; [unrolled: 5-line block ×3, first 2 shown]
	s_ashr_i32 s20, s8, 31
	v_mul_u32_u24_e32 v79, 0x84, v67
	v_add_co_u32_e32 v100, vcc, s4, v2
	v_mov_b32_e32 v92, 0
	s_mov_b32 s10, 0
	v_cmp_gt_u32_e64 s[0:1], 4, v67
	v_addc_co_u32_e32 v63, vcc, v4, v3, vcc
	s_movk_i32 s19, 0x80
	v_add_u32_e32 v101, v93, v94
	v_add_u32_e32 v128, v95, v102
	;; [unrolled: 1-line block ×4, first 2 shown]
	v_mov_b32_e32 v131, s20
	v_add_u32_e32 v132, 0x1080, v79
	v_mov_b32_e32 v93, v92
	v_mov_b32_e32 v94, v92
	;; [unrolled: 1-line block ×3, first 2 shown]
	s_branch .LBB180_6
.LBB180_4:                              ;   in Loop: Header=BB180_6 Depth=1
	s_or_b64 exec, exec, s[4:5]
	s_waitcnt lgkmcnt(0)
	s_barrier
	ds_read_b128 v[2:5], v77
	ds_read2_b32 v[102:103], v79 offset0:16 offset1:17
	ds_read_b128 v[14:17], v75
	ds_read_b128 v[18:21], v75 offset:16
	ds_read_b128 v[6:9], v75 offset:32
	;; [unrolled: 1-line block ×3, first 2 shown]
	ds_read2_b32 v[104:105], v81 offset0:4 offset1:5
	s_waitcnt lgkmcnt(5)
	v_and_b32_e32 v106, 0xf0f0f0f, v102
	v_lshrrev_b32_e32 v102, 4, v102
	v_mov_b32_e32 v122, 0
	v_and_b32_e32 v102, 0xf0f0f0f, v102
	s_waitcnt lgkmcnt(4)
	v_dot4c_i32_i8_e32 v122, v106, v14
	s_waitcnt lgkmcnt(3)
	v_dot4c_i32_i8_e32 v122, v102, v18
	v_and_b32_e32 v102, 0xf0f0f0f, v103
	v_lshrrev_b32_e32 v103, 4, v103
	v_and_b32_e32 v106, 0xf0f0f0f, v103
	v_dot4c_i32_i8_e32 v122, v102, v15
	ds_read2_b32 v[102:103], v79 offset0:18 offset1:19
	v_dot4c_i32_i8_e32 v122, v106, v19
	ds_read2_b32 v[112:113], v79 offset0:20 offset1:21
	ds_read2_b32 v[114:115], v79 offset0:22 offset1:23
	;; [unrolled: 1-line block ×3, first 2 shown]
	s_waitcnt lgkmcnt(4)
	v_pk_mul_f16 v123, v2, v104
	v_mov_b32_e32 v133, 0
	s_waitcnt lgkmcnt(3)
	v_and_b32_e32 v106, 0xf0f0f0f, v102
	v_lshrrev_b32_e32 v102, 4, v102
	v_and_b32_e32 v102, 0xf0f0f0f, v102
	v_dot4c_i32_i8_e32 v122, v106, v16
	v_dot4c_i32_i8_e32 v122, v102, v20
	v_and_b32_e32 v102, 0xf0f0f0f, v103
	v_dot4c_i32_i8_e32 v122, v102, v17
	v_add_u32_e32 v102, 0x10c0, v79
	ds_read2_b32 v[108:109], v102 offset1:1
	ds_read2_b32 v[120:121], v79 offset0:26 offset1:27
	ds_read2_b32 v[106:107], v79 offset0:28 offset1:29
	;; [unrolled: 1-line block ×3, first 2 shown]
	v_lshrrev_b32_e32 v103, 4, v103
	s_waitcnt lgkmcnt(3)
	v_and_b32_e32 v104, 0xf0f0f0f, v108
	v_lshrrev_b32_e32 v108, 4, v108
	v_and_b32_e32 v108, 0xf0f0f0f, v108
	v_dot4c_i32_i8_e32 v133, v104, v14
	v_dot4c_i32_i8_e32 v133, v108, v18
	v_and_b32_e32 v104, 0xf0f0f0f, v109
	v_lshrrev_b32_e32 v108, 4, v109
	v_and_b32_e32 v103, 0xf0f0f0f, v103
	v_and_b32_e32 v108, 0xf0f0f0f, v108
	v_dot4c_i32_i8_e32 v133, v104, v15
	v_add_u32_e32 v104, 0x10c8, v79
	v_dot4c_i32_i8_e32 v122, v103, v21
	ds_read2_b32 v[124:125], v83 offset0:4 offset1:5
	ds_read2_b32 v[102:103], v87 offset0:6 offset1:7
	v_dot4c_i32_i8_e32 v133, v108, v19
	ds_read2_b32 v[108:109], v104 offset1:1
	v_add_u32_e32 v116, 0x2140, v79
	v_add_u32_e32 v104, 0x31c0, v79
	;; [unrolled: 1-line block ×3, first 2 shown]
	ds_read2_b32 v[126:127], v116 offset1:1
	ds_read2_b32 v[134:135], v117 offset1:1
	;; [unrolled: 1-line block ×3, first 2 shown]
	s_waitcnt lgkmcnt(3)
	v_and_b32_e32 v104, 0xf0f0f0f, v108
	v_lshrrev_b32_e32 v108, 4, v108
	v_and_b32_e32 v108, 0xf0f0f0f, v108
	v_dot4c_i32_i8_e32 v133, v104, v16
	v_dot4c_i32_i8_e32 v133, v108, v20
	v_and_b32_e32 v104, 0xf0f0f0f, v109
	v_dot4c_i32_i8_e32 v133, v104, v17
	s_waitcnt lgkmcnt(2)
	v_lshrrev_b32_e32 v104, 4, v126
	v_and_b32_e32 v140, 0xf0f0f0f, v126
	v_and_b32_e32 v126, 0xf0f0f0f, v104
	v_mov_b32_e32 v104, 0
	v_dot4c_i32_i8_e32 v104, v140, v14
	v_dot4c_i32_i8_e32 v104, v126, v18
	v_and_b32_e32 v126, 0xf0f0f0f, v127
	v_lshrrev_b32_e32 v127, 4, v127
	v_and_b32_e32 v127, 0xf0f0f0f, v127
	v_dot4c_i32_i8_e32 v104, v126, v15
	v_dot4c_i32_i8_e32 v104, v127, v19
	s_waitcnt lgkmcnt(1)
	v_and_b32_e32 v126, 0xf0f0f0f, v134
	v_lshrrev_b32_e32 v127, 4, v134
	v_and_b32_e32 v127, 0xf0f0f0f, v127
	v_dot4c_i32_i8_e32 v104, v126, v16
	v_dot4c_i32_i8_e32 v104, v127, v20
	v_and_b32_e32 v126, 0xf0f0f0f, v135
	v_lshrrev_b32_e32 v127, 4, v135
	v_and_b32_e32 v127, 0xf0f0f0f, v127
	v_dot4c_i32_i8_e32 v104, v126, v17
	v_dot4c_i32_i8_e32 v104, v127, v21
	s_waitcnt lgkmcnt(0)
	v_and_b32_e32 v126, 0xf0f0f0f, v136
	v_lshrrev_b32_e32 v127, 4, v136
	v_mov_b32_e32 v140, 0
	v_and_b32_e32 v127, 0xf0f0f0f, v127
	v_dot4c_i32_i8_e32 v140, v126, v14
	v_lshrrev_b32_e32 v108, 4, v109
	v_dot4c_i32_i8_e32 v140, v127, v18
	v_and_b32_e32 v14, 0xf0f0f0f, v137
	v_and_b32_e32 v108, 0xf0f0f0f, v108
	v_dot4c_i32_i8_e32 v140, v14, v15
	v_add_u32_e32 v14, 0x31c8, v79
	v_dot4c_i32_i8_e32 v133, v108, v21
	ds_read2_b32 v[138:139], v85 offset0:4 offset1:5
	ds_read2_b32 v[108:109], v83 offset0:6 offset1:7
	;; [unrolled: 1-line block ×3, first 2 shown]
	ds_read2_b32 v[14:15], v14 offset1:1
	v_lshrrev_b32_e32 v18, 4, v137
	v_and_b32_e32 v18, 0xf0f0f0f, v18
	v_dot4c_i32_i8_e32 v140, v18, v19
	v_add_u32_e32 v18, 0x10d0, v79
	v_add_u32_e32 v126, 0x10d8, v79
	;; [unrolled: 1-line block ×3, first 2 shown]
	s_waitcnt lgkmcnt(0)
	v_and_b32_e32 v136, 0xf0f0f0f, v14
	ds_read2_b32 v[18:19], v18 offset1:1
	ds_read2_b32 v[126:127], v126 offset1:1
	;; [unrolled: 1-line block ×3, first 2 shown]
	v_dot4c_i32_i8_e32 v140, v136, v16
	ds_read2_b32 v[136:137], v87 offset0:4 offset1:5
	v_lshrrev_b32_e32 v14, 4, v14
	v_and_b32_e32 v14, 0xf0f0f0f, v14
	v_dot4c_i32_i8_e32 v140, v14, v20
	v_and_b32_e32 v14, 0xf0f0f0f, v15
	v_lshrrev_b32_e32 v15, 4, v15
	v_and_b32_e32 v15, 0xf0f0f0f, v15
	v_dot4c_i32_i8_e32 v140, v14, v17
	v_pk_mul_f16 v124, v2, v124
	v_pk_mul_f16 v138, v2, v138
	v_dot4c_i32_i8_e32 v140, v15, v21
	ds_read2_b32 v[14:15], v85 offset0:6 offset1:7
	s_waitcnt lgkmcnt(1)
	v_pk_mul_f16 v136, v2, v136
	v_and_b32_e32 v2, 0xf0f0f0f, v112
	v_lshrrev_b32_e32 v16, 4, v112
	v_mov_b32_e32 v141, 0
	v_and_b32_e32 v16, 0xf0f0f0f, v16
	v_dot4c_i32_i8_e32 v141, v2, v6
	v_dot4c_i32_i8_e32 v141, v16, v10
	v_and_b32_e32 v2, 0xf0f0f0f, v113
	v_lshrrev_b32_e32 v16, 4, v113
	v_and_b32_e32 v16, 0xf0f0f0f, v16
	v_dot4c_i32_i8_e32 v141, v2, v7
	v_dot4c_i32_i8_e32 v141, v16, v11
	v_and_b32_e32 v2, 0xf0f0f0f, v114
	v_lshrrev_b32_e32 v16, 4, v114
	;; [unrolled: 5-line block ×4, first 2 shown]
	v_mov_b32_e32 v114, 0
	v_and_b32_e32 v16, 0xf0f0f0f, v16
	v_dot4c_i32_i8_e32 v114, v2, v6
	v_dot4c_i32_i8_e32 v114, v16, v10
	v_and_b32_e32 v2, 0xf0f0f0f, v19
	v_lshrrev_b32_e32 v16, 4, v19
	v_and_b32_e32 v16, 0xf0f0f0f, v16
	v_dot4c_i32_i8_e32 v114, v2, v7
	v_dot4c_i32_i8_e32 v114, v16, v11
	v_and_b32_e32 v2, 0xf0f0f0f, v126
	v_lshrrev_b32_e32 v16, 4, v126
	;; [unrolled: 5-line block ×3, first 2 shown]
	v_and_b32_e32 v16, 0xf0f0f0f, v16
	v_dot4c_i32_i8_e32 v114, v2, v9
	v_dot4c_i32_i8_e32 v114, v16, v13
	v_pk_mul_f16 v115, v3, v125
	v_and_b32_e32 v2, 0xf0f0f0f, v134
	v_lshrrev_b32_e32 v16, 4, v134
	v_mov_b32_e32 v125, 0
	v_and_b32_e32 v16, 0xf0f0f0f, v16
	v_dot4c_i32_i8_e32 v125, v2, v6
	v_dot4c_i32_i8_e32 v125, v16, v10
	v_and_b32_e32 v2, 0xf0f0f0f, v135
	v_lshrrev_b32_e32 v16, 4, v135
	v_and_b32_e32 v16, 0xf0f0f0f, v16
	v_dot4c_i32_i8_e32 v125, v2, v7
	v_add_u32_e32 v2, 0x2158, v79
	v_dot4c_i32_i8_e32 v125, v16, v11
	ds_read2_b32 v[16:17], v2 offset1:1
	v_add_u32_e32 v18, 0x31d0, v79
	v_add_u32_e32 v20, 0x31d8, v79
	;; [unrolled: 1-line block ×3, first 2 shown]
	ds_read2_b32 v[18:19], v18 offset1:1
	ds_read2_b32 v[20:21], v20 offset1:1
	;; [unrolled: 1-line block ×3, first 2 shown]
	s_waitcnt lgkmcnt(3)
	v_and_b32_e32 v2, 0xf0f0f0f, v16
	v_lshrrev_b32_e32 v16, 4, v16
	v_and_b32_e32 v16, 0xf0f0f0f, v16
	v_dot4c_i32_i8_e32 v125, v2, v8
	v_dot4c_i32_i8_e32 v125, v16, v12
	v_and_b32_e32 v2, 0xf0f0f0f, v17
	v_lshrrev_b32_e32 v16, 4, v17
	v_and_b32_e32 v16, 0xf0f0f0f, v16
	v_dot4c_i32_i8_e32 v125, v2, v9
	v_dot4c_i32_i8_e32 v125, v16, v13
	s_waitcnt lgkmcnt(2)
	v_and_b32_e32 v2, 0xf0f0f0f, v18
	v_lshrrev_b32_e32 v16, 4, v18
	v_mov_b32_e32 v127, 0
	v_and_b32_e32 v16, 0xf0f0f0f, v16
	v_dot4c_i32_i8_e32 v127, v2, v6
	v_dot4c_i32_i8_e32 v127, v16, v10
	v_and_b32_e32 v2, 0xf0f0f0f, v19
	v_lshrrev_b32_e32 v6, 4, v19
	v_and_b32_e32 v6, 0xf0f0f0f, v6
	v_dot4c_i32_i8_e32 v127, v2, v7
	v_dot4c_i32_i8_e32 v127, v6, v11
	s_waitcnt lgkmcnt(1)
	v_and_b32_e32 v2, 0xf0f0f0f, v20
	v_lshrrev_b32_e32 v6, 4, v20
	v_and_b32_e32 v6, 0xf0f0f0f, v6
	v_dot4c_i32_i8_e32 v127, v2, v8
	v_dot4c_i32_i8_e32 v127, v6, v12
	v_and_b32_e32 v2, 0xf0f0f0f, v21
	v_lshrrev_b32_e32 v6, 4, v21
	v_and_b32_e32 v6, 0xf0f0f0f, v6
	v_dot4c_i32_i8_e32 v127, v2, v9
	v_dot4c_i32_i8_e32 v127, v6, v13
	ds_read_b128 v[6:9], v75 offset:64
	ds_read_b128 v[10:13], v75 offset:80
	v_pk_mul_f16 v105, v3, v105
	v_pk_mul_f16 v126, v3, v139
	v_pk_mul_f16 v134, v3, v137
	v_and_b32_e32 v2, 0xf0f0f0f, v118
	v_lshrrev_b32_e32 v3, 4, v118
	v_mov_b32_e32 v118, 0
	v_and_b32_e32 v3, 0xf0f0f0f, v3
	s_waitcnt lgkmcnt(1)
	v_dot4c_i32_i8_e32 v118, v2, v6
	s_waitcnt lgkmcnt(0)
	v_dot4c_i32_i8_e32 v118, v3, v10
	v_and_b32_e32 v2, 0xf0f0f0f, v119
	v_lshrrev_b32_e32 v3, 4, v119
	v_and_b32_e32 v3, 0xf0f0f0f, v3
	v_dot4c_i32_i8_e32 v118, v2, v7
	v_dot4c_i32_i8_e32 v118, v3, v11
	v_and_b32_e32 v2, 0xf0f0f0f, v120
	v_lshrrev_b32_e32 v3, 4, v120
	v_and_b32_e32 v3, 0xf0f0f0f, v3
	v_dot4c_i32_i8_e32 v118, v2, v8
	;; [unrolled: 5-line block ×3, first 2 shown]
	v_dot4c_i32_i8_e32 v118, v3, v13
	v_and_b32_e32 v2, 0xf0f0f0f, v112
	v_lshrrev_b32_e32 v3, 4, v112
	v_mov_b32_e32 v119, 0
	v_and_b32_e32 v3, 0xf0f0f0f, v3
	v_dot4c_i32_i8_e32 v119, v2, v6
	v_dot4c_i32_i8_e32 v119, v3, v10
	v_and_b32_e32 v2, 0xf0f0f0f, v113
	v_lshrrev_b32_e32 v3, 4, v113
	v_and_b32_e32 v3, 0xf0f0f0f, v3
	v_dot4c_i32_i8_e32 v119, v2, v7
	v_add_u32_e32 v2, 0x10e8, v79
	v_dot4c_i32_i8_e32 v119, v3, v11
	ds_read2_b32 v[2:3], v2 offset1:1
	v_add_u32_e32 v16, 0x2160, v79
	v_add_u32_e32 v18, 0x2168, v79
	;; [unrolled: 1-line block ×3, first 2 shown]
	ds_read2_b32 v[16:17], v16 offset1:1
	ds_read2_b32 v[18:19], v18 offset1:1
	;; [unrolled: 1-line block ×3, first 2 shown]
	s_waitcnt lgkmcnt(3)
	v_and_b32_e32 v112, 0xf0f0f0f, v2
	v_lshrrev_b32_e32 v2, 4, v2
	v_and_b32_e32 v2, 0xf0f0f0f, v2
	v_dot4c_i32_i8_e32 v119, v112, v8
	v_dot4c_i32_i8_e32 v119, v2, v12
	v_and_b32_e32 v2, 0xf0f0f0f, v3
	v_lshrrev_b32_e32 v3, 4, v3
	v_and_b32_e32 v3, 0xf0f0f0f, v3
	v_dot4c_i32_i8_e32 v119, v2, v9
	v_dot4c_i32_i8_e32 v119, v3, v13
	s_waitcnt lgkmcnt(2)
	v_and_b32_e32 v2, 0xf0f0f0f, v16
	v_lshrrev_b32_e32 v3, 4, v16
	v_mov_b32_e32 v120, 0
	v_and_b32_e32 v3, 0xf0f0f0f, v3
	v_dot4c_i32_i8_e32 v120, v2, v6
	v_dot4c_i32_i8_e32 v120, v3, v10
	v_and_b32_e32 v2, 0xf0f0f0f, v17
	v_lshrrev_b32_e32 v3, 4, v17
	v_and_b32_e32 v3, 0xf0f0f0f, v3
	v_dot4c_i32_i8_e32 v120, v2, v7
	v_dot4c_i32_i8_e32 v120, v3, v11
	s_waitcnt lgkmcnt(1)
	v_and_b32_e32 v2, 0xf0f0f0f, v18
	v_lshrrev_b32_e32 v3, 4, v18
	v_and_b32_e32 v3, 0xf0f0f0f, v3
	v_dot4c_i32_i8_e32 v120, v2, v8
	v_dot4c_i32_i8_e32 v120, v3, v12
	v_and_b32_e32 v2, 0xf0f0f0f, v19
	v_lshrrev_b32_e32 v3, 4, v19
	v_and_b32_e32 v3, 0xf0f0f0f, v3
	v_dot4c_i32_i8_e32 v120, v2, v9
	v_dot4c_i32_i8_e32 v120, v3, v13
	s_waitcnt lgkmcnt(0)
	v_and_b32_e32 v2, 0xf0f0f0f, v20
	v_lshrrev_b32_e32 v3, 4, v20
	v_mov_b32_e32 v135, 0
	v_and_b32_e32 v3, 0xf0f0f0f, v3
	v_dot4c_i32_i8_e32 v135, v2, v6
	v_dot4c_i32_i8_e32 v135, v3, v10
	v_and_b32_e32 v2, 0xf0f0f0f, v21
	v_lshrrev_b32_e32 v3, 4, v21
	v_and_b32_e32 v3, 0xf0f0f0f, v3
	v_dot4c_i32_i8_e32 v135, v2, v7
	v_add_u32_e32 v2, 0x31e8, v79
	v_dot4c_i32_i8_e32 v135, v3, v11
	ds_read2_b32 v[2:3], v2 offset1:1
	v_add_u32_e32 v6, 0x10f0, v79
	v_add_u32_e32 v7, 0x10f8, v79
	;; [unrolled: 1-line block ×3, first 2 shown]
	ds_read2_b32 v[16:17], v6 offset1:1
	ds_read2_b32 v[18:19], v7 offset1:1
	;; [unrolled: 1-line block ×3, first 2 shown]
	s_waitcnt lgkmcnt(3)
	v_and_b32_e32 v6, 0xf0f0f0f, v2
	v_lshrrev_b32_e32 v2, 4, v2
	v_and_b32_e32 v2, 0xf0f0f0f, v2
	v_dot4c_i32_i8_e32 v135, v6, v8
	v_dot4c_i32_i8_e32 v135, v2, v12
	v_and_b32_e32 v2, 0xf0f0f0f, v3
	v_lshrrev_b32_e32 v3, 4, v3
	v_and_b32_e32 v3, 0xf0f0f0f, v3
	v_dot4c_i32_i8_e32 v135, v2, v9
	v_dot4c_i32_i8_e32 v135, v3, v13
	ds_read_b128 v[6:9], v75 offset:96
	ds_read_b128 v[10:13], v75 offset:112
	v_pk_mul_f16 v116, v4, v116
	v_pk_mul_f16 v108, v4, v108
	;; [unrolled: 1-line block ×4, first 2 shown]
	v_and_b32_e32 v2, 0xf0f0f0f, v106
	v_lshrrev_b32_e32 v3, 4, v106
	v_mov_b32_e32 v4, 0
	v_and_b32_e32 v3, 0xf0f0f0f, v3
	s_waitcnt lgkmcnt(1)
	v_dot4c_i32_i8_e32 v4, v2, v6
	s_waitcnt lgkmcnt(0)
	v_dot4c_i32_i8_e32 v4, v3, v10
	v_and_b32_e32 v2, 0xf0f0f0f, v107
	v_lshrrev_b32_e32 v3, 4, v107
	v_and_b32_e32 v3, 0xf0f0f0f, v3
	v_dot4c_i32_i8_e32 v4, v2, v7
	v_dot4c_i32_i8_e32 v4, v3, v11
	v_and_b32_e32 v2, 0xf0f0f0f, v110
	v_lshrrev_b32_e32 v3, 4, v110
	v_and_b32_e32 v3, 0xf0f0f0f, v3
	v_dot4c_i32_i8_e32 v4, v2, v8
	;; [unrolled: 5-line block ×3, first 2 shown]
	v_dot4c_i32_i8_e32 v4, v3, v13
	v_pk_mul_f16 v14, v5, v117
	v_and_b32_e32 v2, 0xf0f0f0f, v16
	v_lshrrev_b32_e32 v3, 4, v16
	v_mov_b32_e32 v117, 0
	v_and_b32_e32 v3, 0xf0f0f0f, v3
	v_dot4c_i32_i8_e32 v117, v2, v6
	v_dot4c_i32_i8_e32 v117, v3, v10
	v_and_b32_e32 v2, 0xf0f0f0f, v17
	v_lshrrev_b32_e32 v3, 4, v17
	v_and_b32_e32 v3, 0xf0f0f0f, v3
	v_dot4c_i32_i8_e32 v117, v2, v7
	v_dot4c_i32_i8_e32 v117, v3, v11
	v_and_b32_e32 v2, 0xf0f0f0f, v18
	v_lshrrev_b32_e32 v3, 4, v18
	;; [unrolled: 5-line block ×3, first 2 shown]
	v_and_b32_e32 v3, 0xf0f0f0f, v3
	v_dot4c_i32_i8_e32 v117, v2, v9
	v_dot4c_i32_i8_e32 v117, v3, v13
	v_cvt_f32_f16_e32 v3, v124
	v_cvt_f32_f16_e32 v2, v123
	v_cvt_f32_f16_sdwa v17, v124 dst_sel:DWORD dst_unused:UNUSED_PAD src0_sel:WORD_1
	v_cvt_f32_f16_sdwa v16, v123 dst_sel:DWORD dst_unused:UNUSED_PAD src0_sel:WORD_1
	v_cvt_f32_i32_e32 v19, v133
	v_cvt_f32_i32_e32 v18, v122
	v_cvt_f32_f16_e32 v107, v115
	v_cvt_f32_f16_e32 v106, v105
	v_cvt_f32_f16_sdwa v111, v115 dst_sel:DWORD dst_unused:UNUSED_PAD src0_sel:WORD_1
	v_cvt_f32_f16_sdwa v110, v105 dst_sel:DWORD dst_unused:UNUSED_PAD src0_sel:WORD_1
	v_cvt_f32_i32_e32 v113, v114
	v_cvt_f32_i32_e32 v112, v141
	v_pk_fma_f32 v[2:3], v[2:3], v[18:19], v[16:17]
	v_pk_mul_f16 v105, v5, v109
	v_pk_add_f32 v[2:3], v[92:93], v[2:3]
	v_pk_fma_f32 v[16:17], v[106:107], v[112:113], v[110:111]
	v_cvt_f32_f16_e32 v19, v108
	v_cvt_f32_f16_e32 v18, v116
	v_cvt_f32_f16_sdwa v93, v108 dst_sel:DWORD dst_unused:UNUSED_PAD src0_sel:WORD_1
	v_cvt_f32_f16_sdwa v92, v116 dst_sel:DWORD dst_unused:UNUSED_PAD src0_sel:WORD_1
	v_cvt_f32_i32_e32 v107, v119
	v_cvt_f32_i32_e32 v106, v118
	v_cvt_f32_f16_e32 v109, v105
	v_cvt_f32_f16_e32 v108, v14
	v_cvt_f32_f16_sdwa v111, v105 dst_sel:DWORD dst_unused:UNUSED_PAD src0_sel:WORD_1
	v_cvt_f32_f16_sdwa v110, v14 dst_sel:DWORD dst_unused:UNUSED_PAD src0_sel:WORD_1
	v_cvt_f32_i32_e32 v113, v117
	v_cvt_f32_i32_e32 v112, v4
	v_pk_add_f32 v[2:3], v[2:3], v[16:17]
	v_pk_fma_f32 v[16:17], v[18:19], v[106:107], v[92:93]
	v_pk_add_f32 v[2:3], v[2:3], v[16:17]
	v_pk_fma_f32 v[16:17], v[108:109], v[112:113], v[110:111]
	v_pk_add_f32 v[92:93], v[2:3], v[16:17]
	v_and_b32_e32 v2, 0xf0f0f0f, v20
	v_lshrrev_b32_e32 v3, 4, v20
	v_mov_b32_e32 v20, 0
	v_and_b32_e32 v3, 0xf0f0f0f, v3
	v_dot4c_i32_i8_e32 v20, v2, v6
	v_dot4c_i32_i8_e32 v20, v3, v10
	v_and_b32_e32 v2, 0xf0f0f0f, v21
	v_lshrrev_b32_e32 v3, 4, v21
	v_and_b32_e32 v3, 0xf0f0f0f, v3
	v_dot4c_i32_i8_e32 v20, v2, v7
	v_add_u32_e32 v2, 0x2178, v79
	v_dot4c_i32_i8_e32 v20, v3, v11
	ds_read2_b32 v[2:3], v2 offset1:1
	v_add_u32_e32 v4, 0x31f0, v79
	v_add_u32_e32 v14, 0x31f8, v79
	ds_read2_b32 v[16:17], v4 offset1:1
	ds_read2_b32 v[18:19], v14 offset1:1
	v_pk_mul_f16 v21, v5, v15
	s_waitcnt lgkmcnt(2)
	v_and_b32_e32 v4, 0xf0f0f0f, v2
	v_lshrrev_b32_e32 v2, 4, v2
	v_and_b32_e32 v2, 0xf0f0f0f, v2
	v_dot4c_i32_i8_e32 v20, v4, v8
	v_dot4c_i32_i8_e32 v20, v2, v12
	v_and_b32_e32 v2, 0xf0f0f0f, v3
	v_lshrrev_b32_e32 v3, 4, v3
	v_and_b32_e32 v3, 0xf0f0f0f, v3
	v_dot4c_i32_i8_e32 v20, v2, v9
	v_dot4c_i32_i8_e32 v20, v3, v13
	s_waitcnt lgkmcnt(1)
	v_and_b32_e32 v2, 0xf0f0f0f, v16
	v_lshrrev_b32_e32 v3, 4, v16
	v_mov_b32_e32 v16, 0
	v_and_b32_e32 v3, 0xf0f0f0f, v3
	v_dot4c_i32_i8_e32 v16, v2, v6
	v_dot4c_i32_i8_e32 v16, v3, v10
	v_and_b32_e32 v2, 0xf0f0f0f, v17
	v_lshrrev_b32_e32 v3, 4, v17
	v_and_b32_e32 v3, 0xf0f0f0f, v3
	v_dot4c_i32_i8_e32 v16, v2, v7
	v_dot4c_i32_i8_e32 v16, v3, v11
	s_waitcnt lgkmcnt(0)
	v_and_b32_e32 v2, 0xf0f0f0f, v18
	v_lshrrev_b32_e32 v3, 4, v18
	v_and_b32_e32 v3, 0xf0f0f0f, v3
	v_dot4c_i32_i8_e32 v16, v2, v8
	v_dot4c_i32_i8_e32 v16, v3, v12
	v_and_b32_e32 v2, 0xf0f0f0f, v19
	v_lshrrev_b32_e32 v3, 4, v19
	v_and_b32_e32 v3, 0xf0f0f0f, v3
	v_dot4c_i32_i8_e32 v16, v2, v9
	v_dot4c_i32_i8_e32 v16, v3, v13
	v_cvt_f32_f16_e32 v3, v136
	v_cvt_f32_f16_e32 v2, v138
	v_cvt_f32_f16_sdwa v7, v136 dst_sel:DWORD dst_unused:UNUSED_PAD src0_sel:WORD_1
	v_cvt_f32_f16_sdwa v6, v138 dst_sel:DWORD dst_unused:UNUSED_PAD src0_sel:WORD_1
	v_cvt_f32_i32_e32 v9, v140
	v_cvt_f32_i32_e32 v8, v104
	v_cvt_f32_f16_e32 v11, v134
	v_cvt_f32_f16_e32 v10, v126
	v_cvt_f32_f16_sdwa v13, v134 dst_sel:DWORD dst_unused:UNUSED_PAD src0_sel:WORD_1
	v_cvt_f32_f16_sdwa v12, v126 dst_sel:DWORD dst_unused:UNUSED_PAD src0_sel:WORD_1
	v_cvt_f32_i32_e32 v15, v127
	v_cvt_f32_i32_e32 v14, v125
	v_pk_mul_f16 v17, v5, v103
	v_pk_fma_f32 v[2:3], v[2:3], v[8:9], v[6:7]
	v_cvt_f32_f16_e32 v7, v102
	v_pk_fma_f32 v[4:5], v[10:11], v[14:15], v[12:13]
	v_cvt_f32_f16_e32 v6, v121
	v_cvt_f32_f16_sdwa v9, v102 dst_sel:DWORD dst_unused:UNUSED_PAD src0_sel:WORD_1
	v_cvt_f32_f16_sdwa v8, v121 dst_sel:DWORD dst_unused:UNUSED_PAD src0_sel:WORD_1
	v_cvt_f32_i32_e32 v11, v135
	v_cvt_f32_i32_e32 v10, v120
	v_cvt_f32_f16_e32 v13, v17
	v_cvt_f32_f16_e32 v12, v21
	v_cvt_f32_f16_sdwa v15, v17 dst_sel:DWORD dst_unused:UNUSED_PAD src0_sel:WORD_1
	v_cvt_f32_f16_sdwa v14, v21 dst_sel:DWORD dst_unused:UNUSED_PAD src0_sel:WORD_1
	v_cvt_f32_i32_e32 v17, v16
	v_cvt_f32_i32_e32 v16, v20
	v_pk_add_f32 v[2:3], v[94:95], v[2:3]
	v_pk_add_f32 v[2:3], v[2:3], v[4:5]
	v_pk_fma_f32 v[4:5], v[6:7], v[10:11], v[8:9]
	v_pk_add_f32 v[2:3], v[2:3], v[4:5]
	v_pk_fma_f32 v[4:5], v[12:13], v[16:17], v[14:15]
	v_pk_add_f32 v[94:95], v[2:3], v[4:5]
	s_barrier
.LBB180_5:                              ;   in Loop: Header=BB180_6 Depth=1
	v_add_co_u32_e32 v56, vcc, 0x120, v56
	v_addc_co_u32_e32 v57, vcc, 0, v57, vcc
	v_add_co_u32_e32 v58, vcc, 0xa0, v58
	v_addc_co_u32_e32 v1, vcc, 0, v1, vcc
	;; [unrolled: 2-line block ×20, first 2 shown]
	s_add_i32 s10, s10, 8
	s_addk_i32 s19, 0x100
	v_add_co_u32_e32 v100, vcc, 0xa0, v100
	s_cmp_ge_i32 s10, s18
	v_addc_co_u32_e32 v63, vcc, 0, v63, vcc
	s_cbranch_scc1 .LBB180_19
.LBB180_6:                              ; =>This Inner Loop Header: Depth=1
	v_add_co_u32_e32 v2, vcc, s8, v58
	v_addc_co_u32_e32 v3, vcc, v1, v131, vcc
	global_load_dword v4, v[2:3], off
	v_add_co_u32_e32 v2, vcc, s8, v60
	v_addc_co_u32_e32 v3, vcc, v23, v131, vcc
	global_load_dword v5, v[2:3], off
	;; [unrolled: 3-line block ×20, first 2 shown]
	s_add_i32 s4, s19, 0xffffff80
	s_cmp_lt_i32 s4, s9
	s_waitcnt vmcnt(19)
	ds_write_b32 v22, v4
	s_waitcnt vmcnt(18)
	ds_write_b32 v24, v5
	;; [unrolled: 2-line block ×20, first 2 shown]
	s_cbranch_scc0 .LBB180_5
; %bb.7:                                ;   in Loop: Header=BB180_6 Depth=1
	v_add_u32_e32 v2, s10, v69
	v_cmp_gt_i32_e32 vcc, s12, v2
	s_and_b64 s[20:21], s[2:3], vcc
	s_and_saveexec_b64 s[4:5], s[20:21]
	s_cbranch_execz .LBB180_9
; %bb.8:                                ;   in Loop: Header=BB180_6 Depth=1
	v_add_u32_e32 v2, s10, v99
	v_mad_i64_i32 v[2:3], s[20:21], v2, 36, v[54:55]
	global_load_dword v2, v[2:3], off offset:4
	s_waitcnt vmcnt(0)
	ds_write_b32 v71, v2
.LBB180_9:                              ;   in Loop: Header=BB180_6 Depth=1
	s_or_b64 exec, exec, s[4:5]
	s_and_saveexec_b64 s[4:5], s[0:1]
	s_cbranch_execz .LBB180_12
; %bb.10:                               ;   in Loop: Header=BB180_6 Depth=1
	v_add_u32_e32 v2, s10, v67
	v_cmp_gt_i32_e32 vcc, s12, v2
	s_and_b64 s[20:21], s[2:3], vcc
	s_and_b64 exec, exec, s[20:21]
	s_cbranch_execz .LBB180_12
; %bb.11:                               ;   in Loop: Header=BB180_6 Depth=1
	v_add_u32_e32 v2, s10, v91
	v_mad_i64_i32 v[2:3], s[20:21], v2, 36, s[6:7]
	global_load_dword v2, v[2:3], off
	s_waitcnt vmcnt(0)
	ds_write_b32 v73, v2
.LBB180_12:                             ;   in Loop: Header=BB180_6 Depth=1
	s_or_b64 exec, exec, s[4:5]
	s_waitcnt lgkmcnt(0)
	s_barrier
	ds_read_b128 v[2:5], v77
	ds_read2_b32 v[102:103], v79 offset1:1
	ds_read_b128 v[14:17], v75
	ds_read_b128 v[18:21], v75 offset:16
	ds_read_b128 v[6:9], v75 offset:32
	;; [unrolled: 1-line block ×3, first 2 shown]
	ds_read2_b32 v[104:105], v81 offset1:1
	s_waitcnt lgkmcnt(5)
	v_and_b32_e32 v106, 0xf0f0f0f, v102
	v_lshrrev_b32_e32 v102, 4, v102
	v_mov_b32_e32 v116, 0
	v_and_b32_e32 v102, 0xf0f0f0f, v102
	s_waitcnt lgkmcnt(4)
	v_dot4c_i32_i8_e32 v116, v106, v14
	s_waitcnt lgkmcnt(3)
	v_dot4c_i32_i8_e32 v116, v102, v18
	v_and_b32_e32 v102, 0xf0f0f0f, v103
	v_lshrrev_b32_e32 v103, 4, v103
	v_and_b32_e32 v106, 0xf0f0f0f, v103
	v_dot4c_i32_i8_e32 v116, v102, v15
	ds_read2_b32 v[102:103], v79 offset0:2 offset1:3
	v_dot4c_i32_i8_e32 v116, v106, v19
	ds_read2_b32 v[118:119], v79 offset0:4 offset1:5
	ds_read2_b32 v[120:121], v79 offset0:6 offset1:7
	;; [unrolled: 1-line block ×3, first 2 shown]
	s_waitcnt lgkmcnt(4)
	v_pk_mul_f16 v133, v2, v104
	v_mov_b32_e32 v117, 0
	s_waitcnt lgkmcnt(3)
	v_and_b32_e32 v106, 0xf0f0f0f, v102
	v_dot4c_i32_i8_e32 v116, v106, v16
	ds_read2_b32 v[126:127], v79 offset0:10 offset1:11
	ds_read2_b32 v[110:111], v79 offset0:12 offset1:13
	;; [unrolled: 1-line block ×3, first 2 shown]
	ds_read2_b32 v[106:107], v132 offset1:1
	v_lshrrev_b32_e32 v102, 4, v102
	v_and_b32_e32 v102, 0xf0f0f0f, v102
	v_dot4c_i32_i8_e32 v116, v102, v20
	v_and_b32_e32 v102, 0xf0f0f0f, v103
	s_waitcnt lgkmcnt(0)
	v_and_b32_e32 v104, 0xf0f0f0f, v106
	v_lshrrev_b32_e32 v106, 4, v106
	v_and_b32_e32 v106, 0xf0f0f0f, v106
	v_dot4c_i32_i8_e32 v117, v104, v14
	v_lshrrev_b32_e32 v103, 4, v103
	v_dot4c_i32_i8_e32 v117, v106, v18
	v_and_b32_e32 v104, 0xf0f0f0f, v107
	v_lshrrev_b32_e32 v106, 4, v107
	v_and_b32_e32 v103, 0xf0f0f0f, v103
	v_dot4c_i32_i8_e32 v116, v102, v17
	v_and_b32_e32 v106, 0xf0f0f0f, v106
	v_dot4c_i32_i8_e32 v117, v104, v15
	v_add_u32_e32 v104, 0x1088, v79
	v_dot4c_i32_i8_e32 v116, v103, v21
	ds_read2_b32 v[134:135], v83 offset1:1
	ds_read2_b32 v[102:103], v87 offset0:2 offset1:3
	v_dot4c_i32_i8_e32 v117, v106, v19
	ds_read2_b32 v[106:107], v104 offset1:1
	v_add_u32_e32 v109, 0x2100, v79
	v_add_u32_e32 v104, 0x3180, v79
	;; [unrolled: 1-line block ×3, first 2 shown]
	ds_read2_b32 v[136:137], v109 offset1:1
	ds_read2_b32 v[138:139], v114 offset1:1
	;; [unrolled: 1-line block ×3, first 2 shown]
	s_waitcnt lgkmcnt(3)
	v_and_b32_e32 v104, 0xf0f0f0f, v106
	v_lshrrev_b32_e32 v106, 4, v106
	v_and_b32_e32 v106, 0xf0f0f0f, v106
	v_dot4c_i32_i8_e32 v117, v104, v16
	v_dot4c_i32_i8_e32 v117, v106, v20
	v_and_b32_e32 v104, 0xf0f0f0f, v107
	v_lshrrev_b32_e32 v106, 4, v107
	v_and_b32_e32 v106, 0xf0f0f0f, v106
	v_dot4c_i32_i8_e32 v117, v104, v17
	v_dot4c_i32_i8_e32 v117, v106, v21
	s_waitcnt lgkmcnt(2)
	v_and_b32_e32 v104, 0xf0f0f0f, v136
	v_lshrrev_b32_e32 v106, 4, v136
	v_mov_b32_e32 v144, 0
	v_and_b32_e32 v106, 0xf0f0f0f, v106
	v_dot4c_i32_i8_e32 v144, v104, v14
	v_dot4c_i32_i8_e32 v144, v106, v18
	v_and_b32_e32 v104, 0xf0f0f0f, v137
	v_lshrrev_b32_e32 v106, 4, v137
	v_and_b32_e32 v106, 0xf0f0f0f, v106
	v_dot4c_i32_i8_e32 v144, v104, v15
	v_dot4c_i32_i8_e32 v144, v106, v19
	s_waitcnt lgkmcnt(1)
	v_and_b32_e32 v104, 0xf0f0f0f, v138
	v_lshrrev_b32_e32 v106, 4, v138
	v_and_b32_e32 v106, 0xf0f0f0f, v106
	v_dot4c_i32_i8_e32 v144, v104, v16
	v_dot4c_i32_i8_e32 v144, v106, v20
	v_and_b32_e32 v104, 0xf0f0f0f, v139
	v_dot4c_i32_i8_e32 v144, v104, v17
	s_waitcnt lgkmcnt(0)
	v_and_b32_e32 v104, 0xf0f0f0f, v140
	v_lshrrev_b32_e32 v107, 4, v140
	v_mov_b32_e32 v145, 0
	v_and_b32_e32 v107, 0xf0f0f0f, v107
	v_dot4c_i32_i8_e32 v145, v104, v14
	v_dot4c_i32_i8_e32 v145, v107, v18
	v_and_b32_e32 v14, 0xf0f0f0f, v141
	v_dot4c_i32_i8_e32 v145, v14, v15
	v_add_u32_e32 v14, 0x3188, v79
	ds_read2_b32 v[142:143], v85 offset1:1
	ds_read2_b32 v[114:115], v83 offset0:2 offset1:3
	ds_read2_b32 v[122:123], v81 offset0:2 offset1:3
	v_lshrrev_b32_e32 v18, 4, v141
	ds_read2_b32 v[14:15], v14 offset1:1
	v_and_b32_e32 v18, 0xf0f0f0f, v18
	v_dot4c_i32_i8_e32 v145, v18, v19
	v_add_u32_e32 v18, 0x1090, v79
	v_lshrrev_b32_e32 v106, 4, v139
	v_add_u32_e32 v104, 0x1098, v79
	v_add_u32_e32 v107, 0x2110, v79
	ds_read2_b32 v[18:19], v18 offset1:1
	ds_read2_b32 v[136:137], v104 offset1:1
	;; [unrolled: 1-line block ×4, first 2 shown]
	s_waitcnt lgkmcnt(4)
	v_and_b32_e32 v104, 0xf0f0f0f, v14
	v_lshrrev_b32_e32 v14, 4, v14
	v_and_b32_e32 v106, 0xf0f0f0f, v106
	v_and_b32_e32 v14, 0xf0f0f0f, v14
	v_dot4c_i32_i8_e32 v145, v104, v16
	v_dot4c_i32_i8_e32 v144, v106, v21
	;; [unrolled: 1-line block ×3, first 2 shown]
	v_and_b32_e32 v14, 0xf0f0f0f, v15
	v_pk_mul_f16 v134, v2, v134
	v_pk_mul_f16 v142, v2, v142
	v_dot4c_i32_i8_e32 v145, v14, v17
	ds_read2_b32 v[16:17], v85 offset0:2 offset1:3
	s_waitcnt lgkmcnt(1)
	v_pk_mul_f16 v140, v2, v140
	v_cvt_f32_i32_e32 v14, v144
	v_and_b32_e32 v2, 0xf0f0f0f, v118
	v_lshrrev_b32_e32 v20, 4, v118
	v_mov_b32_e32 v144, 0
	v_and_b32_e32 v20, 0xf0f0f0f, v20
	v_dot4c_i32_i8_e32 v144, v2, v6
	v_dot4c_i32_i8_e32 v144, v20, v10
	v_and_b32_e32 v2, 0xf0f0f0f, v119
	v_lshrrev_b32_e32 v20, 4, v119
	v_and_b32_e32 v20, 0xf0f0f0f, v20
	v_dot4c_i32_i8_e32 v144, v2, v7
	v_dot4c_i32_i8_e32 v144, v20, v11
	v_and_b32_e32 v2, 0xf0f0f0f, v120
	v_lshrrev_b32_e32 v20, 4, v120
	;; [unrolled: 5-line block ×3, first 2 shown]
	v_dot4c_i32_i8_e32 v144, v2, v9
	v_and_b32_e32 v2, 0xf0f0f0f, v18
	v_lshrrev_b32_e32 v18, 4, v18
	v_mov_b32_e32 v121, 0
	v_and_b32_e32 v18, 0xf0f0f0f, v18
	v_dot4c_i32_i8_e32 v121, v2, v6
	v_dot4c_i32_i8_e32 v121, v18, v10
	v_and_b32_e32 v2, 0xf0f0f0f, v19
	v_lshrrev_b32_e32 v18, 4, v19
	v_and_b32_e32 v18, 0xf0f0f0f, v18
	v_dot4c_i32_i8_e32 v121, v2, v7
	v_dot4c_i32_i8_e32 v121, v18, v11
	v_and_b32_e32 v2, 0xf0f0f0f, v136
	v_lshrrev_b32_e32 v18, 4, v136
	;; [unrolled: 5-line block ×4, first 2 shown]
	v_mov_b32_e32 v136, 0
	v_and_b32_e32 v18, 0xf0f0f0f, v18
	v_dot4c_i32_i8_e32 v136, v2, v6
	v_dot4c_i32_i8_e32 v136, v18, v10
	v_and_b32_e32 v2, 0xf0f0f0f, v139
	v_lshrrev_b32_e32 v18, 4, v139
	v_and_b32_e32 v18, 0xf0f0f0f, v18
	v_dot4c_i32_i8_e32 v136, v2, v7
	v_add_u32_e32 v2, 0x2118, v79
	v_dot4c_i32_i8_e32 v136, v18, v11
	ds_read2_b32 v[18:19], v2 offset1:1
	v_lshrrev_b32_e32 v15, 4, v15
	v_and_b32_e32 v20, 0xf0f0f0f, v20
	v_and_b32_e32 v15, 0xf0f0f0f, v15
	v_dot4c_i32_i8_e32 v144, v20, v13
	v_add_u32_e32 v20, 0x3190, v79
	v_add_u32_e32 v104, 0x3198, v79
	;; [unrolled: 1-line block ×3, first 2 shown]
	v_dot4c_i32_i8_e32 v145, v15, v21
	v_pk_mul_f16 v120, v3, v105
	ds_read2_b32 v[20:21], v20 offset1:1
	ds_read2_b32 v[104:105], v104 offset1:1
	;; [unrolled: 1-line block ×3, first 2 shown]
	s_waitcnt lgkmcnt(3)
	v_and_b32_e32 v2, 0xf0f0f0f, v18
	v_lshrrev_b32_e32 v18, 4, v18
	v_and_b32_e32 v18, 0xf0f0f0f, v18
	v_dot4c_i32_i8_e32 v136, v2, v8
	v_dot4c_i32_i8_e32 v136, v18, v12
	v_and_b32_e32 v2, 0xf0f0f0f, v19
	v_lshrrev_b32_e32 v18, 4, v19
	v_and_b32_e32 v18, 0xf0f0f0f, v18
	v_dot4c_i32_i8_e32 v136, v2, v9
	v_dot4c_i32_i8_e32 v136, v18, v13
	s_waitcnt lgkmcnt(2)
	v_and_b32_e32 v2, 0xf0f0f0f, v20
	v_lshrrev_b32_e32 v18, 4, v20
	v_mov_b32_e32 v138, 0
	v_and_b32_e32 v18, 0xf0f0f0f, v18
	v_dot4c_i32_i8_e32 v138, v2, v6
	v_dot4c_i32_i8_e32 v138, v18, v10
	v_and_b32_e32 v2, 0xf0f0f0f, v21
	v_lshrrev_b32_e32 v6, 4, v21
	v_and_b32_e32 v6, 0xf0f0f0f, v6
	v_dot4c_i32_i8_e32 v138, v2, v7
	v_dot4c_i32_i8_e32 v138, v6, v11
	s_waitcnt lgkmcnt(1)
	v_and_b32_e32 v2, 0xf0f0f0f, v104
	v_lshrrev_b32_e32 v6, 4, v104
	v_and_b32_e32 v6, 0xf0f0f0f, v6
	v_dot4c_i32_i8_e32 v138, v2, v8
	v_dot4c_i32_i8_e32 v138, v6, v12
	v_and_b32_e32 v2, 0xf0f0f0f, v105
	v_lshrrev_b32_e32 v6, 4, v105
	v_and_b32_e32 v6, 0xf0f0f0f, v6
	v_dot4c_i32_i8_e32 v138, v2, v9
	v_dot4c_i32_i8_e32 v138, v6, v13
	ds_read_b128 v[6:9], v75 offset:64
	ds_read_b128 v[10:13], v75 offset:80
	v_pk_mul_f16 v135, v3, v135
	v_pk_mul_f16 v137, v3, v143
	;; [unrolled: 1-line block ×3, first 2 shown]
	v_and_b32_e32 v2, 0xf0f0f0f, v124
	v_lshrrev_b32_e32 v3, 4, v124
	v_mov_b32_e32 v124, 0
	v_and_b32_e32 v3, 0xf0f0f0f, v3
	s_waitcnt lgkmcnt(1)
	v_dot4c_i32_i8_e32 v124, v2, v6
	s_waitcnt lgkmcnt(0)
	v_dot4c_i32_i8_e32 v124, v3, v10
	v_and_b32_e32 v2, 0xf0f0f0f, v125
	v_lshrrev_b32_e32 v3, 4, v125
	v_and_b32_e32 v3, 0xf0f0f0f, v3
	v_dot4c_i32_i8_e32 v124, v2, v7
	v_dot4c_i32_i8_e32 v124, v3, v11
	v_and_b32_e32 v2, 0xf0f0f0f, v126
	v_lshrrev_b32_e32 v3, 4, v126
	v_and_b32_e32 v3, 0xf0f0f0f, v3
	v_dot4c_i32_i8_e32 v124, v2, v8
	;; [unrolled: 5-line block ×3, first 2 shown]
	v_dot4c_i32_i8_e32 v124, v3, v13
	v_and_b32_e32 v2, 0xf0f0f0f, v118
	v_lshrrev_b32_e32 v3, 4, v118
	v_mov_b32_e32 v118, 0
	v_and_b32_e32 v3, 0xf0f0f0f, v3
	v_dot4c_i32_i8_e32 v118, v2, v6
	v_dot4c_i32_i8_e32 v118, v3, v10
	v_and_b32_e32 v2, 0xf0f0f0f, v119
	v_lshrrev_b32_e32 v3, 4, v119
	v_and_b32_e32 v3, 0xf0f0f0f, v3
	v_dot4c_i32_i8_e32 v118, v2, v7
	v_add_u32_e32 v2, 0x10a8, v79
	v_dot4c_i32_i8_e32 v118, v3, v11
	ds_read2_b32 v[2:3], v2 offset1:1
	v_add_u32_e32 v18, 0x2120, v79
	v_add_u32_e32 v20, 0x2128, v79
	;; [unrolled: 1-line block ×3, first 2 shown]
	ds_read2_b32 v[18:19], v18 offset1:1
	ds_read2_b32 v[20:21], v20 offset1:1
	;; [unrolled: 1-line block ×3, first 2 shown]
	s_waitcnt lgkmcnt(3)
	v_and_b32_e32 v119, 0xf0f0f0f, v2
	v_lshrrev_b32_e32 v2, 4, v2
	v_and_b32_e32 v2, 0xf0f0f0f, v2
	v_dot4c_i32_i8_e32 v118, v119, v8
	v_dot4c_i32_i8_e32 v118, v2, v12
	v_and_b32_e32 v2, 0xf0f0f0f, v3
	v_lshrrev_b32_e32 v3, 4, v3
	v_and_b32_e32 v3, 0xf0f0f0f, v3
	v_dot4c_i32_i8_e32 v118, v2, v9
	v_dot4c_i32_i8_e32 v118, v3, v13
	s_waitcnt lgkmcnt(2)
	v_and_b32_e32 v2, 0xf0f0f0f, v18
	v_lshrrev_b32_e32 v3, 4, v18
	v_mov_b32_e32 v119, 0
	v_and_b32_e32 v3, 0xf0f0f0f, v3
	v_dot4c_i32_i8_e32 v119, v2, v6
	v_dot4c_i32_i8_e32 v119, v3, v10
	v_and_b32_e32 v2, 0xf0f0f0f, v19
	v_lshrrev_b32_e32 v3, 4, v19
	v_and_b32_e32 v3, 0xf0f0f0f, v3
	v_dot4c_i32_i8_e32 v119, v2, v7
	v_dot4c_i32_i8_e32 v119, v3, v11
	s_waitcnt lgkmcnt(1)
	v_and_b32_e32 v2, 0xf0f0f0f, v20
	v_lshrrev_b32_e32 v3, 4, v20
	v_and_b32_e32 v3, 0xf0f0f0f, v3
	v_dot4c_i32_i8_e32 v119, v2, v8
	v_dot4c_i32_i8_e32 v119, v3, v12
	v_and_b32_e32 v2, 0xf0f0f0f, v21
	v_lshrrev_b32_e32 v3, 4, v21
	v_and_b32_e32 v3, 0xf0f0f0f, v3
	v_dot4c_i32_i8_e32 v119, v2, v9
	v_dot4c_i32_i8_e32 v119, v3, v13
	s_waitcnt lgkmcnt(0)
	v_and_b32_e32 v2, 0xf0f0f0f, v104
	v_lshrrev_b32_e32 v3, 4, v104
	v_mov_b32_e32 v125, 0
	v_and_b32_e32 v3, 0xf0f0f0f, v3
	v_dot4c_i32_i8_e32 v125, v2, v6
	v_dot4c_i32_i8_e32 v125, v3, v10
	v_and_b32_e32 v2, 0xf0f0f0f, v105
	v_lshrrev_b32_e32 v3, 4, v105
	v_and_b32_e32 v3, 0xf0f0f0f, v3
	v_dot4c_i32_i8_e32 v125, v2, v7
	v_add_u32_e32 v2, 0x31a8, v79
	v_dot4c_i32_i8_e32 v125, v3, v11
	ds_read2_b32 v[2:3], v2 offset1:1
	v_add_u32_e32 v6, 0x10b0, v79
	v_add_u32_e32 v7, 0x10b8, v79
	;; [unrolled: 1-line block ×3, first 2 shown]
	ds_read2_b32 v[18:19], v6 offset1:1
	ds_read2_b32 v[20:21], v7 offset1:1
	;; [unrolled: 1-line block ×3, first 2 shown]
	s_waitcnt lgkmcnt(3)
	v_and_b32_e32 v6, 0xf0f0f0f, v2
	v_lshrrev_b32_e32 v2, 4, v2
	v_and_b32_e32 v2, 0xf0f0f0f, v2
	v_dot4c_i32_i8_e32 v125, v6, v8
	v_dot4c_i32_i8_e32 v125, v2, v12
	v_and_b32_e32 v2, 0xf0f0f0f, v3
	v_lshrrev_b32_e32 v3, 4, v3
	v_and_b32_e32 v3, 0xf0f0f0f, v3
	v_dot4c_i32_i8_e32 v125, v2, v9
	v_dot4c_i32_i8_e32 v125, v3, v13
	ds_read_b128 v[6:9], v75 offset:96
	ds_read_b128 v[10:13], v75 offset:112
	v_pk_mul_f16 v122, v4, v122
	v_pk_mul_f16 v114, v4, v114
	;; [unrolled: 1-line block ×4, first 2 shown]
	v_and_b32_e32 v2, 0xf0f0f0f, v110
	v_lshrrev_b32_e32 v3, 4, v110
	v_mov_b32_e32 v4, 0
	v_and_b32_e32 v3, 0xf0f0f0f, v3
	s_waitcnt lgkmcnt(1)
	v_dot4c_i32_i8_e32 v4, v2, v6
	s_waitcnt lgkmcnt(0)
	v_dot4c_i32_i8_e32 v4, v3, v10
	v_and_b32_e32 v2, 0xf0f0f0f, v111
	v_lshrrev_b32_e32 v3, 4, v111
	v_and_b32_e32 v3, 0xf0f0f0f, v3
	v_dot4c_i32_i8_e32 v4, v2, v7
	v_dot4c_i32_i8_e32 v4, v3, v11
	v_and_b32_e32 v2, 0xf0f0f0f, v112
	v_lshrrev_b32_e32 v3, 4, v112
	v_and_b32_e32 v3, 0xf0f0f0f, v3
	v_dot4c_i32_i8_e32 v4, v2, v8
	;; [unrolled: 5-line block ×3, first 2 shown]
	v_dot4c_i32_i8_e32 v4, v3, v13
	v_pk_mul_f16 v112, v5, v123
	v_and_b32_e32 v2, 0xf0f0f0f, v18
	v_lshrrev_b32_e32 v3, 4, v18
	v_mov_b32_e32 v123, 0
	v_and_b32_e32 v3, 0xf0f0f0f, v3
	v_dot4c_i32_i8_e32 v123, v2, v6
	v_dot4c_i32_i8_e32 v123, v3, v10
	v_and_b32_e32 v2, 0xf0f0f0f, v19
	v_lshrrev_b32_e32 v3, 4, v19
	v_and_b32_e32 v3, 0xf0f0f0f, v3
	v_dot4c_i32_i8_e32 v123, v2, v7
	v_dot4c_i32_i8_e32 v123, v3, v11
	v_and_b32_e32 v2, 0xf0f0f0f, v20
	v_lshrrev_b32_e32 v3, 4, v20
	;; [unrolled: 5-line block ×3, first 2 shown]
	v_and_b32_e32 v3, 0xf0f0f0f, v3
	v_dot4c_i32_i8_e32 v123, v2, v9
	v_cvt_f32_f16_e32 v108, v133
	v_cvt_f32_f16_e32 v109, v134
	v_cvt_f32_i32_e32 v117, v117
	v_cvt_f32_i32_e32 v116, v116
	v_dot4c_i32_i8_e32 v123, v3, v13
	v_cvt_f32_f16_sdwa v3, v134 dst_sel:DWORD dst_unused:UNUSED_PAD src0_sel:WORD_1
	v_cvt_f32_f16_sdwa v2, v133 dst_sel:DWORD dst_unused:UNUSED_PAD src0_sel:WORD_1
	v_cvt_f32_f16_e32 v19, v135
	v_cvt_f32_f16_e32 v18, v120
	v_cvt_f32_f16_sdwa v21, v135 dst_sel:DWORD dst_unused:UNUSED_PAD src0_sel:WORD_1
	v_cvt_f32_f16_sdwa v20, v120 dst_sel:DWORD dst_unused:UNUSED_PAD src0_sel:WORD_1
	v_cvt_f32_i32_e32 v111, v121
	v_cvt_f32_i32_e32 v110, v144
	v_pk_fma_f32 v[2:3], v[108:109], v[116:117], v[2:3]
	v_pk_mul_f16 v113, v5, v115
	v_pk_add_f32 v[2:3], v[92:93], v[2:3]
	v_pk_fma_f32 v[18:19], v[18:19], v[110:111], v[20:21]
	v_cvt_f32_f16_e32 v21, v114
	v_cvt_f32_f16_e32 v20, v122
	v_cvt_f32_f16_sdwa v93, v114 dst_sel:DWORD dst_unused:UNUSED_PAD src0_sel:WORD_1
	v_cvt_f32_f16_sdwa v92, v122 dst_sel:DWORD dst_unused:UNUSED_PAD src0_sel:WORD_1
	v_cvt_f32_i32_e32 v109, v118
	v_cvt_f32_i32_e32 v108, v124
	v_cvt_f32_f16_e32 v111, v113
	v_cvt_f32_f16_e32 v110, v112
	v_cvt_f32_f16_sdwa v113, v113 dst_sel:DWORD dst_unused:UNUSED_PAD src0_sel:WORD_1
	v_cvt_f32_f16_sdwa v112, v112 dst_sel:DWORD dst_unused:UNUSED_PAD src0_sel:WORD_1
	v_cvt_f32_i32_e32 v115, v123
	v_cvt_f32_i32_e32 v114, v4
	v_pk_add_f32 v[2:3], v[2:3], v[18:19]
	v_pk_fma_f32 v[18:19], v[20:21], v[108:109], v[92:93]
	v_pk_add_f32 v[2:3], v[2:3], v[18:19]
	v_pk_fma_f32 v[18:19], v[110:111], v[114:115], v[112:113]
	v_pk_add_f32 v[92:93], v[2:3], v[18:19]
	v_and_b32_e32 v2, 0xf0f0f0f, v104
	v_lshrrev_b32_e32 v3, 4, v104
	v_mov_b32_e32 v104, 0
	v_and_b32_e32 v3, 0xf0f0f0f, v3
	v_dot4c_i32_i8_e32 v104, v2, v6
	v_dot4c_i32_i8_e32 v104, v3, v10
	v_and_b32_e32 v2, 0xf0f0f0f, v105
	v_lshrrev_b32_e32 v3, 4, v105
	v_and_b32_e32 v3, 0xf0f0f0f, v3
	v_dot4c_i32_i8_e32 v104, v2, v7
	v_add_u32_e32 v2, 0x2138, v79
	v_dot4c_i32_i8_e32 v104, v3, v11
	ds_read2_b32 v[2:3], v2 offset1:1
	v_add_u32_e32 v4, 0x31b0, v79
	v_add_u32_e32 v20, 0x31b8, v79
	ds_read2_b32 v[18:19], v4 offset1:1
	ds_read2_b32 v[20:21], v20 offset1:1
	v_cvt_f32_f16_e32 v106, v142
	s_waitcnt lgkmcnt(2)
	v_and_b32_e32 v4, 0xf0f0f0f, v2
	v_lshrrev_b32_e32 v2, 4, v2
	v_and_b32_e32 v2, 0xf0f0f0f, v2
	v_dot4c_i32_i8_e32 v104, v4, v8
	v_dot4c_i32_i8_e32 v104, v2, v12
	v_and_b32_e32 v2, 0xf0f0f0f, v3
	v_lshrrev_b32_e32 v3, 4, v3
	v_and_b32_e32 v3, 0xf0f0f0f, v3
	v_dot4c_i32_i8_e32 v104, v2, v9
	v_dot4c_i32_i8_e32 v104, v3, v13
	s_waitcnt lgkmcnt(1)
	v_and_b32_e32 v2, 0xf0f0f0f, v18
	v_lshrrev_b32_e32 v3, 4, v18
	v_mov_b32_e32 v18, 0
	v_and_b32_e32 v3, 0xf0f0f0f, v3
	v_dot4c_i32_i8_e32 v18, v2, v6
	v_dot4c_i32_i8_e32 v18, v3, v10
	v_and_b32_e32 v2, 0xf0f0f0f, v19
	v_lshrrev_b32_e32 v3, 4, v19
	v_and_b32_e32 v3, 0xf0f0f0f, v3
	v_dot4c_i32_i8_e32 v18, v2, v7
	v_dot4c_i32_i8_e32 v18, v3, v11
	s_waitcnt lgkmcnt(0)
	v_and_b32_e32 v2, 0xf0f0f0f, v20
	v_lshrrev_b32_e32 v3, 4, v20
	v_and_b32_e32 v3, 0xf0f0f0f, v3
	v_dot4c_i32_i8_e32 v18, v2, v8
	v_dot4c_i32_i8_e32 v18, v3, v12
	v_and_b32_e32 v2, 0xf0f0f0f, v21
	v_lshrrev_b32_e32 v3, 4, v21
	v_and_b32_e32 v3, 0xf0f0f0f, v3
	v_dot4c_i32_i8_e32 v18, v2, v9
	v_cvt_f32_f16_e32 v7, v139
	v_cvt_f32_f16_e32 v6, v137
	v_cvt_f32_f16_sdwa v9, v139 dst_sel:DWORD dst_unused:UNUSED_PAD src0_sel:WORD_1
	v_cvt_f32_f16_sdwa v8, v137 dst_sel:DWORD dst_unused:UNUSED_PAD src0_sel:WORD_1
	v_cvt_f32_i32_e32 v11, v138
	v_cvt_f32_i32_e32 v10, v136
	v_cvt_f32_f16_e32 v107, v140
	v_cvt_f32_i32_e32 v15, v145
	v_dot4c_i32_i8_e32 v18, v3, v13
	v_cvt_f32_f16_sdwa v3, v140 dst_sel:DWORD dst_unused:UNUSED_PAD src0_sel:WORD_1
	v_cvt_f32_f16_sdwa v2, v142 dst_sel:DWORD dst_unused:UNUSED_PAD src0_sel:WORD_1
	v_pk_mul_f16 v17, v5, v17
	v_pk_mul_f16 v19, v5, v103
	v_pk_fma_f32 v[4:5], v[6:7], v[10:11], v[8:9]
	v_cvt_f32_f16_e32 v7, v102
	v_cvt_f32_f16_e32 v6, v16
	v_cvt_f32_f16_sdwa v9, v102 dst_sel:DWORD dst_unused:UNUSED_PAD src0_sel:WORD_1
	v_cvt_f32_f16_sdwa v8, v16 dst_sel:DWORD dst_unused:UNUSED_PAD src0_sel:WORD_1
	v_cvt_f32_i32_e32 v11, v125
	v_cvt_f32_i32_e32 v10, v119
	v_pk_fma_f32 v[2:3], v[106:107], v[14:15], v[2:3]
	v_cvt_f32_f16_e32 v13, v19
	v_cvt_f32_f16_e32 v12, v17
	v_cvt_f32_f16_sdwa v15, v19 dst_sel:DWORD dst_unused:UNUSED_PAD src0_sel:WORD_1
	v_cvt_f32_f16_sdwa v14, v17 dst_sel:DWORD dst_unused:UNUSED_PAD src0_sel:WORD_1
	v_cvt_f32_i32_e32 v17, v18
	v_cvt_f32_i32_e32 v16, v104
	v_pk_add_f32 v[2:3], v[94:95], v[2:3]
	v_pk_add_f32 v[2:3], v[2:3], v[4:5]
	v_pk_fma_f32 v[4:5], v[6:7], v[10:11], v[8:9]
	v_pk_add_f32 v[2:3], v[2:3], v[4:5]
	v_pk_fma_f32 v[4:5], v[12:13], v[16:17], v[14:15]
	v_pk_add_f32 v[94:95], v[2:3], v[4:5]
	s_cmp_ge_i32 s19, s9
	s_barrier
	s_cbranch_scc1 .LBB180_5
; %bb.13:                               ;   in Loop: Header=BB180_6 Depth=1
	v_add_u32_e32 v2, s10, v89
	v_cmp_gt_i32_e32 vcc, s12, v2
	s_and_b64 s[20:21], s[2:3], vcc
	s_and_saveexec_b64 s[4:5], s[20:21]
	s_cbranch_execz .LBB180_15
; %bb.14:                               ;   in Loop: Header=BB180_6 Depth=1
	v_add_u32_e32 v2, s10, v97
	v_mad_i64_i32 v[2:3], s[20:21], v2, 36, v[54:55]
	global_load_dword v2, v[2:3], off offset:4
	s_waitcnt vmcnt(0)
	ds_write_b32 v71, v2
.LBB180_15:                             ;   in Loop: Header=BB180_6 Depth=1
	s_or_b64 exec, exec, s[4:5]
	s_and_saveexec_b64 s[4:5], s[0:1]
	s_cbranch_execz .LBB180_4
; %bb.16:                               ;   in Loop: Header=BB180_6 Depth=1
	v_add3_u32 v2, v67, s10, 4
	v_cmp_gt_i32_e32 vcc, s12, v2
	s_and_b64 s[20:21], s[2:3], vcc
	s_and_b64 exec, exec, s[20:21]
	s_cbranch_execz .LBB180_4
; %bb.17:                               ;   in Loop: Header=BB180_6 Depth=1
	global_load_dword v2, v[56:57], off
	s_waitcnt vmcnt(0)
	ds_write_b32 v73, v2
	s_branch .LBB180_4
.LBB180_18:
	v_mov_b32_e32 v94, v95
	v_mov_b32_e32 v93, v95
	v_mov_b32_e32 v92, v95
.LBB180_19:
	s_mul_i32 s0, s14, s11
	s_waitcnt vmcnt(0)
	v_cmp_gt_i32_e32 vcc, s0, v65
	s_and_saveexec_b64 s[0:1], vcc
	s_cbranch_execz .LBB180_28
; %bb.20:
	v_and_b32_e32 v0, 0x3ff, v0
	v_add_u32_e32 v1, s15, v0
	v_mul_lo_u32 v0, v65, s13
	v_cmp_gt_u32_e32 vcc, s13, v1
	s_and_saveexec_b64 s[0:1], vcc
	s_cbranch_execz .LBB180_22
; %bb.21:
	v_add_u32_e32 v2, v0, v1
	v_mov_b32_e32 v3, 0
	v_lshlrev_b64 v[2:3], 2, v[2:3]
	v_mov_b32_e32 v4, s17
	v_add_co_u32_e32 v2, vcc, s16, v2
	v_addc_co_u32_e32 v3, vcc, v4, v3, vcc
	global_store_dword v[2:3], v92, off
.LBB180_22:
	s_or_b64 exec, exec, s[0:1]
	v_add_u32_e32 v2, 32, v1
	v_cmp_gt_u32_e32 vcc, s13, v2
	s_and_saveexec_b64 s[0:1], vcc
	s_cbranch_execz .LBB180_24
; %bb.23:
	v_add_u32_e32 v2, v0, v2
	v_mov_b32_e32 v3, 0
	v_lshlrev_b64 v[2:3], 2, v[2:3]
	v_mov_b32_e32 v4, s17
	v_add_co_u32_e32 v2, vcc, s16, v2
	v_addc_co_u32_e32 v3, vcc, v4, v3, vcc
	global_store_dword v[2:3], v93, off
.LBB180_24:
	s_or_b64 exec, exec, s[0:1]
	v_add_u32_e32 v2, 64, v1
	;; [unrolled: 14-line block ×3, first 2 shown]
	v_cmp_gt_u32_e32 vcc, s13, v1
	s_and_b64 exec, exec, vcc
	s_cbranch_execz .LBB180_28
; %bb.27:
	v_add_u32_e32 v0, v0, v1
	v_mov_b32_e32 v1, 0
	v_lshlrev_b64 v[0:1], 2, v[0:1]
	v_mov_b32_e32 v2, s17
	v_add_co_u32_e32 v0, vcc, s16, v0
	v_addc_co_u32_e32 v1, vcc, v2, v1, vcc
	global_store_dword v[0:1], v95, off
.LBB180_28:
	s_endpgm
	.section	.rodata,"a",@progbits
	.p2align	6, 0x0
	.amdhsa_kernel _ZL8moe_q4_1IfLb1EEvPKvS1_PT_PKiS5_S5_iiiiiii
		.amdhsa_group_segment_fixed_size 22272
		.amdhsa_private_segment_fixed_size 0
		.amdhsa_kernarg_size 76
		.amdhsa_user_sgpr_count 6
		.amdhsa_user_sgpr_private_segment_buffer 1
		.amdhsa_user_sgpr_dispatch_ptr 0
		.amdhsa_user_sgpr_queue_ptr 0
		.amdhsa_user_sgpr_kernarg_segment_ptr 1
		.amdhsa_user_sgpr_dispatch_id 0
		.amdhsa_user_sgpr_flat_scratch_init 0
		.amdhsa_user_sgpr_kernarg_preload_length 0
		.amdhsa_user_sgpr_kernarg_preload_offset 0
		.amdhsa_user_sgpr_private_segment_size 0
		.amdhsa_uses_dynamic_stack 0
		.amdhsa_system_sgpr_private_segment_wavefront_offset 0
		.amdhsa_system_sgpr_workgroup_id_x 1
		.amdhsa_system_sgpr_workgroup_id_y 1
		.amdhsa_system_sgpr_workgroup_id_z 0
		.amdhsa_system_sgpr_workgroup_info 0
		.amdhsa_system_vgpr_workitem_id 1
		.amdhsa_next_free_vgpr 146
		.amdhsa_next_free_sgpr 24
		.amdhsa_accum_offset 148
		.amdhsa_reserve_vcc 1
		.amdhsa_reserve_flat_scratch 0
		.amdhsa_float_round_mode_32 0
		.amdhsa_float_round_mode_16_64 0
		.amdhsa_float_denorm_mode_32 3
		.amdhsa_float_denorm_mode_16_64 3
		.amdhsa_dx10_clamp 1
		.amdhsa_ieee_mode 1
		.amdhsa_fp16_overflow 0
		.amdhsa_tg_split 0
		.amdhsa_exception_fp_ieee_invalid_op 0
		.amdhsa_exception_fp_denorm_src 0
		.amdhsa_exception_fp_ieee_div_zero 0
		.amdhsa_exception_fp_ieee_overflow 0
		.amdhsa_exception_fp_ieee_underflow 0
		.amdhsa_exception_fp_ieee_inexact 0
		.amdhsa_exception_int_div_zero 0
	.end_amdhsa_kernel
	.section	.text._ZL8moe_q4_1IfLb1EEvPKvS1_PT_PKiS5_S5_iiiiiii,"axG",@progbits,_ZL8moe_q4_1IfLb1EEvPKvS1_PT_PKiS5_S5_iiiiiii,comdat
.Lfunc_end180:
	.size	_ZL8moe_q4_1IfLb1EEvPKvS1_PT_PKiS5_S5_iiiiiii, .Lfunc_end180-_ZL8moe_q4_1IfLb1EEvPKvS1_PT_PKiS5_S5_iiiiiii
                                        ; -- End function
	.section	.AMDGPU.csdata,"",@progbits
; Kernel info:
; codeLenInByte = 9476
; NumSgprs: 28
; NumVgprs: 146
; NumAgprs: 0
; TotalNumVgprs: 146
; ScratchSize: 0
; MemoryBound: 0
; FloatMode: 240
; IeeeMode: 1
; LDSByteSize: 22272 bytes/workgroup (compile time only)
; SGPRBlocks: 3
; VGPRBlocks: 18
; NumSGPRsForWavesPerEU: 28
; NumVGPRsForWavesPerEU: 146
; AccumOffset: 148
; Occupancy: 2
; WaveLimiterHint : 1
; COMPUTE_PGM_RSRC2:SCRATCH_EN: 0
; COMPUTE_PGM_RSRC2:USER_SGPR: 6
; COMPUTE_PGM_RSRC2:TRAP_HANDLER: 0
; COMPUTE_PGM_RSRC2:TGID_X_EN: 1
; COMPUTE_PGM_RSRC2:TGID_Y_EN: 1
; COMPUTE_PGM_RSRC2:TGID_Z_EN: 0
; COMPUTE_PGM_RSRC2:TIDIG_COMP_CNT: 1
; COMPUTE_PGM_RSRC3_GFX90A:ACCUM_OFFSET: 36
; COMPUTE_PGM_RSRC3_GFX90A:TG_SPLIT: 0
	.section	.text._ZL8moe_q5_0IfLb0EEvPKvS1_PT_PKiS5_S5_iiiiiii,"axG",@progbits,_ZL8moe_q5_0IfLb0EEvPKvS1_PT_PKiS5_S5_iiiiiii,comdat
	.globl	_ZL8moe_q5_0IfLb0EEvPKvS1_PT_PKiS5_S5_iiiiiii ; -- Begin function _ZL8moe_q5_0IfLb0EEvPKvS1_PT_PKiS5_S5_iiiiiii
	.p2align	8
	.type	_ZL8moe_q5_0IfLb0EEvPKvS1_PT_PKiS5_S5_iiiiiii,@function
_ZL8moe_q5_0IfLb0EEvPKvS1_PT_PKiS5_S5_iiiiiii: ; @_ZL8moe_q5_0IfLb0EEvPKvS1_PT_PKiS5_S5_iiiiiii
; %bb.0:
	s_load_dwordx4 s[0:3], s[4:5], 0x18
	s_mov_b32 s8, s7
	s_mov_b32 s9, 0
	s_lshl_b64 s[10:11], s[8:9], 2
	s_waitcnt lgkmcnt(0)
	s_add_u32 s2, s2, s10
	s_addc_u32 s3, s3, s11
	s_load_dword s2, s[2:3], 0x0
	s_waitcnt lgkmcnt(0)
	s_cmpk_gt_u32 s2, 0xff
	s_cbranch_scc1 .LBB181_28
; %bb.1:
	s_load_dwordx2 s[10:11], s[4:5], 0x28
	s_lshl_b32 s3, s8, 3
	s_waitcnt lgkmcnt(0)
	s_load_dword s7, s[10:11], 0x0
	s_waitcnt lgkmcnt(0)
	s_cmp_gt_u32 s3, s7
	s_cbranch_scc1 .LBB181_28
; %bb.2:
	v_bfe_u32 v1, v0, 10, 10
	v_add_u32_e32 v92, s3, v1
	v_mov_b32_e32 v93, 0
	v_lshlrev_b64 v[2:3], 2, v[92:93]
	v_mov_b32_e32 v4, s1
	v_add_co_u32_e32 v2, vcc, s0, v2
	v_addc_co_u32_e32 v3, vcc, v4, v3, vcc
	global_load_dword v101, v[2:3], off
	s_load_dwordx2 s[14:15], s[4:5], 0x30
	s_load_dwordx2 s[12:13], s[4:5], 0x10
	s_load_dwordx4 s[8:11], s[4:5], 0x3c
	s_lshl_b32 s16, s6, 7
	s_waitcnt lgkmcnt(0)
	s_cmp_lt_i32 s15, 32
	s_cbranch_scc1 .LBB181_18
; %bb.3:
	s_ashr_i32 s1, s9, 31
	s_lshr_b32 s1, s1, 27
	s_add_i32 s1, s9, s1
	v_and_b32_e32 v104, 0x3ff, v0
	s_ashr_i32 s9, s1, 5
	v_lshlrev_b32_e32 v3, 3, v104
	s_movk_i32 s1, 0x104
	s_ashr_i32 s0, s15, 31
	v_mad_u32_u24 v106, v1, s1, v3
	v_lshlrev_b32_e32 v3, 2, v1
	v_lshrrev_b32_e32 v122, 3, v104
	s_load_dwordx4 s[4:7], s[4:5], 0x0
	s_lshr_b32 s0, s0, 27
	v_and_b32_e32 v21, 7, v104
	v_add_u32_e32 v22, v122, v3
	s_add_i32 s0, s15, s0
	s_mul_i32 s14, s2, s14
	v_and_b32_e32 v23, 0x1ffc, v22
	v_lshlrev_b32_e32 v24, 2, v21
	s_mov_b32 s2, 0x8200
	s_ashr_i32 s17, s0, 5
	v_add3_u32 v91, v23, v24, s2
	v_add_u32_e32 v23, 32, v22
	v_lshlrev_b32_e32 v2, 2, v104
	v_mul_lo_u32 v89, s17, v22
	v_lshlrev_b32_e32 v92, 5, v22
	v_and_b32_e32 v25, 0x3ffc, v23
	v_lshlrev_b32_e32 v102, 5, v23
	v_add_u32_e32 v23, 64, v22
	v_add_u32_e32 v22, 0x60, v22
	v_and_b32_e32 v105, 12, v2
	v_add3_u32 v93, v25, v24, s2
	v_and_b32_e32 v25, 0x3ffc, v23
	v_lshlrev_b32_e32 v138, 5, v23
	v_and_b32_e32 v23, 0x3ffc, v22
	v_and_b32_e32 v2, 28, v2
	v_add3_u32 v103, v25, v24, s2
	v_add3_u32 v139, v23, v24, s2
	v_lshlrev_b32_e32 v140, 5, v22
	v_and_b32_e32 v24, 31, v104
	s_waitcnt lgkmcnt(0)
	v_add_co_u32_e32 v22, vcc, s6, v2
	v_lshlrev_b32_e32 v2, 7, v1
	v_lshl_or_b32 v24, v24, 2, v2
	v_add_u32_e32 v123, 0x9280, v24
	v_mov_b32_e32 v24, 0x9680
	v_mul_lo_u32 v5, s17, v1
	v_add_u32_e32 v125, 0x9280, v2
	v_lshl_add_u32 v126, v1, 4, v24
	v_and_b32_e32 v1, 0xfc, v104
	v_lshlrev_b32_e32 v2, 5, v104
	v_or_b32_e32 v3, v3, v104
	v_add3_u32 v128, v2, v1, s2
	v_add_u32_e32 v1, 32, v104
	v_lshl_add_u32 v124, v3, 2, v24
	v_and_b32_e32 v2, 0x1fc, v1
	v_lshlrev_b32_e32 v3, 5, v1
	v_add3_u32 v129, v3, v2, s2
	v_add_u32_e32 v2, 64, v104
	v_and_b32_e32 v3, 0x1fc, v2
	v_lshlrev_b32_e32 v2, 5, v2
	s_abs_i32 s3, s11
	v_add3_u32 v130, v2, v3, s2
	v_cvt_f32_u32_e32 v3, s3
	v_add_u32_e32 v2, 0x60, v104
	v_and_b32_e32 v24, 0x1fc, v2
	v_lshlrev_b32_e32 v2, 5, v2
	v_add3_u32 v131, v2, v24, s2
	v_rcp_iflag_f32_e32 v2, v3
	s_sub_i32 s2, 0, s3
	s_waitcnt vmcnt(0)
	v_sub_u32_e32 v3, 0, v101
	v_max_i32_e32 v3, v101, v3
	v_mul_f32_e32 v2, 0x4f7ffffe, v2
	v_cvt_u32_f32_e32 v2, v2
	v_mov_b32_e32 v23, s7
	v_addc_co_u32_e32 v23, vcc, 0, v23, vcc
	v_mul_lo_u32 v24, s2, v2
	v_mul_hi_u32 v24, v2, v24
	v_add_u32_e32 v2, v2, v24
	v_mul_hi_u32 v2, v3, v2
	v_mul_lo_u32 v24, v2, s3
	v_sub_u32_e32 v3, v3, v24
	v_add_u32_e32 v24, 1, v2
	v_cmp_le_u32_e32 vcc, s3, v3
	v_cndmask_b32_e32 v2, v2, v24, vcc
	v_subrev_u32_e32 v24, s3, v3
	v_cndmask_b32_e32 v3, v3, v24, vcc
	v_lshrrev_b32_e32 v132, 3, v1
	v_xor_b32_e32 v1, s11, v101
	v_add_u32_e32 v24, 1, v2
	v_cmp_le_u32_e32 vcc, s3, v3
	v_ashrrev_i32_e32 v1, 31, v1
	v_cndmask_b32_e32 v2, v2, v24, vcc
	v_xor_b32_e32 v2, v2, v1
	v_sub_u32_e32 v1, v2, v1
	v_cmp_gt_i32_e64 s[2:3], s8, v1
	v_mul_lo_u32 v1, v1, s9
	v_ashrrev_i32_e32 v2, 31, v1
	v_add_co_u32_e32 v3, vcc, v1, v104
	s_mul_i32 s20, s17, s16
	v_addc_co_u32_e32 v24, vcc, 0, v2, vcc
	v_mad_u64_u32 v[2:3], s[22:23], v3, 36, s[6:7]
	s_movk_i32 s21, 0x90
	v_mad_i32_i24 v3, v24, 36, v3
	v_add_co_u32_e32 v24, vcc, s21, v2
	s_mul_hi_i32 s21, s20, 22
	s_mul_i32 s22, s20, 22
	v_lshrrev_b32_e32 v4, 2, v104
	v_addc_co_u32_e32 v25, vcc, 0, v3, vcc
	v_mov_b32_e32 v2, s22
	v_mov_b32_e32 v3, s21
	s_lshl_b32 s1, s17, 3
	v_mad_u64_u32 v[2:3], s[22:23], v4, 22, v[2:3]
	v_add_u32_e32 v6, s1, v5
	v_mad_u64_u32 v[4:5], s[22:23], v5, 22, v[2:3]
	v_add_u32_e32 v133, v104, v1
	v_add_u32_e32 v134, v132, v1
	;; [unrolled: 1-line block ×3, first 2 shown]
	v_add_co_u32_e32 v1, vcc, v4, v105
	v_addc_co_u32_e32 v27, vcc, 0, v5, vcc
	v_mov_b32_e32 v136, s5
	v_add_co_u32_e32 v26, vcc, s4, v1
	v_addc_co_u32_e32 v1, vcc, v136, v27, vcc
	v_add_co_u32_e32 v28, vcc, s4, v4
	v_addc_co_u32_e32 v27, vcc, v136, v5, vcc
	v_mad_u64_u32 v[4:5], s[22:23], v6, 22, v[2:3]
	v_add_u32_e32 v7, s1, v6
	v_mov_b32_e32 v6, s5
	v_add_co_u32_e32 v4, vcc, s4, v4
	v_addc_co_u32_e32 v5, vcc, v5, v6, vcc
	v_add_co_u32_e32 v30, vcc, v4, v105
	v_addc_co_u32_e32 v29, vcc, 0, v5, vcc
	;; [unrolled: 2-line block ×3, first 2 shown]
	v_mad_u64_u32 v[4:5], s[22:23], v7, 22, v[2:3]
	v_add_co_u32_e32 v4, vcc, s4, v4
	v_addc_co_u32_e32 v5, vcc, v5, v6, vcc
	v_add_co_u32_e32 v34, vcc, v4, v105
	v_addc_co_u32_e32 v33, vcc, 0, v5, vcc
	v_add_u32_e32 v8, s1, v7
	v_add_co_u32_e32 v36, vcc, 2, v4
	v_addc_co_u32_e32 v35, vcc, 0, v5, vcc
	v_mad_u64_u32 v[4:5], s[22:23], v8, 22, v[2:3]
	v_add_co_u32_e32 v4, vcc, s4, v4
	v_addc_co_u32_e32 v5, vcc, v5, v6, vcc
	v_add_co_u32_e32 v38, vcc, v4, v105
	v_addc_co_u32_e32 v37, vcc, 0, v5, vcc
	v_add_u32_e32 v9, s1, v8
	v_add_co_u32_e32 v40, vcc, 2, v4
	v_addc_co_u32_e32 v39, vcc, 0, v5, vcc
	;; [unrolled: 8-line block ×13, first 2 shown]
	v_mad_u64_u32 v[2:3], s[22:23], v20, 22, v[2:3]
	v_mov_b32_e32 v4, s5
	v_add_co_u32_e32 v2, vcc, s4, v2
	v_addc_co_u32_e32 v3, vcc, v3, v4, vcc
	v_add_co_u32_e32 v86, vcc, v2, v105
	v_addc_co_u32_e32 v85, vcc, 0, v3, vcc
	;; [unrolled: 2-line block ×3, first 2 shown]
	v_mad_u64_u32 v[2:3], s[22:23], v89, 22, 0
	v_mad_i64_i32 v[2:3], s[22:23], s20, 22, v[2:3]
	s_andn2_b32 s0, s0, 31
	v_mad_u64_u32 v[2:3], s[22:23], v21, 22, v[2:3]
	v_add_u32_e32 v90, s0, v89
	v_add_co_u32_e32 v94, vcc, s4, v2
	v_addc_co_u32_e32 v89, vcc, v136, v3, vcc
	v_mad_u64_u32 v[2:3], s[22:23], v90, 22, 0
	v_mad_i64_i32 v[2:3], s[22:23], s20, 22, v[2:3]
	v_mad_u64_u32 v[2:3], s[22:23], v21, 22, v[2:3]
	v_add_u32_e32 v97, s0, v90
	v_add_co_u32_e32 v96, vcc, s4, v2
	v_addc_co_u32_e32 v95, vcc, v136, v3, vcc
	v_mad_u64_u32 v[2:3], s[22:23], v97, 22, 0
	v_mad_i64_i32 v[2:3], s[22:23], s20, 22, v[2:3]
	;; [unrolled: 6-line block ×3, first 2 shown]
	v_mad_u64_u32 v[2:3], s[20:21], v21, 22, v[2:3]
	v_add_co_u32_e32 v100, vcc, s4, v2
	v_mov_b32_e32 v90, 0
	s_ashr_i32 s18, s14, 31
	s_mov_b32 s19, 0
	v_add_u32_e32 v107, 0x820, v106
	v_add_u32_e32 v108, 0x1040, v106
	;; [unrolled: 1-line block ×15, first 2 shown]
	v_cmp_gt_u32_e64 s[0:1], 4, v104
	v_mul_u32_u24_e32 v127, 0x104, v104
	v_addc_co_u32_e32 v99, vcc, v136, v3, vcc
	s_movk_i32 s20, 0x80
	s_movk_i32 s21, 0x1f00
	;; [unrolled: 1-line block ×4, first 2 shown]
	v_add_u32_e32 v136, v91, v92
	v_add_u32_e32 v137, v93, v102
	;; [unrolled: 1-line block ×4, first 2 shown]
	v_mov_b32_e32 v140, 8
	v_mov_b32_e32 v91, v90
	;; [unrolled: 1-line block ×4, first 2 shown]
	s_branch .LBB181_6
.LBB181_4:                              ;   in Loop: Header=BB181_6 Depth=1
	s_or_b64 exec, exec, s[4:5]
	s_waitcnt lgkmcnt(0)
	s_barrier
	ds_read_b128 v[2:5], v126
	ds_read2_b32 v[102:103], v127 offset0:32 offset1:33
	ds_read_b128 v[14:17], v125
	ds_read_b128 v[18:21], v125 offset:16
	ds_read_b128 v[6:9], v125 offset:32
	;; [unrolled: 1-line block ×3, first 2 shown]
	ds_read2_b32 v[142:143], v127 offset0:34 offset1:35
	v_mov_b32_e32 v141, 0
	s_waitcnt lgkmcnt(4)
	v_dot4c_i32_i8_e32 v141, v102, v14
	s_waitcnt lgkmcnt(3)
	v_dot4c_i32_i8_e32 v141, v103, v18
	ds_read2_b32 v[102:103], v127 offset0:36 offset1:37
	ds_read2_b32 v[144:145], v127 offset0:38 offset1:39
	;; [unrolled: 1-line block ×3, first 2 shown]
	s_waitcnt lgkmcnt(3)
	v_dot4c_i32_i8_e32 v141, v142, v15
	v_dot4c_i32_i8_e32 v141, v143, v19
	s_waitcnt lgkmcnt(2)
	v_dot4c_i32_i8_e32 v141, v102, v16
	v_add_u32_e32 v102, 0x2100, v127
	ds_read2_b32 v[142:143], v102 offset1:1
	v_mov_b32_e32 v156, 0
	v_dot4c_i32_i8_e32 v141, v103, v20
	ds_read2_b32 v[102:103], v131 offset0:6 offset1:7
	s_waitcnt lgkmcnt(3)
	v_dot4c_i32_i8_e32 v141, v144, v17
	s_waitcnt lgkmcnt(1)
	v_dot4c_i32_i8_e32 v156, v142, v14
	v_add_u32_e32 v142, 0x2108, v127
	v_dot4c_i32_i8_e32 v156, v143, v18
	ds_read2_b32 v[142:143], v142 offset1:1
	v_add_u32_e32 v144, 0x2110, v127
	v_add_u32_e32 v148, 0x2118, v127
	;; [unrolled: 1-line block ×3, first 2 shown]
	v_dot4c_i32_i8_e32 v141, v145, v21
	ds_read2_b32 v[144:145], v144 offset1:1
	ds_read2_b32 v[148:149], v148 offset1:1
	;; [unrolled: 1-line block ×3, first 2 shown]
	s_waitcnt lgkmcnt(3)
	v_dot4c_i32_i8_e32 v156, v142, v15
	v_dot4c_i32_i8_e32 v156, v143, v19
	s_waitcnt lgkmcnt(2)
	v_dot4c_i32_i8_e32 v156, v144, v16
	v_dot4c_i32_i8_e32 v156, v145, v20
	v_mov_b32_e32 v157, 0
	s_waitcnt lgkmcnt(1)
	v_dot4c_i32_i8_e32 v156, v148, v17
	s_waitcnt lgkmcnt(0)
	v_dot4c_i32_i8_e32 v157, v150, v14
	v_add_u32_e32 v142, 0x4188, v127
	v_add_u32_e32 v144, 0x4190, v127
	;; [unrolled: 1-line block ×4, first 2 shown]
	v_dot4c_i32_i8_e32 v156, v149, v21
	v_dot4c_i32_i8_e32 v157, v151, v18
	ds_read2_b32 v[142:143], v142 offset1:1
	ds_read2_b32 v[144:145], v144 offset1:1
	;; [unrolled: 1-line block ×4, first 2 shown]
	v_mov_b32_e32 v158, 0
	v_mov_b32_e32 v159, 0
	v_dot4c_i32_i8_e32 v159, v146, v6
	s_waitcnt lgkmcnt(3)
	v_dot4c_i32_i8_e32 v157, v142, v15
	s_waitcnt lgkmcnt(0)
	v_dot4c_i32_i8_e32 v158, v150, v14
	v_add_u32_e32 v14, 0x6208, v127
	v_dot4c_i32_i8_e32 v157, v143, v19
	ds_read2_b32 v[142:143], v14 offset1:1
	v_dot4c_i32_i8_e32 v157, v144, v16
	v_dot4c_i32_i8_e32 v157, v145, v20
	;; [unrolled: 1-line block ×4, first 2 shown]
	v_add_u32_e32 v18, 0x6210, v127
	v_add_u32_e32 v148, 0x6218, v127
	v_dot4c_i32_i8_e32 v157, v149, v21
	v_add_u32_e32 v14, 0x2120, v127
	ds_read2_b32 v[144:145], v18 offset1:1
	ds_read2_b32 v[148:149], v148 offset1:1
	;; [unrolled: 1-line block ×3, first 2 shown]
	s_waitcnt lgkmcnt(3)
	v_dot4c_i32_i8_e32 v158, v142, v15
	v_dot4c_i32_i8_e32 v158, v143, v19
	ds_read2_b32 v[14:15], v127 offset0:42 offset1:43
	s_waitcnt lgkmcnt(3)
	v_dot4c_i32_i8_e32 v158, v144, v16
	v_dot4c_i32_i8_e32 v158, v145, v20
	s_waitcnt lgkmcnt(2)
	v_dot4c_i32_i8_e32 v158, v148, v17
	v_dot4c_i32_i8_e32 v158, v149, v21
	;; [unrolled: 1-line block ×3, first 2 shown]
	ds_read2_b32 v[16:17], v127 offset0:44 offset1:45
	ds_read2_b32 v[18:19], v127 offset0:46 offset1:47
	;; [unrolled: 1-line block ×3, first 2 shown]
	s_waitcnt lgkmcnt(3)
	v_dot4c_i32_i8_e32 v159, v14, v7
	v_add_u32_e32 v14, 0x2128, v127
	v_dot4c_i32_i8_e32 v159, v15, v11
	ds_read2_b32 v[14:15], v14 offset1:1
	s_waitcnt lgkmcnt(3)
	v_dot4c_i32_i8_e32 v159, v16, v8
	v_dot4c_i32_i8_e32 v159, v17, v12
	v_mov_b32_e32 v160, 0
	s_waitcnt lgkmcnt(2)
	v_dot4c_i32_i8_e32 v159, v18, v9
	v_dot4c_i32_i8_e32 v160, v150, v6
	v_add_u32_e32 v16, 0x2130, v127
	v_add_u32_e32 v18, 0x2138, v127
	;; [unrolled: 1-line block ×3, first 2 shown]
	v_dot4c_i32_i8_e32 v159, v19, v13
	v_dot4c_i32_i8_e32 v160, v151, v10
	ds_read2_b32 v[16:17], v16 offset1:1
	ds_read2_b32 v[18:19], v18 offset1:1
	;; [unrolled: 1-line block ×3, first 2 shown]
	s_waitcnt lgkmcnt(3)
	v_dot4c_i32_i8_e32 v160, v14, v7
	v_dot4c_i32_i8_e32 v160, v15, v11
	s_waitcnt lgkmcnt(2)
	v_dot4c_i32_i8_e32 v160, v16, v8
	v_dot4c_i32_i8_e32 v160, v17, v12
	v_mov_b32_e32 v161, 0
	s_waitcnt lgkmcnt(1)
	v_dot4c_i32_i8_e32 v160, v18, v9
	s_waitcnt lgkmcnt(0)
	v_dot4c_i32_i8_e32 v161, v142, v6
	v_add_u32_e32 v14, 0x41a8, v127
	v_add_u32_e32 v16, 0x41b0, v127
	;; [unrolled: 1-line block ×4, first 2 shown]
	v_dot4c_i32_i8_e32 v160, v19, v13
	v_dot4c_i32_i8_e32 v161, v143, v10
	ds_read2_b32 v[14:15], v14 offset1:1
	ds_read2_b32 v[16:17], v16 offset1:1
	;; [unrolled: 1-line block ×4, first 2 shown]
	v_mov_b32_e32 v162, 0
	v_mov_b32_e32 v163, 0
	v_mov_b32_e32 v164, 0
	s_waitcnt lgkmcnt(3)
	v_dot4c_i32_i8_e32 v161, v14, v7
	s_waitcnt lgkmcnt(0)
	v_dot4c_i32_i8_e32 v162, v142, v6
	v_add_u32_e32 v6, 0x6228, v127
	v_dot4c_i32_i8_e32 v161, v15, v11
	ds_read2_b32 v[14:15], v6 offset1:1
	v_dot4c_i32_i8_e32 v161, v16, v8
	v_dot4c_i32_i8_e32 v161, v17, v12
	;; [unrolled: 1-line block ×4, first 2 shown]
	v_add_u32_e32 v10, 0x6230, v127
	v_add_u32_e32 v18, 0x6238, v127
	v_dot4c_i32_i8_e32 v161, v19, v13
	v_add_u32_e32 v6, 0x2140, v127
	ds_read2_b32 v[16:17], v10 offset1:1
	ds_read2_b32 v[18:19], v18 offset1:1
	;; [unrolled: 1-line block ×3, first 2 shown]
	s_waitcnt lgkmcnt(3)
	v_dot4c_i32_i8_e32 v162, v14, v7
	v_dot4c_i32_i8_e32 v162, v15, v11
	s_waitcnt lgkmcnt(2)
	v_dot4c_i32_i8_e32 v162, v16, v8
	v_dot4c_i32_i8_e32 v162, v17, v12
	s_waitcnt lgkmcnt(1)
	v_dot4c_i32_i8_e32 v162, v18, v9
	v_dot4c_i32_i8_e32 v162, v19, v13
	ds_read_b128 v[8:11], v125 offset:64
	ds_read_b128 v[12:15], v125 offset:80
	ds_read2_b32 v[6:7], v130 offset0:4 offset1:5
	ds_read2_b32 v[144:145], v129 offset0:6 offset1:7
	;; [unrolled: 1-line block ×5, first 2 shown]
	s_waitcnt lgkmcnt(6)
	v_dot4c_i32_i8_e32 v163, v20, v8
	s_waitcnt lgkmcnt(5)
	v_dot4c_i32_i8_e32 v163, v21, v12
	ds_read2_b32 v[18:19], v127 offset0:52 offset1:53
	ds_read2_b32 v[20:21], v127 offset0:54 offset1:55
	;; [unrolled: 1-line block ×3, first 2 shown]
	v_dot4c_i32_i8_e32 v164, v142, v8
	s_waitcnt lgkmcnt(3)
	v_dot4c_i32_i8_e32 v163, v16, v9
	v_add_u32_e32 v16, 0x2148, v127
	v_dot4c_i32_i8_e32 v163, v17, v13
	ds_read2_b32 v[16:17], v16 offset1:1
	s_waitcnt lgkmcnt(3)
	v_dot4c_i32_i8_e32 v163, v18, v10
	v_dot4c_i32_i8_e32 v163, v19, v14
	s_waitcnt lgkmcnt(2)
	v_dot4c_i32_i8_e32 v163, v20, v11
	v_add_u32_e32 v18, 0x2150, v127
	v_add_u32_e32 v20, 0x2158, v127
	;; [unrolled: 1-line block ×3, first 2 shown]
	v_dot4c_i32_i8_e32 v163, v21, v15
	v_dot4c_i32_i8_e32 v164, v143, v12
	ds_read2_b32 v[18:19], v18 offset1:1
	ds_read2_b32 v[20:21], v20 offset1:1
	;; [unrolled: 1-line block ×3, first 2 shown]
	s_waitcnt lgkmcnt(3)
	v_dot4c_i32_i8_e32 v164, v16, v9
	v_dot4c_i32_i8_e32 v164, v17, v13
	s_waitcnt lgkmcnt(2)
	v_dot4c_i32_i8_e32 v164, v18, v10
	v_dot4c_i32_i8_e32 v164, v19, v14
	v_mov_b32_e32 v165, 0
	s_waitcnt lgkmcnt(1)
	v_dot4c_i32_i8_e32 v164, v20, v11
	s_waitcnt lgkmcnt(0)
	v_dot4c_i32_i8_e32 v165, v142, v8
	v_add_u32_e32 v16, 0x41c8, v127
	v_add_u32_e32 v18, 0x41d0, v127
	;; [unrolled: 1-line block ×4, first 2 shown]
	v_dot4c_i32_i8_e32 v164, v21, v15
	ds_read2_b32 v[20:21], v131 offset0:4 offset1:5
	ds_read2_b32 v[152:153], v130 offset0:6 offset1:7
	v_dot4c_i32_i8_e32 v165, v143, v12
	ds_read2_b32 v[16:17], v16 offset1:1
	ds_read2_b32 v[18:19], v18 offset1:1
	ds_read2_b32 v[142:143], v142 offset1:1
	ds_read2_b32 v[154:155], v154 offset1:1
	v_mov_b32_e32 v166, 0
	v_mov_b32_e32 v167, 0
	;; [unrolled: 1-line block ×3, first 2 shown]
	s_waitcnt lgkmcnt(3)
	v_dot4c_i32_i8_e32 v165, v16, v9
	s_waitcnt lgkmcnt(0)
	v_dot4c_i32_i8_e32 v166, v154, v8
	v_add_u32_e32 v8, 0x6248, v127
	v_dot4c_i32_i8_e32 v165, v17, v13
	ds_read2_b32 v[16:17], v8 offset1:1
	v_dot4c_i32_i8_e32 v165, v18, v10
	v_dot4c_i32_i8_e32 v165, v19, v14
	;; [unrolled: 1-line block ×4, first 2 shown]
	v_add_u32_e32 v12, 0x6250, v127
	v_add_u32_e32 v142, 0x6258, v127
	v_dot4c_i32_i8_e32 v165, v143, v15
	v_add_u32_e32 v8, 0x2160, v127
	ds_read2_b32 v[18:19], v12 offset1:1
	ds_read2_b32 v[142:143], v142 offset1:1
	;; [unrolled: 1-line block ×3, first 2 shown]
	s_waitcnt lgkmcnt(3)
	v_dot4c_i32_i8_e32 v166, v16, v9
	v_dot4c_i32_i8_e32 v166, v17, v13
	s_waitcnt lgkmcnt(2)
	v_dot4c_i32_i8_e32 v166, v18, v10
	v_dot4c_i32_i8_e32 v166, v19, v14
	ds_read_b128 v[16:19], v125 offset:96
	s_waitcnt lgkmcnt(2)
	v_dot4c_i32_i8_e32 v166, v142, v11
	ds_read_b128 v[8:11], v125 offset:112
	ds_read2_b32 v[12:13], v127 offset0:58 offset1:59
	v_dot4c_i32_i8_e32 v166, v143, v15
	s_waitcnt lgkmcnt(2)
	v_dot4c_i32_i8_e32 v167, v150, v16
	v_dot4c_i32_i8_e32 v168, v154, v16
	s_waitcnt lgkmcnt(1)
	v_dot4c_i32_i8_e32 v167, v151, v8
	ds_read2_b32 v[14:15], v127 offset0:60 offset1:61
	ds_read2_b32 v[142:143], v128 offset0:4 offset1:5
	;; [unrolled: 1-line block ×3, first 2 shown]
	s_waitcnt lgkmcnt(3)
	v_dot4c_i32_i8_e32 v167, v12, v17
	v_add_u32_e32 v12, 0x2168, v127
	v_dot4c_i32_i8_e32 v167, v13, v9
	ds_read2_b32 v[12:13], v12 offset1:1
	s_waitcnt lgkmcnt(3)
	v_dot4c_i32_i8_e32 v167, v14, v18
	v_dot4c_i32_i8_e32 v167, v15, v10
	s_waitcnt lgkmcnt(1)
	v_dot4c_i32_i8_e32 v167, v150, v19
	v_add_u32_e32 v14, 0x2170, v127
	v_add_u32_e32 v150, 0x2178, v127
	;; [unrolled: 1-line block ×3, first 2 shown]
	v_dot4c_i32_i8_e32 v167, v151, v11
	v_dot4c_i32_i8_e32 v168, v155, v8
	ds_read2_b32 v[14:15], v14 offset1:1
	ds_read2_b32 v[150:151], v150 offset1:1
	;; [unrolled: 1-line block ×3, first 2 shown]
	s_waitcnt lgkmcnt(3)
	v_dot4c_i32_i8_e32 v168, v12, v17
	v_dot4c_i32_i8_e32 v168, v13, v9
	s_waitcnt lgkmcnt(2)
	v_dot4c_i32_i8_e32 v168, v14, v18
	v_dot4c_i32_i8_e32 v168, v15, v10
	s_waitcnt lgkmcnt(1)
	v_dot4c_i32_i8_e32 v168, v150, v19
	v_cvt_f32_i32_e32 v15, v156
	v_cvt_f32_i32_e32 v14, v141
	v_dot4c_i32_i8_e32 v168, v151, v11
	v_cvt_f32_i32_e32 v151, v160
	v_cvt_f32_i32_e32 v150, v159
	v_mov_b32_e32 v12, v142
	v_mov_b32_e32 v13, v146
	v_pk_mul_f32 v[12:13], v[2:3], v[12:13] op_sel_hi:[0,1]
	v_mov_b32_e32 v146, v143
	v_pk_fma_f32 v[12:13], v[12:13], v[14:15], v[90:91]
	v_pk_mul_f32 v[14:15], v[2:3], v[146:147] op_sel:[1,0]
	v_pk_fma_f32 v[12:13], v[14:15], v[150:151], v[12:13]
	v_cvt_f32_i32_e32 v15, v164
	v_cvt_f32_i32_e32 v14, v163
	v_mov_b32_e32 v90, v148
	v_mov_b32_e32 v91, v144
	v_pk_mul_f32 v[90:91], v[4:5], v[90:91] op_sel_hi:[0,1]
	v_pk_fma_f32 v[12:13], v[90:91], v[14:15], v[12:13]
	v_cvt_f32_i32_e32 v15, v168
	v_cvt_f32_i32_e32 v14, v167
	v_mov_b32_e32 v142, v5
	v_mov_b32_e32 v144, v149
	v_pk_mul_f32 v[90:91], v[142:143], v[144:145] op_sel_hi:[0,1]
	v_add_u32_e32 v5, 0x41e8, v127
	v_pk_fma_f32 v[90:91], v[90:91], v[14:15], v[12:13]
	ds_read2_b32 v[12:13], v5 offset1:1
	v_mov_b32_e32 v141, 0
	s_waitcnt lgkmcnt(1)
	v_dot4c_i32_i8_e32 v141, v154, v16
	v_add_u32_e32 v14, 0x41f0, v127
	v_dot4c_i32_i8_e32 v141, v155, v8
	v_add_u32_e32 v143, 0x41f8, v127
	v_add_u32_e32 v5, 0x6260, v127
	ds_read2_b32 v[14:15], v14 offset1:1
	ds_read2_b32 v[144:145], v143 offset1:1
	;; [unrolled: 1-line block ×3, first 2 shown]
	s_waitcnt lgkmcnt(3)
	v_dot4c_i32_i8_e32 v141, v12, v17
	v_add_u32_e32 v5, 0x6268, v127
	v_dot4c_i32_i8_e32 v141, v13, v9
	ds_read2_b32 v[12:13], v5 offset1:1
	s_waitcnt lgkmcnt(3)
	v_dot4c_i32_i8_e32 v141, v14, v18
	v_add_u32_e32 v5, 0x6270, v127
	v_dot4c_i32_i8_e32 v141, v15, v10
	v_mov_b32_e32 v143, 0
	ds_read2_b32 v[14:15], v5 offset1:1
	s_waitcnt lgkmcnt(3)
	v_dot4c_i32_i8_e32 v141, v144, v19
	s_waitcnt lgkmcnt(2)
	v_dot4c_i32_i8_e32 v143, v146, v16
	v_add_u32_e32 v5, 0x6278, v127
	v_dot4c_i32_i8_e32 v141, v145, v11
	v_dot4c_i32_i8_e32 v143, v147, v8
	ds_read2_b32 v[144:145], v5 offset1:1
	s_waitcnt lgkmcnt(2)
	v_dot4c_i32_i8_e32 v143, v12, v17
	v_dot4c_i32_i8_e32 v143, v13, v9
	s_waitcnt lgkmcnt(1)
	v_dot4c_i32_i8_e32 v143, v14, v18
	v_dot4c_i32_i8_e32 v143, v15, v10
	;; [unrolled: 3-line block ×3, first 2 shown]
	v_cvt_f32_i32_e32 v11, v158
	v_cvt_f32_i32_e32 v10, v157
	;; [unrolled: 1-line block ×4, first 2 shown]
	v_mov_b32_e32 v8, v6
	v_mov_b32_e32 v9, v20
	v_pk_mul_f32 v[8:9], v[2:3], v[8:9] op_sel_hi:[0,1]
	v_mov_b32_e32 v20, v7
	v_pk_fma_f32 v[8:9], v[8:9], v[10:11], v[92:93]
	v_pk_mul_f32 v[2:3], v[2:3], v[20:21] op_sel:[1,0]
	v_pk_fma_f32 v[2:3], v[2:3], v[12:13], v[8:9]
	v_mov_b32_e32 v6, v152
	v_mov_b32_e32 v7, v102
	v_cvt_f32_i32_e32 v9, v166
	v_cvt_f32_i32_e32 v8, v165
	v_pk_mul_f32 v[4:5], v[4:5], v[6:7] op_sel_hi:[0,1]
	v_cvt_f32_i32_e32 v7, v143
	v_cvt_f32_i32_e32 v6, v141
	v_mov_b32_e32 v102, v153
	v_pk_fma_f32 v[2:3], v[4:5], v[8:9], v[2:3]
	v_pk_mul_f32 v[4:5], v[142:143], v[102:103] op_sel_hi:[0,1]
	v_pk_fma_f32 v[92:93], v[4:5], v[6:7], v[2:3]
	s_barrier
.LBB181_5:                              ;   in Loop: Header=BB181_6 Depth=1
	v_add_co_u32_e32 v24, vcc, 0x120, v24
	v_addc_co_u32_e32 v25, vcc, 0, v25, vcc
	v_add_co_u32_e32 v26, vcc, 0xb0, v26
	v_addc_co_u32_e32 v1, vcc, 0, v1, vcc
	;; [unrolled: 2-line block ×36, first 2 shown]
	s_add_i32 s19, s19, 8
	s_addk_i32 s20, 0x100
	v_add_co_u32_e32 v100, vcc, 0xb0, v100
	s_cmp_ge_i32 s19, s17
	v_addc_co_u32_e32 v99, vcc, 0, v99, vcc
	s_cbranch_scc1 .LBB181_19
.LBB181_6:                              ; =>This Inner Loop Header: Depth=1
	v_mov_b32_e32 v2, s18
	v_add_co_u32_e32 v4, vcc, s14, v26
	v_addc_co_u32_e32 v5, vcc, v1, v2, vcc
	global_load_dword v3, v[4:5], off offset:6
	v_add_co_u32_e32 v4, vcc, s14, v28
	v_addc_co_u32_e32 v5, vcc, v27, v2, vcc
	global_load_dword v8, v[4:5], off offset:2
	v_add_co_u32_e32 v4, vcc, s14, v30
	v_addc_co_u32_e32 v5, vcc, v29, v2, vcc
	v_add_co_u32_e32 v6, vcc, s14, v32
	v_addc_co_u32_e32 v7, vcc, v31, v2, vcc
	global_load_dword v9, v[6:7], off
	global_load_dword v10, v[4:5], off offset:6
	v_add_co_u32_e32 v4, vcc, s14, v34
	v_addc_co_u32_e32 v5, vcc, v33, v2, vcc
	v_add_co_u32_e32 v6, vcc, s14, v36
	v_addc_co_u32_e32 v7, vcc, v35, v2, vcc
	global_load_dword v11, v[4:5], off offset:6
	global_load_dword v12, v[6:7], off
	s_add_i32 s4, s20, 0xffffff80
	s_cmp_lt_i32 s4, s15
	s_waitcnt vmcnt(5)
	v_and_b32_e32 v5, 0xf0f0f0f, v3
	v_lshrrev_b32_e32 v3, 4, v3
	v_and_b32_e32 v3, 0xf0f0f0f, v3
	s_waitcnt vmcnt(4)
	v_ashrrev_i32_e32 v4, v105, v8
	v_lshlrev_b32_e32 v7, 4, v4
	v_lshlrev_b32_e32 v13, 18, v4
	;; [unrolled: 1-line block ×3, first 2 shown]
	v_lshrrev_b32_e32 v15, 12, v4
	v_lshrrev_b32_e32 v16, 5, v4
	v_lshlrev_b32_e32 v17, 2, v4
	v_and_b32_e32 v7, 16, v7
	s_waitcnt vmcnt(3)
	v_ashrrev_i32_e32 v8, v105, v9
	v_lshlrev_b32_e32 v9, 11, v4
	v_lshlrev_b32_e32 v4, 9, v4
	v_and_b32_e32 v9, 0x1000, v9
	v_and_b32_e32 v13, 0x100000, v13
	;; [unrolled: 1-line block ×6, first 2 shown]
	v_lshlrev_b32_e32 v18, 4, v8
	v_lshlrev_b32_e32 v19, 11, v8
	v_and_b32_e32 v4, 0x10000000, v4
	v_or3_b32 v7, v7, v5, v9
	v_or3_b32 v5, v5, v13, v14
	;; [unrolled: 1-line block ×3, first 2 shown]
	s_waitcnt vmcnt(2)
	v_and_b32_e32 v6, 0xf0f0f0f, v10
	v_and_b32_e32 v18, 16, v18
	v_and_b32_e32 v19, 0x1000, v19
	v_and_b32_e32 v14, 0x1f00, v7
	v_lshlrev_b16_e32 v7, 8, v7
	v_and_b32_sdwa v15, v5, s21 dst_sel:DWORD dst_unused:UNUSED_PAD src0_sel:WORD_1 src1_sel:DWORD
	v_lshlrev_b16_sdwa v5, v140, v5 dst_sel:DWORD dst_unused:UNUSED_PAD src0_sel:DWORD src1_sel:WORD_1
	v_or3_b32 v3, v9, v4, v3
	v_or3_b32 v13, v18, v6, v19
	v_add_u16_e32 v7, 0xf000, v7
	v_add_u16_e32 v5, 0xf000, v5
	v_lshlrev_b16_e32 v16, 8, v3
	v_and_b32_sdwa v17, v3, s23 dst_sel:DWORD dst_unused:UNUSED_PAD src0_sel:WORD_1 src1_sel:DWORD
	v_and_b32_e32 v4, 0x1f00, v13
	v_lshlrev_b16_e32 v9, 8, v13
	v_and_b32_e32 v13, 0x1f00, v3
	v_lshlrev_b16_sdwa v3, v140, v3 dst_sel:DWORD dst_unused:UNUSED_PAD src0_sel:DWORD src1_sel:WORD_1
	v_or_b32_sdwa v7, v14, v7 dst_sel:DWORD dst_unused:UNUSED_PAD src0_sel:DWORD src1_sel:BYTE_1
	v_or_b32_sdwa v5, v15, v5 dst_sel:DWORD dst_unused:UNUSED_PAD src0_sel:DWORD src1_sel:BYTE_1
	v_add_i16 v14, v16, s22 clamp
	v_add_i16 v15, v17, s22 clamp
	v_lshlrev_b32_e32 v20, 18, v8
	v_lshlrev_b32_e32 v21, 25, v8
	v_add_i16 v3, v3, s22 clamp
	v_add_u16_e32 v7, 0xf000, v7
	v_add_u16_sdwa v5, v5, s22 dst_sel:WORD_1 dst_unused:UNUSED_PAD src0_sel:DWORD src1_sel:DWORD
	v_or_b32_sdwa v13, v13, v14 dst_sel:DWORD dst_unused:UNUSED_PAD src0_sel:DWORD src1_sel:BYTE_1
	v_and_b32_e32 v14, 0xffffff00, v15
	v_and_b32_e32 v20, 0x100000, v20
	;; [unrolled: 1-line block ×3, first 2 shown]
	v_or_b32_e32 v5, v7, v5
	v_add_u16_e32 v7, 0xf000, v13
	v_or_b32_sdwa v3, v3, v14 dst_sel:WORD_1 dst_unused:UNUSED_PAD src0_sel:BYTE_1 src1_sel:DWORD
	v_or3_b32 v6, v6, v20, v21
	v_or_b32_e32 v3, v7, v3
	ds_write2_b32 v106, v5, v3 offset1:1
	v_add_u16_e32 v3, 0xf000, v9
	v_lshlrev_b16_sdwa v5, v140, v6 dst_sel:DWORD dst_unused:UNUSED_PAD src0_sel:DWORD src1_sel:WORD_1
	v_or_b32_sdwa v3, v4, v3 dst_sel:DWORD dst_unused:UNUSED_PAD src0_sel:DWORD src1_sel:BYTE_1
	v_and_b32_sdwa v4, v6, s21 dst_sel:DWORD dst_unused:UNUSED_PAD src0_sel:WORD_1 src1_sel:DWORD
	v_add_u16_e32 v5, 0xf000, v5
	v_or_b32_sdwa v4, v4, v5 dst_sel:DWORD dst_unused:UNUSED_PAD src0_sel:DWORD src1_sel:BYTE_1
	v_add_u16_e32 v3, 0xf000, v3
	v_add_u16_sdwa v4, v4, s22 dst_sel:WORD_1 dst_unused:UNUSED_PAD src0_sel:DWORD src1_sel:DWORD
	v_or_b32_e32 v3, v3, v4
	v_lshrrev_b32_e32 v4, 4, v10
	v_and_b32_e32 v9, 0xf0f0f0f, v4
	v_lshrrev_b32_e32 v4, 12, v8
	v_and_b32_e32 v10, 16, v4
	v_add_co_u32_e32 v4, vcc, s14, v38
	v_addc_co_u32_e32 v5, vcc, v37, v2, vcc
	v_add_co_u32_e32 v6, vcc, s14, v40
	v_addc_co_u32_e32 v7, vcc, v39, v2, vcc
	v_lshrrev_b32_e32 v13, 5, v8
	global_load_dword v14, v[6:7], off
	global_load_dword v15, v[4:5], off offset:6
	v_lshlrev_b32_e32 v5, 2, v8
	v_and_b32_e32 v4, 0x1000, v13
	v_and_b32_e32 v5, 0x100000, v5
	v_lshlrev_b32_e32 v6, 9, v8
	v_and_b32_e32 v6, 0x10000000, v6
	v_or3_b32 v4, v4, v10, v5
	v_or3_b32 v4, v4, v6, v9
	v_lshlrev_b16_e32 v6, 8, v4
	v_and_b32_e32 v5, 0x1f00, v4
	v_add_i16 v6, v6, s22 clamp
	v_or_b32_sdwa v5, v5, v6 dst_sel:DWORD dst_unused:UNUSED_PAD src0_sel:DWORD src1_sel:BYTE_1
	v_and_b32_sdwa v6, v4, s23 dst_sel:DWORD dst_unused:UNUSED_PAD src0_sel:WORD_1 src1_sel:DWORD
	v_add_i16 v6, v6, s22 clamp
	v_lshlrev_b16_sdwa v4, v140, v4 dst_sel:DWORD dst_unused:UNUSED_PAD src0_sel:DWORD src1_sel:WORD_1
	v_and_b32_e32 v6, 0xffffff00, v6
	v_add_i16 v4, v4, s22 clamp
	v_add_u16_e32 v5, 0xf000, v5
	v_or_b32_sdwa v4, v4, v6 dst_sel:WORD_1 dst_unused:UNUSED_PAD src0_sel:BYTE_1 src1_sel:DWORD
	v_or_b32_e32 v4, v5, v4
	ds_write2_b32 v107, v3, v4 offset1:1
	s_waitcnt vmcnt(2)
	v_ashrrev_i32_e32 v3, v105, v12
	v_lshlrev_b32_e32 v5, 4, v3
	v_lshlrev_b32_e32 v6, 11, v3
	v_and_b32_e32 v4, 0xf0f0f0f, v11
	v_and_b32_e32 v5, 16, v5
	;; [unrolled: 1-line block ×3, first 2 shown]
	v_or3_b32 v5, v5, v4, v6
	v_lshlrev_b32_e32 v6, 18, v3
	v_lshlrev_b32_e32 v7, 25, v3
	v_and_b32_e32 v6, 0x100000, v6
	v_and_b32_e32 v7, 0x10000000, v7
	v_or3_b32 v4, v4, v6, v7
	v_and_b32_e32 v6, 0x1f00, v5
	v_lshlrev_b16_e32 v5, 8, v5
	v_add_u16_e32 v5, 0xf000, v5
	v_or_b32_sdwa v5, v6, v5 dst_sel:DWORD dst_unused:UNUSED_PAD src0_sel:DWORD src1_sel:BYTE_1
	v_and_b32_sdwa v6, v4, s21 dst_sel:DWORD dst_unused:UNUSED_PAD src0_sel:WORD_1 src1_sel:DWORD
	v_lshlrev_b16_sdwa v4, v140, v4 dst_sel:DWORD dst_unused:UNUSED_PAD src0_sel:DWORD src1_sel:WORD_1
	v_add_u16_e32 v4, 0xf000, v4
	v_or_b32_sdwa v4, v6, v4 dst_sel:DWORD dst_unused:UNUSED_PAD src0_sel:DWORD src1_sel:BYTE_1
	v_add_u16_e32 v5, 0xf000, v5
	v_add_u16_sdwa v4, v4, s22 dst_sel:WORD_1 dst_unused:UNUSED_PAD src0_sel:DWORD src1_sel:DWORD
	v_or_b32_e32 v8, v5, v4
	v_lshrrev_b32_e32 v4, 4, v11
	v_and_b32_e32 v9, 0xf0f0f0f, v4
	v_lshrrev_b32_e32 v4, 12, v3
	v_and_b32_e32 v10, 16, v4
	v_add_co_u32_e32 v4, vcc, s14, v42
	v_addc_co_u32_e32 v5, vcc, v41, v2, vcc
	v_add_co_u32_e32 v6, vcc, s14, v44
	v_addc_co_u32_e32 v7, vcc, v43, v2, vcc
	global_load_dword v12, v[6:7], off
	global_load_dword v13, v[4:5], off offset:6
	v_lshrrev_b32_e32 v11, 5, v3
	v_lshlrev_b32_e32 v5, 2, v3
	v_and_b32_e32 v4, 0x1000, v11
	v_and_b32_e32 v5, 0x100000, v5
	v_lshlrev_b32_e32 v3, 9, v3
	v_and_b32_e32 v3, 0x10000000, v3
	v_or3_b32 v4, v4, v10, v5
	v_or3_b32 v3, v4, v3, v9
	v_lshlrev_b16_e32 v5, 8, v3
	v_and_b32_e32 v4, 0x1f00, v3
	v_add_i16 v5, v5, s22 clamp
	v_or_b32_sdwa v4, v4, v5 dst_sel:DWORD dst_unused:UNUSED_PAD src0_sel:DWORD src1_sel:BYTE_1
	v_and_b32_sdwa v5, v3, s23 dst_sel:DWORD dst_unused:UNUSED_PAD src0_sel:WORD_1 src1_sel:DWORD
	v_add_i16 v5, v5, s22 clamp
	v_lshlrev_b16_sdwa v3, v140, v3 dst_sel:DWORD dst_unused:UNUSED_PAD src0_sel:DWORD src1_sel:WORD_1
	v_and_b32_e32 v5, 0xffffff00, v5
	v_add_i16 v3, v3, s22 clamp
	v_add_u16_e32 v4, 0xf000, v4
	v_or_b32_sdwa v3, v3, v5 dst_sel:WORD_1 dst_unused:UNUSED_PAD src0_sel:BYTE_1 src1_sel:DWORD
	v_or_b32_e32 v3, v4, v3
	ds_write2_b32 v108, v8, v3 offset1:1
	s_waitcnt vmcnt(3)
	v_ashrrev_i32_e32 v3, v105, v14
	v_lshlrev_b32_e32 v5, 4, v3
	v_lshlrev_b32_e32 v6, 11, v3
	s_waitcnt vmcnt(2)
	v_and_b32_e32 v4, 0xf0f0f0f, v15
	v_and_b32_e32 v5, 16, v5
	;; [unrolled: 1-line block ×3, first 2 shown]
	v_or3_b32 v5, v5, v4, v6
	v_lshlrev_b32_e32 v6, 18, v3
	v_lshlrev_b32_e32 v7, 25, v3
	v_and_b32_e32 v6, 0x100000, v6
	v_and_b32_e32 v7, 0x10000000, v7
	v_or3_b32 v4, v4, v6, v7
	v_and_b32_e32 v6, 0x1f00, v5
	v_lshlrev_b16_e32 v5, 8, v5
	v_add_u16_e32 v5, 0xf000, v5
	v_or_b32_sdwa v5, v6, v5 dst_sel:DWORD dst_unused:UNUSED_PAD src0_sel:DWORD src1_sel:BYTE_1
	v_and_b32_sdwa v6, v4, s21 dst_sel:DWORD dst_unused:UNUSED_PAD src0_sel:WORD_1 src1_sel:DWORD
	v_lshlrev_b16_sdwa v4, v140, v4 dst_sel:DWORD dst_unused:UNUSED_PAD src0_sel:DWORD src1_sel:WORD_1
	v_add_u16_e32 v4, 0xf000, v4
	v_or_b32_sdwa v4, v6, v4 dst_sel:DWORD dst_unused:UNUSED_PAD src0_sel:DWORD src1_sel:BYTE_1
	v_add_u16_e32 v5, 0xf000, v5
	v_add_u16_sdwa v4, v4, s22 dst_sel:WORD_1 dst_unused:UNUSED_PAD src0_sel:DWORD src1_sel:DWORD
	v_or_b32_e32 v8, v5, v4
	v_lshrrev_b32_e32 v4, 4, v15
	v_and_b32_e32 v9, 0xf0f0f0f, v4
	v_lshrrev_b32_e32 v4, 12, v3
	v_and_b32_e32 v10, 16, v4
	v_add_co_u32_e32 v4, vcc, s14, v46
	v_addc_co_u32_e32 v5, vcc, v45, v2, vcc
	v_add_co_u32_e32 v6, vcc, s14, v48
	v_addc_co_u32_e32 v7, vcc, v47, v2, vcc
	v_lshrrev_b32_e32 v11, 5, v3
	global_load_dword v14, v[6:7], off
	global_load_dword v15, v[4:5], off offset:6
	v_lshlrev_b32_e32 v5, 2, v3
	v_and_b32_e32 v4, 0x1000, v11
	v_and_b32_e32 v5, 0x100000, v5
	v_lshlrev_b32_e32 v3, 9, v3
	v_and_b32_e32 v3, 0x10000000, v3
	v_or3_b32 v4, v4, v10, v5
	v_or3_b32 v3, v4, v3, v9
	v_lshlrev_b16_e32 v5, 8, v3
	v_and_b32_e32 v4, 0x1f00, v3
	v_add_i16 v5, v5, s22 clamp
	v_or_b32_sdwa v4, v4, v5 dst_sel:DWORD dst_unused:UNUSED_PAD src0_sel:DWORD src1_sel:BYTE_1
	v_and_b32_sdwa v5, v3, s23 dst_sel:DWORD dst_unused:UNUSED_PAD src0_sel:WORD_1 src1_sel:DWORD
	v_add_i16 v5, v5, s22 clamp
	v_lshlrev_b16_sdwa v3, v140, v3 dst_sel:DWORD dst_unused:UNUSED_PAD src0_sel:DWORD src1_sel:WORD_1
	v_and_b32_e32 v5, 0xffffff00, v5
	v_add_i16 v3, v3, s22 clamp
	v_add_u16_e32 v4, 0xf000, v4
	v_or_b32_sdwa v3, v3, v5 dst_sel:WORD_1 dst_unused:UNUSED_PAD src0_sel:BYTE_1 src1_sel:DWORD
	v_or_b32_e32 v3, v4, v3
	ds_write2_b32 v109, v8, v3 offset1:1
	s_waitcnt vmcnt(3)
	v_ashrrev_i32_e32 v3, v105, v12
	v_lshlrev_b32_e32 v5, 4, v3
	v_lshlrev_b32_e32 v6, 11, v3
	s_waitcnt vmcnt(2)
	v_and_b32_e32 v4, 0xf0f0f0f, v13
	v_and_b32_e32 v5, 16, v5
	;; [unrolled: 1-line block ×3, first 2 shown]
	v_or3_b32 v5, v5, v4, v6
	v_lshlrev_b32_e32 v6, 18, v3
	v_lshlrev_b32_e32 v7, 25, v3
	v_and_b32_e32 v6, 0x100000, v6
	v_and_b32_e32 v7, 0x10000000, v7
	v_or3_b32 v4, v4, v6, v7
	v_and_b32_e32 v6, 0x1f00, v5
	v_lshlrev_b16_e32 v5, 8, v5
	v_add_u16_e32 v5, 0xf000, v5
	v_or_b32_sdwa v5, v6, v5 dst_sel:DWORD dst_unused:UNUSED_PAD src0_sel:DWORD src1_sel:BYTE_1
	v_and_b32_sdwa v6, v4, s21 dst_sel:DWORD dst_unused:UNUSED_PAD src0_sel:WORD_1 src1_sel:DWORD
	v_lshlrev_b16_sdwa v4, v140, v4 dst_sel:DWORD dst_unused:UNUSED_PAD src0_sel:DWORD src1_sel:WORD_1
	v_add_u16_e32 v4, 0xf000, v4
	v_or_b32_sdwa v4, v6, v4 dst_sel:DWORD dst_unused:UNUSED_PAD src0_sel:DWORD src1_sel:BYTE_1
	v_add_u16_e32 v5, 0xf000, v5
	v_add_u16_sdwa v4, v4, s22 dst_sel:WORD_1 dst_unused:UNUSED_PAD src0_sel:DWORD src1_sel:DWORD
	v_or_b32_e32 v8, v5, v4
	v_lshrrev_b32_e32 v4, 4, v13
	v_and_b32_e32 v9, 0xf0f0f0f, v4
	v_lshrrev_b32_e32 v4, 12, v3
	v_and_b32_e32 v10, 16, v4
	v_add_co_u32_e32 v4, vcc, s14, v50
	v_addc_co_u32_e32 v5, vcc, v49, v2, vcc
	v_add_co_u32_e32 v6, vcc, s14, v52
	v_addc_co_u32_e32 v7, vcc, v51, v2, vcc
	global_load_dword v12, v[6:7], off
	global_load_dword v13, v[4:5], off offset:6
	v_lshrrev_b32_e32 v11, 5, v3
	v_lshlrev_b32_e32 v5, 2, v3
	v_and_b32_e32 v4, 0x1000, v11
	v_and_b32_e32 v5, 0x100000, v5
	v_lshlrev_b32_e32 v3, 9, v3
	v_and_b32_e32 v3, 0x10000000, v3
	v_or3_b32 v4, v4, v10, v5
	v_or3_b32 v3, v4, v3, v9
	v_lshlrev_b16_e32 v5, 8, v3
	v_and_b32_e32 v4, 0x1f00, v3
	v_add_i16 v5, v5, s22 clamp
	v_or_b32_sdwa v4, v4, v5 dst_sel:DWORD dst_unused:UNUSED_PAD src0_sel:DWORD src1_sel:BYTE_1
	v_and_b32_sdwa v5, v3, s23 dst_sel:DWORD dst_unused:UNUSED_PAD src0_sel:WORD_1 src1_sel:DWORD
	v_add_i16 v5, v5, s22 clamp
	v_lshlrev_b16_sdwa v3, v140, v3 dst_sel:DWORD dst_unused:UNUSED_PAD src0_sel:DWORD src1_sel:WORD_1
	v_and_b32_e32 v5, 0xffffff00, v5
	v_add_i16 v3, v3, s22 clamp
	v_add_u16_e32 v4, 0xf000, v4
	v_or_b32_sdwa v3, v3, v5 dst_sel:WORD_1 dst_unused:UNUSED_PAD src0_sel:BYTE_1 src1_sel:DWORD
	v_or_b32_e32 v3, v4, v3
	ds_write2_b32 v110, v8, v3 offset1:1
	s_waitcnt vmcnt(3)
	v_ashrrev_i32_e32 v3, v105, v14
	v_lshlrev_b32_e32 v5, 4, v3
	v_lshlrev_b32_e32 v6, 11, v3
	s_waitcnt vmcnt(2)
	v_and_b32_e32 v4, 0xf0f0f0f, v15
	v_and_b32_e32 v5, 16, v5
	v_and_b32_e32 v6, 0x1000, v6
	v_or3_b32 v5, v5, v4, v6
	v_lshlrev_b32_e32 v6, 18, v3
	v_lshlrev_b32_e32 v7, 25, v3
	v_and_b32_e32 v6, 0x100000, v6
	v_and_b32_e32 v7, 0x10000000, v7
	v_or3_b32 v4, v4, v6, v7
	v_and_b32_e32 v6, 0x1f00, v5
	v_lshlrev_b16_e32 v5, 8, v5
	v_add_u16_e32 v5, 0xf000, v5
	v_or_b32_sdwa v5, v6, v5 dst_sel:DWORD dst_unused:UNUSED_PAD src0_sel:DWORD src1_sel:BYTE_1
	v_and_b32_sdwa v6, v4, s21 dst_sel:DWORD dst_unused:UNUSED_PAD src0_sel:WORD_1 src1_sel:DWORD
	v_lshlrev_b16_sdwa v4, v140, v4 dst_sel:DWORD dst_unused:UNUSED_PAD src0_sel:DWORD src1_sel:WORD_1
	v_add_u16_e32 v4, 0xf000, v4
	v_or_b32_sdwa v4, v6, v4 dst_sel:DWORD dst_unused:UNUSED_PAD src0_sel:DWORD src1_sel:BYTE_1
	v_add_u16_e32 v5, 0xf000, v5
	v_add_u16_sdwa v4, v4, s22 dst_sel:WORD_1 dst_unused:UNUSED_PAD src0_sel:DWORD src1_sel:DWORD
	v_or_b32_e32 v8, v5, v4
	v_lshrrev_b32_e32 v4, 4, v15
	v_and_b32_e32 v9, 0xf0f0f0f, v4
	v_lshrrev_b32_e32 v4, 12, v3
	v_and_b32_e32 v10, 16, v4
	v_add_co_u32_e32 v4, vcc, s14, v54
	v_addc_co_u32_e32 v5, vcc, v53, v2, vcc
	v_add_co_u32_e32 v6, vcc, s14, v56
	v_addc_co_u32_e32 v7, vcc, v55, v2, vcc
	v_lshrrev_b32_e32 v11, 5, v3
	global_load_dword v14, v[6:7], off
	global_load_dword v15, v[4:5], off offset:6
	v_lshlrev_b32_e32 v5, 2, v3
	v_and_b32_e32 v4, 0x1000, v11
	v_and_b32_e32 v5, 0x100000, v5
	v_lshlrev_b32_e32 v3, 9, v3
	v_and_b32_e32 v3, 0x10000000, v3
	v_or3_b32 v4, v4, v10, v5
	v_or3_b32 v3, v4, v3, v9
	v_lshlrev_b16_e32 v5, 8, v3
	v_and_b32_e32 v4, 0x1f00, v3
	v_add_i16 v5, v5, s22 clamp
	v_or_b32_sdwa v4, v4, v5 dst_sel:DWORD dst_unused:UNUSED_PAD src0_sel:DWORD src1_sel:BYTE_1
	v_and_b32_sdwa v5, v3, s23 dst_sel:DWORD dst_unused:UNUSED_PAD src0_sel:WORD_1 src1_sel:DWORD
	v_add_i16 v5, v5, s22 clamp
	v_lshlrev_b16_sdwa v3, v140, v3 dst_sel:DWORD dst_unused:UNUSED_PAD src0_sel:DWORD src1_sel:WORD_1
	v_and_b32_e32 v5, 0xffffff00, v5
	v_add_i16 v3, v3, s22 clamp
	v_add_u16_e32 v4, 0xf000, v4
	v_or_b32_sdwa v3, v3, v5 dst_sel:WORD_1 dst_unused:UNUSED_PAD src0_sel:BYTE_1 src1_sel:DWORD
	v_or_b32_e32 v3, v4, v3
	ds_write2_b32 v111, v8, v3 offset1:1
	s_waitcnt vmcnt(3)
	v_ashrrev_i32_e32 v3, v105, v12
	v_lshlrev_b32_e32 v5, 4, v3
	v_lshlrev_b32_e32 v6, 11, v3
	s_waitcnt vmcnt(2)
	v_and_b32_e32 v4, 0xf0f0f0f, v13
	v_and_b32_e32 v5, 16, v5
	;; [unrolled: 1-line block ×3, first 2 shown]
	v_or3_b32 v5, v5, v4, v6
	v_lshlrev_b32_e32 v6, 18, v3
	v_lshlrev_b32_e32 v7, 25, v3
	v_and_b32_e32 v6, 0x100000, v6
	v_and_b32_e32 v7, 0x10000000, v7
	v_or3_b32 v4, v4, v6, v7
	v_and_b32_e32 v6, 0x1f00, v5
	v_lshlrev_b16_e32 v5, 8, v5
	v_add_u16_e32 v5, 0xf000, v5
	v_or_b32_sdwa v5, v6, v5 dst_sel:DWORD dst_unused:UNUSED_PAD src0_sel:DWORD src1_sel:BYTE_1
	v_and_b32_sdwa v6, v4, s21 dst_sel:DWORD dst_unused:UNUSED_PAD src0_sel:WORD_1 src1_sel:DWORD
	v_lshlrev_b16_sdwa v4, v140, v4 dst_sel:DWORD dst_unused:UNUSED_PAD src0_sel:DWORD src1_sel:WORD_1
	v_add_u16_e32 v4, 0xf000, v4
	v_or_b32_sdwa v4, v6, v4 dst_sel:DWORD dst_unused:UNUSED_PAD src0_sel:DWORD src1_sel:BYTE_1
	v_add_u16_e32 v5, 0xf000, v5
	v_add_u16_sdwa v4, v4, s22 dst_sel:WORD_1 dst_unused:UNUSED_PAD src0_sel:DWORD src1_sel:DWORD
	v_or_b32_e32 v8, v5, v4
	v_lshrrev_b32_e32 v4, 4, v13
	v_and_b32_e32 v9, 0xf0f0f0f, v4
	v_lshrrev_b32_e32 v4, 12, v3
	v_and_b32_e32 v10, 16, v4
	v_add_co_u32_e32 v4, vcc, s14, v58
	v_addc_co_u32_e32 v5, vcc, v57, v2, vcc
	v_add_co_u32_e32 v6, vcc, s14, v60
	v_addc_co_u32_e32 v7, vcc, v59, v2, vcc
	global_load_dword v12, v[6:7], off
	global_load_dword v13, v[4:5], off offset:6
	v_lshrrev_b32_e32 v11, 5, v3
	v_lshlrev_b32_e32 v5, 2, v3
	v_and_b32_e32 v4, 0x1000, v11
	v_and_b32_e32 v5, 0x100000, v5
	v_lshlrev_b32_e32 v3, 9, v3
	v_and_b32_e32 v3, 0x10000000, v3
	v_or3_b32 v4, v4, v10, v5
	v_or3_b32 v3, v4, v3, v9
	v_lshlrev_b16_e32 v5, 8, v3
	v_and_b32_e32 v4, 0x1f00, v3
	v_add_i16 v5, v5, s22 clamp
	v_or_b32_sdwa v4, v4, v5 dst_sel:DWORD dst_unused:UNUSED_PAD src0_sel:DWORD src1_sel:BYTE_1
	v_and_b32_sdwa v5, v3, s23 dst_sel:DWORD dst_unused:UNUSED_PAD src0_sel:WORD_1 src1_sel:DWORD
	v_add_i16 v5, v5, s22 clamp
	v_lshlrev_b16_sdwa v3, v140, v3 dst_sel:DWORD dst_unused:UNUSED_PAD src0_sel:DWORD src1_sel:WORD_1
	v_and_b32_e32 v5, 0xffffff00, v5
	v_add_i16 v3, v3, s22 clamp
	v_add_u16_e32 v4, 0xf000, v4
	v_or_b32_sdwa v3, v3, v5 dst_sel:WORD_1 dst_unused:UNUSED_PAD src0_sel:BYTE_1 src1_sel:DWORD
	v_or_b32_e32 v3, v4, v3
	ds_write2_b32 v112, v8, v3 offset1:1
	s_waitcnt vmcnt(3)
	v_ashrrev_i32_e32 v3, v105, v14
	v_lshlrev_b32_e32 v5, 4, v3
	v_lshlrev_b32_e32 v6, 11, v3
	s_waitcnt vmcnt(2)
	v_and_b32_e32 v4, 0xf0f0f0f, v15
	v_and_b32_e32 v5, 16, v5
	;; [unrolled: 1-line block ×3, first 2 shown]
	v_or3_b32 v5, v5, v4, v6
	v_lshlrev_b32_e32 v6, 18, v3
	v_lshlrev_b32_e32 v7, 25, v3
	v_and_b32_e32 v6, 0x100000, v6
	v_and_b32_e32 v7, 0x10000000, v7
	v_or3_b32 v4, v4, v6, v7
	v_and_b32_e32 v6, 0x1f00, v5
	v_lshlrev_b16_e32 v5, 8, v5
	v_add_u16_e32 v5, 0xf000, v5
	v_or_b32_sdwa v5, v6, v5 dst_sel:DWORD dst_unused:UNUSED_PAD src0_sel:DWORD src1_sel:BYTE_1
	v_and_b32_sdwa v6, v4, s21 dst_sel:DWORD dst_unused:UNUSED_PAD src0_sel:WORD_1 src1_sel:DWORD
	v_lshlrev_b16_sdwa v4, v140, v4 dst_sel:DWORD dst_unused:UNUSED_PAD src0_sel:DWORD src1_sel:WORD_1
	v_add_u16_e32 v4, 0xf000, v4
	v_or_b32_sdwa v4, v6, v4 dst_sel:DWORD dst_unused:UNUSED_PAD src0_sel:DWORD src1_sel:BYTE_1
	v_add_u16_e32 v5, 0xf000, v5
	v_add_u16_sdwa v4, v4, s22 dst_sel:WORD_1 dst_unused:UNUSED_PAD src0_sel:DWORD src1_sel:DWORD
	v_or_b32_e32 v8, v5, v4
	v_lshrrev_b32_e32 v4, 4, v15
	v_and_b32_e32 v9, 0xf0f0f0f, v4
	v_lshrrev_b32_e32 v4, 12, v3
	v_and_b32_e32 v10, 16, v4
	v_add_co_u32_e32 v4, vcc, s14, v62
	v_addc_co_u32_e32 v5, vcc, v61, v2, vcc
	v_add_co_u32_e32 v6, vcc, s14, v64
	v_addc_co_u32_e32 v7, vcc, v63, v2, vcc
	v_lshrrev_b32_e32 v11, 5, v3
	global_load_dword v14, v[6:7], off
	global_load_dword v15, v[4:5], off offset:6
	v_lshlrev_b32_e32 v5, 2, v3
	v_and_b32_e32 v4, 0x1000, v11
	v_and_b32_e32 v5, 0x100000, v5
	v_lshlrev_b32_e32 v3, 9, v3
	v_and_b32_e32 v3, 0x10000000, v3
	v_or3_b32 v4, v4, v10, v5
	v_or3_b32 v3, v4, v3, v9
	v_lshlrev_b16_e32 v5, 8, v3
	v_and_b32_e32 v4, 0x1f00, v3
	v_add_i16 v5, v5, s22 clamp
	v_or_b32_sdwa v4, v4, v5 dst_sel:DWORD dst_unused:UNUSED_PAD src0_sel:DWORD src1_sel:BYTE_1
	v_and_b32_sdwa v5, v3, s23 dst_sel:DWORD dst_unused:UNUSED_PAD src0_sel:WORD_1 src1_sel:DWORD
	v_add_i16 v5, v5, s22 clamp
	v_lshlrev_b16_sdwa v3, v140, v3 dst_sel:DWORD dst_unused:UNUSED_PAD src0_sel:DWORD src1_sel:WORD_1
	v_and_b32_e32 v5, 0xffffff00, v5
	v_add_i16 v3, v3, s22 clamp
	v_add_u16_e32 v4, 0xf000, v4
	v_or_b32_sdwa v3, v3, v5 dst_sel:WORD_1 dst_unused:UNUSED_PAD src0_sel:BYTE_1 src1_sel:DWORD
	v_or_b32_e32 v3, v4, v3
	ds_write2_b32 v113, v8, v3 offset1:1
	s_waitcnt vmcnt(3)
	v_ashrrev_i32_e32 v3, v105, v12
	v_lshlrev_b32_e32 v5, 4, v3
	v_lshlrev_b32_e32 v6, 11, v3
	s_waitcnt vmcnt(2)
	v_and_b32_e32 v4, 0xf0f0f0f, v13
	v_and_b32_e32 v5, 16, v5
	v_and_b32_e32 v6, 0x1000, v6
	v_or3_b32 v5, v5, v4, v6
	v_lshlrev_b32_e32 v6, 18, v3
	v_lshlrev_b32_e32 v7, 25, v3
	v_and_b32_e32 v6, 0x100000, v6
	v_and_b32_e32 v7, 0x10000000, v7
	v_or3_b32 v4, v4, v6, v7
	v_and_b32_e32 v6, 0x1f00, v5
	v_lshlrev_b16_e32 v5, 8, v5
	v_add_u16_e32 v5, 0xf000, v5
	v_or_b32_sdwa v5, v6, v5 dst_sel:DWORD dst_unused:UNUSED_PAD src0_sel:DWORD src1_sel:BYTE_1
	v_and_b32_sdwa v6, v4, s21 dst_sel:DWORD dst_unused:UNUSED_PAD src0_sel:WORD_1 src1_sel:DWORD
	v_lshlrev_b16_sdwa v4, v140, v4 dst_sel:DWORD dst_unused:UNUSED_PAD src0_sel:DWORD src1_sel:WORD_1
	v_add_u16_e32 v4, 0xf000, v4
	v_or_b32_sdwa v4, v6, v4 dst_sel:DWORD dst_unused:UNUSED_PAD src0_sel:DWORD src1_sel:BYTE_1
	v_add_u16_e32 v5, 0xf000, v5
	v_add_u16_sdwa v4, v4, s22 dst_sel:WORD_1 dst_unused:UNUSED_PAD src0_sel:DWORD src1_sel:DWORD
	v_or_b32_e32 v8, v5, v4
	v_lshrrev_b32_e32 v4, 4, v13
	v_and_b32_e32 v9, 0xf0f0f0f, v4
	v_lshrrev_b32_e32 v4, 12, v3
	v_and_b32_e32 v10, 16, v4
	v_add_co_u32_e32 v4, vcc, s14, v66
	v_addc_co_u32_e32 v5, vcc, v65, v2, vcc
	v_add_co_u32_e32 v6, vcc, s14, v68
	v_addc_co_u32_e32 v7, vcc, v67, v2, vcc
	global_load_dword v12, v[6:7], off
	global_load_dword v13, v[4:5], off offset:6
	v_lshrrev_b32_e32 v11, 5, v3
	v_lshlrev_b32_e32 v5, 2, v3
	v_and_b32_e32 v4, 0x1000, v11
	v_and_b32_e32 v5, 0x100000, v5
	v_lshlrev_b32_e32 v3, 9, v3
	v_and_b32_e32 v3, 0x10000000, v3
	v_or3_b32 v4, v4, v10, v5
	v_or3_b32 v3, v4, v3, v9
	v_lshlrev_b16_e32 v5, 8, v3
	v_and_b32_e32 v4, 0x1f00, v3
	v_add_i16 v5, v5, s22 clamp
	v_or_b32_sdwa v4, v4, v5 dst_sel:DWORD dst_unused:UNUSED_PAD src0_sel:DWORD src1_sel:BYTE_1
	v_and_b32_sdwa v5, v3, s23 dst_sel:DWORD dst_unused:UNUSED_PAD src0_sel:WORD_1 src1_sel:DWORD
	v_add_i16 v5, v5, s22 clamp
	v_lshlrev_b16_sdwa v3, v140, v3 dst_sel:DWORD dst_unused:UNUSED_PAD src0_sel:DWORD src1_sel:WORD_1
	v_and_b32_e32 v5, 0xffffff00, v5
	v_add_i16 v3, v3, s22 clamp
	v_add_u16_e32 v4, 0xf000, v4
	v_or_b32_sdwa v3, v3, v5 dst_sel:WORD_1 dst_unused:UNUSED_PAD src0_sel:BYTE_1 src1_sel:DWORD
	v_or_b32_e32 v3, v4, v3
	ds_write2_b32 v114, v8, v3 offset1:1
	s_waitcnt vmcnt(3)
	v_ashrrev_i32_e32 v3, v105, v14
	v_lshlrev_b32_e32 v5, 4, v3
	v_lshlrev_b32_e32 v6, 11, v3
	s_waitcnt vmcnt(2)
	v_and_b32_e32 v4, 0xf0f0f0f, v15
	v_and_b32_e32 v5, 16, v5
	;; [unrolled: 1-line block ×3, first 2 shown]
	v_or3_b32 v5, v5, v4, v6
	v_lshlrev_b32_e32 v6, 18, v3
	v_lshlrev_b32_e32 v7, 25, v3
	v_and_b32_e32 v6, 0x100000, v6
	v_and_b32_e32 v7, 0x10000000, v7
	v_or3_b32 v4, v4, v6, v7
	v_and_b32_e32 v6, 0x1f00, v5
	v_lshlrev_b16_e32 v5, 8, v5
	v_add_u16_e32 v5, 0xf000, v5
	v_or_b32_sdwa v5, v6, v5 dst_sel:DWORD dst_unused:UNUSED_PAD src0_sel:DWORD src1_sel:BYTE_1
	v_and_b32_sdwa v6, v4, s21 dst_sel:DWORD dst_unused:UNUSED_PAD src0_sel:WORD_1 src1_sel:DWORD
	v_lshlrev_b16_sdwa v4, v140, v4 dst_sel:DWORD dst_unused:UNUSED_PAD src0_sel:DWORD src1_sel:WORD_1
	v_add_u16_e32 v4, 0xf000, v4
	v_or_b32_sdwa v4, v6, v4 dst_sel:DWORD dst_unused:UNUSED_PAD src0_sel:DWORD src1_sel:BYTE_1
	v_add_u16_e32 v5, 0xf000, v5
	v_add_u16_sdwa v4, v4, s22 dst_sel:WORD_1 dst_unused:UNUSED_PAD src0_sel:DWORD src1_sel:DWORD
	v_or_b32_e32 v8, v5, v4
	v_lshrrev_b32_e32 v4, 4, v15
	v_and_b32_e32 v9, 0xf0f0f0f, v4
	v_lshrrev_b32_e32 v4, 12, v3
	v_and_b32_e32 v10, 16, v4
	v_add_co_u32_e32 v4, vcc, s14, v70
	v_addc_co_u32_e32 v5, vcc, v69, v2, vcc
	v_add_co_u32_e32 v6, vcc, s14, v72
	v_addc_co_u32_e32 v7, vcc, v71, v2, vcc
	v_lshrrev_b32_e32 v11, 5, v3
	global_load_dword v14, v[6:7], off
	global_load_dword v15, v[4:5], off offset:6
	v_lshlrev_b32_e32 v5, 2, v3
	v_and_b32_e32 v4, 0x1000, v11
	v_and_b32_e32 v5, 0x100000, v5
	v_lshlrev_b32_e32 v3, 9, v3
	v_and_b32_e32 v3, 0x10000000, v3
	v_or3_b32 v4, v4, v10, v5
	v_or3_b32 v3, v4, v3, v9
	v_lshlrev_b16_e32 v5, 8, v3
	v_and_b32_e32 v4, 0x1f00, v3
	v_add_i16 v5, v5, s22 clamp
	v_or_b32_sdwa v4, v4, v5 dst_sel:DWORD dst_unused:UNUSED_PAD src0_sel:DWORD src1_sel:BYTE_1
	v_and_b32_sdwa v5, v3, s23 dst_sel:DWORD dst_unused:UNUSED_PAD src0_sel:WORD_1 src1_sel:DWORD
	v_add_i16 v5, v5, s22 clamp
	v_lshlrev_b16_sdwa v3, v140, v3 dst_sel:DWORD dst_unused:UNUSED_PAD src0_sel:DWORD src1_sel:WORD_1
	v_and_b32_e32 v5, 0xffffff00, v5
	v_add_i16 v3, v3, s22 clamp
	v_add_u16_e32 v4, 0xf000, v4
	v_or_b32_sdwa v3, v3, v5 dst_sel:WORD_1 dst_unused:UNUSED_PAD src0_sel:BYTE_1 src1_sel:DWORD
	v_or_b32_e32 v3, v4, v3
	ds_write2_b32 v115, v8, v3 offset1:1
	s_waitcnt vmcnt(3)
	v_ashrrev_i32_e32 v3, v105, v12
	v_lshlrev_b32_e32 v5, 4, v3
	v_lshlrev_b32_e32 v6, 11, v3
	s_waitcnt vmcnt(2)
	v_and_b32_e32 v4, 0xf0f0f0f, v13
	v_and_b32_e32 v5, 16, v5
	;; [unrolled: 1-line block ×3, first 2 shown]
	v_or3_b32 v5, v5, v4, v6
	v_lshlrev_b32_e32 v6, 18, v3
	v_lshlrev_b32_e32 v7, 25, v3
	v_and_b32_e32 v6, 0x100000, v6
	v_and_b32_e32 v7, 0x10000000, v7
	v_or3_b32 v4, v4, v6, v7
	v_and_b32_e32 v6, 0x1f00, v5
	v_lshlrev_b16_e32 v5, 8, v5
	v_add_u16_e32 v5, 0xf000, v5
	v_or_b32_sdwa v5, v6, v5 dst_sel:DWORD dst_unused:UNUSED_PAD src0_sel:DWORD src1_sel:BYTE_1
	v_and_b32_sdwa v6, v4, s21 dst_sel:DWORD dst_unused:UNUSED_PAD src0_sel:WORD_1 src1_sel:DWORD
	v_lshlrev_b16_sdwa v4, v140, v4 dst_sel:DWORD dst_unused:UNUSED_PAD src0_sel:DWORD src1_sel:WORD_1
	v_add_u16_e32 v4, 0xf000, v4
	v_or_b32_sdwa v4, v6, v4 dst_sel:DWORD dst_unused:UNUSED_PAD src0_sel:DWORD src1_sel:BYTE_1
	v_add_u16_e32 v5, 0xf000, v5
	v_add_u16_sdwa v4, v4, s22 dst_sel:WORD_1 dst_unused:UNUSED_PAD src0_sel:DWORD src1_sel:DWORD
	v_or_b32_e32 v8, v5, v4
	v_lshrrev_b32_e32 v4, 4, v13
	v_and_b32_e32 v9, 0xf0f0f0f, v4
	v_lshrrev_b32_e32 v4, 12, v3
	v_and_b32_e32 v10, 16, v4
	v_add_co_u32_e32 v4, vcc, s14, v74
	v_addc_co_u32_e32 v5, vcc, v73, v2, vcc
	v_add_co_u32_e32 v6, vcc, s14, v76
	v_addc_co_u32_e32 v7, vcc, v75, v2, vcc
	global_load_dword v12, v[6:7], off
	global_load_dword v13, v[4:5], off offset:6
	v_lshrrev_b32_e32 v11, 5, v3
	v_lshlrev_b32_e32 v5, 2, v3
	v_and_b32_e32 v4, 0x1000, v11
	v_and_b32_e32 v5, 0x100000, v5
	v_lshlrev_b32_e32 v3, 9, v3
	v_and_b32_e32 v3, 0x10000000, v3
	v_or3_b32 v4, v4, v10, v5
	v_or3_b32 v3, v4, v3, v9
	v_lshlrev_b16_e32 v5, 8, v3
	v_and_b32_e32 v4, 0x1f00, v3
	v_add_i16 v5, v5, s22 clamp
	v_or_b32_sdwa v4, v4, v5 dst_sel:DWORD dst_unused:UNUSED_PAD src0_sel:DWORD src1_sel:BYTE_1
	v_and_b32_sdwa v5, v3, s23 dst_sel:DWORD dst_unused:UNUSED_PAD src0_sel:WORD_1 src1_sel:DWORD
	v_add_i16 v5, v5, s22 clamp
	v_lshlrev_b16_sdwa v3, v140, v3 dst_sel:DWORD dst_unused:UNUSED_PAD src0_sel:DWORD src1_sel:WORD_1
	v_and_b32_e32 v5, 0xffffff00, v5
	v_add_i16 v3, v3, s22 clamp
	v_add_u16_e32 v4, 0xf000, v4
	v_or_b32_sdwa v3, v3, v5 dst_sel:WORD_1 dst_unused:UNUSED_PAD src0_sel:BYTE_1 src1_sel:DWORD
	v_or_b32_e32 v3, v4, v3
	ds_write2_b32 v116, v8, v3 offset1:1
	s_waitcnt vmcnt(3)
	v_ashrrev_i32_e32 v3, v105, v14
	v_lshlrev_b32_e32 v5, 4, v3
	v_lshlrev_b32_e32 v6, 11, v3
	s_waitcnt vmcnt(2)
	v_and_b32_e32 v4, 0xf0f0f0f, v15
	v_and_b32_e32 v5, 16, v5
	;; [unrolled: 1-line block ×3, first 2 shown]
	v_or3_b32 v5, v5, v4, v6
	v_lshlrev_b32_e32 v6, 18, v3
	v_lshlrev_b32_e32 v7, 25, v3
	v_and_b32_e32 v6, 0x100000, v6
	v_and_b32_e32 v7, 0x10000000, v7
	v_or3_b32 v4, v4, v6, v7
	v_and_b32_e32 v6, 0x1f00, v5
	v_lshlrev_b16_e32 v5, 8, v5
	v_add_u16_e32 v5, 0xf000, v5
	v_or_b32_sdwa v5, v6, v5 dst_sel:DWORD dst_unused:UNUSED_PAD src0_sel:DWORD src1_sel:BYTE_1
	v_and_b32_sdwa v6, v4, s21 dst_sel:DWORD dst_unused:UNUSED_PAD src0_sel:WORD_1 src1_sel:DWORD
	v_lshlrev_b16_sdwa v4, v140, v4 dst_sel:DWORD dst_unused:UNUSED_PAD src0_sel:DWORD src1_sel:WORD_1
	v_add_u16_e32 v4, 0xf000, v4
	v_or_b32_sdwa v4, v6, v4 dst_sel:DWORD dst_unused:UNUSED_PAD src0_sel:DWORD src1_sel:BYTE_1
	v_add_u16_e32 v5, 0xf000, v5
	v_add_u16_sdwa v4, v4, s22 dst_sel:WORD_1 dst_unused:UNUSED_PAD src0_sel:DWORD src1_sel:DWORD
	v_or_b32_e32 v8, v5, v4
	v_lshrrev_b32_e32 v4, 4, v15
	v_and_b32_e32 v9, 0xf0f0f0f, v4
	v_lshrrev_b32_e32 v4, 12, v3
	v_and_b32_e32 v10, 16, v4
	v_add_co_u32_e32 v4, vcc, s14, v78
	v_addc_co_u32_e32 v5, vcc, v77, v2, vcc
	v_add_co_u32_e32 v6, vcc, s14, v80
	v_addc_co_u32_e32 v7, vcc, v79, v2, vcc
	v_lshrrev_b32_e32 v11, 5, v3
	global_load_dword v14, v[6:7], off
	global_load_dword v15, v[4:5], off offset:6
	v_lshlrev_b32_e32 v5, 2, v3
	v_and_b32_e32 v4, 0x1000, v11
	v_and_b32_e32 v5, 0x100000, v5
	v_lshlrev_b32_e32 v3, 9, v3
	v_and_b32_e32 v3, 0x10000000, v3
	v_or3_b32 v4, v4, v10, v5
	v_or3_b32 v3, v4, v3, v9
	v_lshlrev_b16_e32 v5, 8, v3
	v_and_b32_e32 v4, 0x1f00, v3
	v_add_i16 v5, v5, s22 clamp
	v_or_b32_sdwa v4, v4, v5 dst_sel:DWORD dst_unused:UNUSED_PAD src0_sel:DWORD src1_sel:BYTE_1
	v_and_b32_sdwa v5, v3, s23 dst_sel:DWORD dst_unused:UNUSED_PAD src0_sel:WORD_1 src1_sel:DWORD
	v_add_i16 v5, v5, s22 clamp
	v_lshlrev_b16_sdwa v3, v140, v3 dst_sel:DWORD dst_unused:UNUSED_PAD src0_sel:DWORD src1_sel:WORD_1
	v_and_b32_e32 v5, 0xffffff00, v5
	v_add_i16 v3, v3, s22 clamp
	v_add_u16_e32 v4, 0xf000, v4
	v_or_b32_sdwa v3, v3, v5 dst_sel:WORD_1 dst_unused:UNUSED_PAD src0_sel:BYTE_1 src1_sel:DWORD
	v_or_b32_e32 v3, v4, v3
	ds_write2_b32 v117, v8, v3 offset1:1
	s_waitcnt vmcnt(3)
	v_ashrrev_i32_e32 v3, v105, v12
	v_lshlrev_b32_e32 v5, 4, v3
	v_lshlrev_b32_e32 v6, 11, v3
	s_waitcnt vmcnt(2)
	v_and_b32_e32 v4, 0xf0f0f0f, v13
	v_and_b32_e32 v5, 16, v5
	;; [unrolled: 1-line block ×3, first 2 shown]
	v_or3_b32 v5, v5, v4, v6
	v_lshlrev_b32_e32 v6, 18, v3
	v_lshlrev_b32_e32 v7, 25, v3
	v_and_b32_e32 v6, 0x100000, v6
	v_and_b32_e32 v7, 0x10000000, v7
	v_or3_b32 v4, v4, v6, v7
	v_and_b32_e32 v6, 0x1f00, v5
	v_lshlrev_b16_e32 v5, 8, v5
	v_add_u16_e32 v5, 0xf000, v5
	v_or_b32_sdwa v5, v6, v5 dst_sel:DWORD dst_unused:UNUSED_PAD src0_sel:DWORD src1_sel:BYTE_1
	v_and_b32_sdwa v6, v4, s21 dst_sel:DWORD dst_unused:UNUSED_PAD src0_sel:WORD_1 src1_sel:DWORD
	v_lshlrev_b16_sdwa v4, v140, v4 dst_sel:DWORD dst_unused:UNUSED_PAD src0_sel:DWORD src1_sel:WORD_1
	v_add_u16_e32 v4, 0xf000, v4
	v_or_b32_sdwa v4, v6, v4 dst_sel:DWORD dst_unused:UNUSED_PAD src0_sel:DWORD src1_sel:BYTE_1
	v_add_u16_e32 v5, 0xf000, v5
	v_add_u16_sdwa v4, v4, s22 dst_sel:WORD_1 dst_unused:UNUSED_PAD src0_sel:DWORD src1_sel:DWORD
	v_or_b32_e32 v8, v5, v4
	v_lshrrev_b32_e32 v4, 4, v13
	v_and_b32_e32 v9, 0xf0f0f0f, v4
	v_lshrrev_b32_e32 v4, 12, v3
	v_and_b32_e32 v10, 16, v4
	v_add_co_u32_e32 v4, vcc, s14, v82
	v_addc_co_u32_e32 v5, vcc, v81, v2, vcc
	v_add_co_u32_e32 v6, vcc, s14, v84
	v_addc_co_u32_e32 v7, vcc, v83, v2, vcc
	global_load_dword v12, v[6:7], off
	global_load_dword v13, v[4:5], off offset:6
	v_lshrrev_b32_e32 v11, 5, v3
	v_lshlrev_b32_e32 v5, 2, v3
	v_and_b32_e32 v4, 0x1000, v11
	v_and_b32_e32 v5, 0x100000, v5
	v_lshlrev_b32_e32 v3, 9, v3
	v_and_b32_e32 v3, 0x10000000, v3
	v_or3_b32 v4, v4, v10, v5
	v_or3_b32 v3, v4, v3, v9
	v_lshlrev_b16_e32 v5, 8, v3
	v_and_b32_e32 v4, 0x1f00, v3
	v_add_i16 v5, v5, s22 clamp
	v_or_b32_sdwa v4, v4, v5 dst_sel:DWORD dst_unused:UNUSED_PAD src0_sel:DWORD src1_sel:BYTE_1
	v_and_b32_sdwa v5, v3, s23 dst_sel:DWORD dst_unused:UNUSED_PAD src0_sel:WORD_1 src1_sel:DWORD
	v_add_i16 v5, v5, s22 clamp
	v_lshlrev_b16_sdwa v3, v140, v3 dst_sel:DWORD dst_unused:UNUSED_PAD src0_sel:DWORD src1_sel:WORD_1
	v_and_b32_e32 v5, 0xffffff00, v5
	v_add_i16 v3, v3, s22 clamp
	v_add_u16_e32 v4, 0xf000, v4
	v_or_b32_sdwa v3, v3, v5 dst_sel:WORD_1 dst_unused:UNUSED_PAD src0_sel:BYTE_1 src1_sel:DWORD
	v_or_b32_e32 v3, v4, v3
	ds_write2_b32 v118, v8, v3 offset1:1
	s_waitcnt vmcnt(3)
	v_ashrrev_i32_e32 v3, v105, v14
	v_lshlrev_b32_e32 v5, 4, v3
	v_lshlrev_b32_e32 v6, 11, v3
	s_waitcnt vmcnt(2)
	v_and_b32_e32 v4, 0xf0f0f0f, v15
	v_and_b32_e32 v5, 16, v5
	;; [unrolled: 1-line block ×3, first 2 shown]
	v_or3_b32 v5, v5, v4, v6
	v_lshlrev_b32_e32 v6, 18, v3
	v_lshlrev_b32_e32 v7, 25, v3
	v_and_b32_e32 v6, 0x100000, v6
	v_and_b32_e32 v7, 0x10000000, v7
	v_or3_b32 v4, v4, v6, v7
	v_and_b32_e32 v6, 0x1f00, v5
	v_lshlrev_b16_e32 v5, 8, v5
	v_add_u16_e32 v5, 0xf000, v5
	v_or_b32_sdwa v5, v6, v5 dst_sel:DWORD dst_unused:UNUSED_PAD src0_sel:DWORD src1_sel:BYTE_1
	v_and_b32_sdwa v6, v4, s21 dst_sel:DWORD dst_unused:UNUSED_PAD src0_sel:WORD_1 src1_sel:DWORD
	v_lshlrev_b16_sdwa v4, v140, v4 dst_sel:DWORD dst_unused:UNUSED_PAD src0_sel:DWORD src1_sel:WORD_1
	v_add_u16_e32 v4, 0xf000, v4
	v_or_b32_sdwa v4, v6, v4 dst_sel:DWORD dst_unused:UNUSED_PAD src0_sel:DWORD src1_sel:BYTE_1
	v_add_u16_e32 v5, 0xf000, v5
	v_add_u16_sdwa v4, v4, s22 dst_sel:WORD_1 dst_unused:UNUSED_PAD src0_sel:DWORD src1_sel:DWORD
	v_or_b32_e32 v8, v5, v4
	v_lshrrev_b32_e32 v5, 12, v3
	v_lshrrev_b32_e32 v6, 5, v3
	v_lshlrev_b32_e32 v7, 2, v3
	v_lshrrev_b32_e32 v4, 4, v15
	v_and_b32_e32 v5, 16, v5
	v_and_b32_e32 v6, 0x1000, v6
	v_and_b32_e32 v7, 0x100000, v7
	v_lshlrev_b32_e32 v3, 9, v3
	v_and_b32_e32 v4, 0xf0f0f0f, v4
	v_and_b32_e32 v3, 0x10000000, v3
	v_or3_b32 v5, v6, v5, v7
	v_or3_b32 v3, v5, v3, v4
	v_lshlrev_b16_e32 v4, 8, v3
	v_add_i16 v10, v4, s22 clamp
	v_add_co_u32_e32 v4, vcc, s14, v86
	v_addc_co_u32_e32 v5, vcc, v85, v2, vcc
	v_add_co_u32_e32 v6, vcc, s14, v88
	v_addc_co_u32_e32 v7, vcc, v87, v2, vcc
	global_load_dword v6, v[6:7], off
	s_nop 0
	global_load_dword v7, v[4:5], off offset:6
	v_and_b32_sdwa v5, v3, s23 dst_sel:DWORD dst_unused:UNUSED_PAD src0_sel:WORD_1 src1_sel:DWORD
	v_and_b32_e32 v9, 0x1f00, v3
	v_add_i16 v5, v5, s22 clamp
	v_lshlrev_b16_sdwa v3, v140, v3 dst_sel:DWORD dst_unused:UNUSED_PAD src0_sel:DWORD src1_sel:WORD_1
	v_or_b32_sdwa v4, v9, v10 dst_sel:DWORD dst_unused:UNUSED_PAD src0_sel:DWORD src1_sel:BYTE_1
	v_and_b32_e32 v5, 0xffffff00, v5
	v_add_i16 v3, v3, s22 clamp
	v_add_u16_e32 v4, 0xf000, v4
	v_or_b32_sdwa v3, v3, v5 dst_sel:WORD_1 dst_unused:UNUSED_PAD src0_sel:BYTE_1 src1_sel:DWORD
	v_or_b32_e32 v3, v4, v3
	ds_write2_b32 v119, v8, v3 offset1:1
	s_waitcnt vmcnt(3)
	v_ashrrev_i32_e32 v3, v105, v12
	v_lshlrev_b32_e32 v5, 4, v3
	v_lshlrev_b32_e32 v8, 11, v3
	s_waitcnt vmcnt(2)
	v_and_b32_e32 v4, 0xf0f0f0f, v13
	v_and_b32_e32 v5, 16, v5
	;; [unrolled: 1-line block ×3, first 2 shown]
	v_or3_b32 v5, v5, v4, v8
	v_lshlrev_b32_e32 v8, 18, v3
	v_lshlrev_b32_e32 v9, 25, v3
	v_and_b32_e32 v8, 0x100000, v8
	v_and_b32_e32 v9, 0x10000000, v9
	v_or3_b32 v4, v4, v8, v9
	v_and_b32_e32 v8, 0x1f00, v5
	v_lshlrev_b16_e32 v5, 8, v5
	v_add_u16_e32 v5, 0xf000, v5
	v_or_b32_sdwa v5, v8, v5 dst_sel:DWORD dst_unused:UNUSED_PAD src0_sel:DWORD src1_sel:BYTE_1
	v_add_u16_e32 v8, 0xf000, v5
	v_and_b32_sdwa v5, v4, s21 dst_sel:DWORD dst_unused:UNUSED_PAD src0_sel:WORD_1 src1_sel:DWORD
	v_lshlrev_b16_sdwa v4, v140, v4 dst_sel:DWORD dst_unused:UNUSED_PAD src0_sel:DWORD src1_sel:WORD_1
	v_add_u16_e32 v4, 0xf000, v4
	v_or_b32_sdwa v4, v5, v4 dst_sel:DWORD dst_unused:UNUSED_PAD src0_sel:DWORD src1_sel:BYTE_1
	v_add_u16_sdwa v9, v4, s22 dst_sel:WORD_1 dst_unused:UNUSED_PAD src0_sel:DWORD src1_sel:DWORD
	v_add_co_u32_e32 v4, vcc, s14, v94
	v_addc_co_u32_e32 v5, vcc, v89, v2, vcc
	global_load_ushort v10, v[4:5], off
	v_add_co_u32_e32 v4, vcc, s14, v96
	v_addc_co_u32_e32 v5, vcc, v95, v2, vcc
	global_load_ushort v11, v[4:5], off
	;; [unrolled: 3-line block ×4, first 2 shown]
	v_or_b32_e32 v4, v8, v9
	v_lshrrev_b32_e32 v5, 4, v13
	v_lshrrev_b32_e32 v8, 12, v3
	;; [unrolled: 1-line block ×3, first 2 shown]
	v_lshlrev_b32_e32 v13, 2, v3
	v_and_b32_e32 v8, 16, v8
	v_and_b32_e32 v9, 0x1000, v9
	;; [unrolled: 1-line block ×3, first 2 shown]
	v_lshlrev_b32_e32 v3, 9, v3
	v_and_b32_e32 v5, 0xf0f0f0f, v5
	v_and_b32_e32 v3, 0x10000000, v3
	v_or3_b32 v8, v9, v8, v13
	v_or3_b32 v3, v8, v3, v5
	v_lshlrev_b16_e32 v8, 8, v3
	v_and_b32_e32 v5, 0x1f00, v3
	v_add_i16 v8, v8, s22 clamp
	v_or_b32_sdwa v5, v5, v8 dst_sel:DWORD dst_unused:UNUSED_PAD src0_sel:DWORD src1_sel:BYTE_1
	v_and_b32_sdwa v8, v3, s23 dst_sel:DWORD dst_unused:UNUSED_PAD src0_sel:WORD_1 src1_sel:DWORD
	v_add_i16 v8, v8, s22 clamp
	v_lshlrev_b16_sdwa v3, v140, v3 dst_sel:DWORD dst_unused:UNUSED_PAD src0_sel:DWORD src1_sel:WORD_1
	v_and_b32_e32 v8, 0xffffff00, v8
	v_add_i16 v3, v3, s22 clamp
	v_add_u16_e32 v5, 0xf000, v5
	v_or_b32_sdwa v3, v3, v8 dst_sel:WORD_1 dst_unused:UNUSED_PAD src0_sel:BYTE_1 src1_sel:DWORD
	v_or_b32_e32 v3, v5, v3
	ds_write2_b32 v120, v4, v3 offset1:1
	s_waitcnt vmcnt(5)
	v_ashrrev_i32_e32 v3, v105, v6
	v_lshlrev_b32_e32 v5, 4, v3
	v_lshlrev_b32_e32 v6, 11, v3
	s_waitcnt vmcnt(4)
	v_and_b32_e32 v4, 0xf0f0f0f, v7
	v_and_b32_e32 v5, 16, v5
	;; [unrolled: 1-line block ×3, first 2 shown]
	v_or3_b32 v5, v5, v4, v6
	v_lshlrev_b32_e32 v6, 18, v3
	v_lshlrev_b32_e32 v8, 25, v3
	v_and_b32_e32 v6, 0x100000, v6
	v_and_b32_e32 v8, 0x10000000, v8
	v_or3_b32 v4, v4, v6, v8
	v_and_b32_e32 v6, 0x1f00, v5
	v_lshlrev_b16_e32 v5, 8, v5
	v_add_u16_e32 v5, 0xf000, v5
	v_or_b32_sdwa v5, v6, v5 dst_sel:DWORD dst_unused:UNUSED_PAD src0_sel:DWORD src1_sel:BYTE_1
	v_and_b32_sdwa v6, v4, s21 dst_sel:DWORD dst_unused:UNUSED_PAD src0_sel:WORD_1 src1_sel:DWORD
	v_lshlrev_b16_sdwa v4, v140, v4 dst_sel:DWORD dst_unused:UNUSED_PAD src0_sel:DWORD src1_sel:WORD_1
	v_add_u16_e32 v4, 0xf000, v4
	v_or_b32_sdwa v4, v6, v4 dst_sel:DWORD dst_unused:UNUSED_PAD src0_sel:DWORD src1_sel:BYTE_1
	v_add_u16_e32 v5, 0xf000, v5
	v_add_u16_sdwa v4, v4, s22 dst_sel:WORD_1 dst_unused:UNUSED_PAD src0_sel:DWORD src1_sel:DWORD
	v_or_b32_e32 v4, v5, v4
	v_lshrrev_b32_e32 v5, 4, v7
	v_lshrrev_b32_e32 v6, 12, v3
	;; [unrolled: 1-line block ×3, first 2 shown]
	v_lshlrev_b32_e32 v8, 2, v3
	v_and_b32_e32 v6, 16, v6
	v_and_b32_e32 v7, 0x1000, v7
	;; [unrolled: 1-line block ×3, first 2 shown]
	v_lshlrev_b32_e32 v3, 9, v3
	v_and_b32_e32 v5, 0xf0f0f0f, v5
	v_and_b32_e32 v3, 0x10000000, v3
	v_or3_b32 v6, v7, v6, v8
	v_or3_b32 v3, v6, v3, v5
	v_lshlrev_b16_e32 v6, 8, v3
	v_and_b32_e32 v5, 0x1f00, v3
	v_add_i16 v6, v6, s22 clamp
	v_or_b32_sdwa v5, v5, v6 dst_sel:DWORD dst_unused:UNUSED_PAD src0_sel:DWORD src1_sel:BYTE_1
	v_and_b32_sdwa v6, v3, s23 dst_sel:DWORD dst_unused:UNUSED_PAD src0_sel:WORD_1 src1_sel:DWORD
	v_add_i16 v6, v6, s22 clamp
	v_lshlrev_b16_sdwa v3, v140, v3 dst_sel:DWORD dst_unused:UNUSED_PAD src0_sel:DWORD src1_sel:WORD_1
	v_and_b32_e32 v6, 0xffffff00, v6
	v_add_i16 v3, v3, s22 clamp
	v_add_u16_e32 v5, 0xf000, v5
	v_or_b32_sdwa v3, v3, v6 dst_sel:WORD_1 dst_unused:UNUSED_PAD src0_sel:BYTE_1 src1_sel:DWORD
	v_or_b32_e32 v3, v5, v3
	s_waitcnt vmcnt(3)
	v_cvt_f32_f16_e32 v5, v10
	ds_write2_b32 v121, v4, v3 offset1:1
	s_waitcnt vmcnt(1)
	v_cvt_f32_f16_e32 v3, v12
	v_cvt_f32_f16_e32 v6, v11
	ds_write_b32 v136, v5
	ds_write_b32 v137, v6
	s_waitcnt vmcnt(0)
	v_cvt_f32_f16_e32 v2, v2
	ds_write_b32 v138, v3
	ds_write_b32 v139, v2
	s_cbranch_scc0 .LBB181_5
; %bb.7:                                ;   in Loop: Header=BB181_6 Depth=1
	v_add_u32_e32 v2, s19, v122
	v_cmp_gt_i32_e32 vcc, s9, v2
	s_and_b64 s[24:25], s[2:3], vcc
	s_and_saveexec_b64 s[4:5], s[24:25]
	s_cbranch_execz .LBB181_9
; %bb.8:                                ;   in Loop: Header=BB181_6 Depth=1
	v_add_u32_e32 v2, s19, v135
	v_mad_i64_i32 v[2:3], s[24:25], v2, 36, v[22:23]
	global_load_dword v2, v[2:3], off offset:4
	s_waitcnt vmcnt(0)
	ds_write_b32 v123, v2
.LBB181_9:                              ;   in Loop: Header=BB181_6 Depth=1
	s_or_b64 exec, exec, s[4:5]
	s_and_saveexec_b64 s[4:5], s[0:1]
	s_cbranch_execz .LBB181_12
; %bb.10:                               ;   in Loop: Header=BB181_6 Depth=1
	v_add_u32_e32 v2, s19, v104
	v_cmp_gt_i32_e32 vcc, s9, v2
	s_and_b64 s[24:25], s[2:3], vcc
	s_and_b64 exec, exec, s[24:25]
	s_cbranch_execz .LBB181_12
; %bb.11:                               ;   in Loop: Header=BB181_6 Depth=1
	v_add_u32_e32 v2, s19, v133
	v_mad_i64_i32 v[2:3], s[24:25], v2, 36, s[6:7]
	global_load_dword v2, v[2:3], off
	s_waitcnt vmcnt(0)
	v_cvt_f32_f16_e32 v2, v2
	ds_write_b32 v124, v2
.LBB181_12:                             ;   in Loop: Header=BB181_6 Depth=1
	s_or_b64 exec, exec, s[4:5]
	s_waitcnt lgkmcnt(0)
	s_barrier
	ds_read_b128 v[2:5], v126
	ds_read2_b32 v[102:103], v127 offset1:1
	ds_read_b128 v[14:17], v125
	ds_read_b128 v[18:21], v125 offset:16
	ds_read_b128 v[6:9], v125 offset:32
	;; [unrolled: 1-line block ×3, first 2 shown]
	ds_read2_b32 v[142:143], v127 offset0:2 offset1:3
	v_mov_b32_e32 v141, 0
	s_waitcnt lgkmcnt(4)
	v_dot4c_i32_i8_e32 v141, v102, v14
	s_waitcnt lgkmcnt(3)
	v_dot4c_i32_i8_e32 v141, v103, v18
	ds_read2_b32 v[102:103], v127 offset0:4 offset1:5
	ds_read2_b32 v[144:145], v127 offset0:6 offset1:7
	;; [unrolled: 1-line block ×3, first 2 shown]
	s_waitcnt lgkmcnt(3)
	v_dot4c_i32_i8_e32 v141, v142, v15
	v_dot4c_i32_i8_e32 v141, v143, v19
	s_waitcnt lgkmcnt(2)
	v_dot4c_i32_i8_e32 v141, v102, v16
	v_add_u32_e32 v102, 0x2080, v127
	ds_read2_b32 v[142:143], v102 offset1:1
	v_mov_b32_e32 v156, 0
	v_dot4c_i32_i8_e32 v141, v103, v20
	ds_read2_b32 v[102:103], v131 offset0:2 offset1:3
	s_waitcnt lgkmcnt(3)
	v_dot4c_i32_i8_e32 v141, v144, v17
	s_waitcnt lgkmcnt(1)
	v_dot4c_i32_i8_e32 v156, v142, v14
	v_add_u32_e32 v142, 0x2088, v127
	v_dot4c_i32_i8_e32 v156, v143, v18
	ds_read2_b32 v[142:143], v142 offset1:1
	v_add_u32_e32 v144, 0x2090, v127
	v_add_u32_e32 v148, 0x2098, v127
	;; [unrolled: 1-line block ×3, first 2 shown]
	v_dot4c_i32_i8_e32 v141, v145, v21
	ds_read2_b32 v[144:145], v144 offset1:1
	ds_read2_b32 v[148:149], v148 offset1:1
	;; [unrolled: 1-line block ×3, first 2 shown]
	s_waitcnt lgkmcnt(3)
	v_dot4c_i32_i8_e32 v156, v142, v15
	v_dot4c_i32_i8_e32 v156, v143, v19
	s_waitcnt lgkmcnt(2)
	v_dot4c_i32_i8_e32 v156, v144, v16
	v_dot4c_i32_i8_e32 v156, v145, v20
	v_mov_b32_e32 v157, 0
	s_waitcnt lgkmcnt(1)
	v_dot4c_i32_i8_e32 v156, v148, v17
	s_waitcnt lgkmcnt(0)
	v_dot4c_i32_i8_e32 v157, v150, v14
	v_add_u32_e32 v142, 0x4108, v127
	v_add_u32_e32 v144, 0x4110, v127
	;; [unrolled: 1-line block ×4, first 2 shown]
	v_dot4c_i32_i8_e32 v156, v149, v21
	v_dot4c_i32_i8_e32 v157, v151, v18
	ds_read2_b32 v[142:143], v142 offset1:1
	ds_read2_b32 v[144:145], v144 offset1:1
	;; [unrolled: 1-line block ×4, first 2 shown]
	v_mov_b32_e32 v158, 0
	v_mov_b32_e32 v159, 0
	v_dot4c_i32_i8_e32 v159, v146, v6
	s_waitcnt lgkmcnt(3)
	v_dot4c_i32_i8_e32 v157, v142, v15
	s_waitcnt lgkmcnt(0)
	v_dot4c_i32_i8_e32 v158, v150, v14
	v_add_u32_e32 v14, 0x6188, v127
	v_dot4c_i32_i8_e32 v157, v143, v19
	ds_read2_b32 v[142:143], v14 offset1:1
	v_dot4c_i32_i8_e32 v157, v144, v16
	v_dot4c_i32_i8_e32 v157, v145, v20
	;; [unrolled: 1-line block ×4, first 2 shown]
	v_add_u32_e32 v18, 0x6190, v127
	v_add_u32_e32 v148, 0x6198, v127
	v_dot4c_i32_i8_e32 v157, v149, v21
	v_add_u32_e32 v14, 0x20a0, v127
	ds_read2_b32 v[144:145], v18 offset1:1
	ds_read2_b32 v[148:149], v148 offset1:1
	ds_read2_b32 v[150:151], v14 offset1:1
	s_waitcnt lgkmcnt(3)
	v_dot4c_i32_i8_e32 v158, v142, v15
	v_dot4c_i32_i8_e32 v158, v143, v19
	ds_read2_b32 v[14:15], v127 offset0:10 offset1:11
	s_waitcnt lgkmcnt(3)
	v_dot4c_i32_i8_e32 v158, v144, v16
	v_dot4c_i32_i8_e32 v158, v145, v20
	s_waitcnt lgkmcnt(2)
	v_dot4c_i32_i8_e32 v158, v148, v17
	v_dot4c_i32_i8_e32 v158, v149, v21
	v_dot4c_i32_i8_e32 v159, v147, v10
	ds_read2_b32 v[16:17], v127 offset0:12 offset1:13
	ds_read2_b32 v[18:19], v127 offset0:14 offset1:15
	;; [unrolled: 1-line block ×3, first 2 shown]
	s_waitcnt lgkmcnt(3)
	v_dot4c_i32_i8_e32 v159, v14, v7
	v_add_u32_e32 v14, 0x20a8, v127
	v_dot4c_i32_i8_e32 v159, v15, v11
	ds_read2_b32 v[14:15], v14 offset1:1
	s_waitcnt lgkmcnt(3)
	v_dot4c_i32_i8_e32 v159, v16, v8
	v_dot4c_i32_i8_e32 v159, v17, v12
	v_mov_b32_e32 v160, 0
	s_waitcnt lgkmcnt(2)
	v_dot4c_i32_i8_e32 v159, v18, v9
	v_dot4c_i32_i8_e32 v160, v150, v6
	v_add_u32_e32 v16, 0x20b0, v127
	v_add_u32_e32 v18, 0x20b8, v127
	v_add_u32_e32 v142, 0x4120, v127
	v_dot4c_i32_i8_e32 v159, v19, v13
	v_dot4c_i32_i8_e32 v160, v151, v10
	ds_read2_b32 v[16:17], v16 offset1:1
	ds_read2_b32 v[18:19], v18 offset1:1
	;; [unrolled: 1-line block ×3, first 2 shown]
	s_waitcnt lgkmcnt(3)
	v_dot4c_i32_i8_e32 v160, v14, v7
	v_dot4c_i32_i8_e32 v160, v15, v11
	s_waitcnt lgkmcnt(2)
	v_dot4c_i32_i8_e32 v160, v16, v8
	v_dot4c_i32_i8_e32 v160, v17, v12
	v_mov_b32_e32 v161, 0
	s_waitcnt lgkmcnt(1)
	v_dot4c_i32_i8_e32 v160, v18, v9
	s_waitcnt lgkmcnt(0)
	v_dot4c_i32_i8_e32 v161, v142, v6
	v_add_u32_e32 v14, 0x4128, v127
	v_add_u32_e32 v16, 0x4130, v127
	v_add_u32_e32 v18, 0x4138, v127
	v_add_u32_e32 v142, 0x61a0, v127
	v_dot4c_i32_i8_e32 v160, v19, v13
	v_dot4c_i32_i8_e32 v161, v143, v10
	ds_read2_b32 v[14:15], v14 offset1:1
	ds_read2_b32 v[16:17], v16 offset1:1
	;; [unrolled: 1-line block ×4, first 2 shown]
	v_mov_b32_e32 v162, 0
	v_mov_b32_e32 v163, 0
	;; [unrolled: 1-line block ×3, first 2 shown]
	s_waitcnt lgkmcnt(3)
	v_dot4c_i32_i8_e32 v161, v14, v7
	s_waitcnt lgkmcnt(0)
	v_dot4c_i32_i8_e32 v162, v142, v6
	v_add_u32_e32 v6, 0x61a8, v127
	v_dot4c_i32_i8_e32 v161, v15, v11
	ds_read2_b32 v[14:15], v6 offset1:1
	v_dot4c_i32_i8_e32 v161, v16, v8
	v_dot4c_i32_i8_e32 v161, v17, v12
	;; [unrolled: 1-line block ×4, first 2 shown]
	v_add_u32_e32 v10, 0x61b0, v127
	v_add_u32_e32 v18, 0x61b8, v127
	v_dot4c_i32_i8_e32 v161, v19, v13
	v_add_u32_e32 v6, 0x20c0, v127
	ds_read2_b32 v[16:17], v10 offset1:1
	ds_read2_b32 v[18:19], v18 offset1:1
	;; [unrolled: 1-line block ×3, first 2 shown]
	s_waitcnt lgkmcnt(3)
	v_dot4c_i32_i8_e32 v162, v14, v7
	v_dot4c_i32_i8_e32 v162, v15, v11
	s_waitcnt lgkmcnt(2)
	v_dot4c_i32_i8_e32 v162, v16, v8
	v_dot4c_i32_i8_e32 v162, v17, v12
	;; [unrolled: 3-line block ×3, first 2 shown]
	ds_read_b128 v[8:11], v125 offset:64
	ds_read_b128 v[12:15], v125 offset:80
	ds_read2_b32 v[6:7], v130 offset1:1
	ds_read2_b32 v[144:145], v129 offset0:2 offset1:3
	ds_read2_b32 v[146:147], v129 offset1:1
	ds_read2_b32 v[148:149], v128 offset0:2 offset1:3
	ds_read2_b32 v[16:17], v127 offset0:18 offset1:19
	s_waitcnt lgkmcnt(6)
	v_dot4c_i32_i8_e32 v163, v20, v8
	s_waitcnt lgkmcnt(5)
	v_dot4c_i32_i8_e32 v163, v21, v12
	ds_read2_b32 v[18:19], v127 offset0:20 offset1:21
	ds_read2_b32 v[20:21], v127 offset0:22 offset1:23
	;; [unrolled: 1-line block ×3, first 2 shown]
	v_dot4c_i32_i8_e32 v164, v142, v8
	s_waitcnt lgkmcnt(3)
	v_dot4c_i32_i8_e32 v163, v16, v9
	v_add_u32_e32 v16, 0x20c8, v127
	v_dot4c_i32_i8_e32 v163, v17, v13
	ds_read2_b32 v[16:17], v16 offset1:1
	s_waitcnt lgkmcnt(3)
	v_dot4c_i32_i8_e32 v163, v18, v10
	v_dot4c_i32_i8_e32 v163, v19, v14
	s_waitcnt lgkmcnt(2)
	v_dot4c_i32_i8_e32 v163, v20, v11
	v_add_u32_e32 v18, 0x20d0, v127
	v_add_u32_e32 v20, 0x20d8, v127
	;; [unrolled: 1-line block ×3, first 2 shown]
	v_dot4c_i32_i8_e32 v163, v21, v15
	v_dot4c_i32_i8_e32 v164, v143, v12
	ds_read2_b32 v[18:19], v18 offset1:1
	ds_read2_b32 v[20:21], v20 offset1:1
	;; [unrolled: 1-line block ×3, first 2 shown]
	s_waitcnt lgkmcnt(3)
	v_dot4c_i32_i8_e32 v164, v16, v9
	v_dot4c_i32_i8_e32 v164, v17, v13
	s_waitcnt lgkmcnt(2)
	v_dot4c_i32_i8_e32 v164, v18, v10
	v_dot4c_i32_i8_e32 v164, v19, v14
	v_mov_b32_e32 v165, 0
	s_waitcnt lgkmcnt(1)
	v_dot4c_i32_i8_e32 v164, v20, v11
	s_waitcnt lgkmcnt(0)
	v_dot4c_i32_i8_e32 v165, v142, v8
	v_add_u32_e32 v16, 0x4148, v127
	v_add_u32_e32 v18, 0x4150, v127
	;; [unrolled: 1-line block ×4, first 2 shown]
	v_dot4c_i32_i8_e32 v164, v21, v15
	ds_read2_b32 v[20:21], v131 offset1:1
	ds_read2_b32 v[152:153], v130 offset0:2 offset1:3
	v_dot4c_i32_i8_e32 v165, v143, v12
	ds_read2_b32 v[16:17], v16 offset1:1
	ds_read2_b32 v[18:19], v18 offset1:1
	;; [unrolled: 1-line block ×4, first 2 shown]
	v_mov_b32_e32 v166, 0
	v_mov_b32_e32 v167, 0
	;; [unrolled: 1-line block ×3, first 2 shown]
	s_waitcnt lgkmcnt(3)
	v_dot4c_i32_i8_e32 v165, v16, v9
	s_waitcnt lgkmcnt(0)
	v_dot4c_i32_i8_e32 v166, v154, v8
	v_add_u32_e32 v8, 0x61c8, v127
	v_dot4c_i32_i8_e32 v165, v17, v13
	ds_read2_b32 v[16:17], v8 offset1:1
	v_dot4c_i32_i8_e32 v165, v18, v10
	v_dot4c_i32_i8_e32 v165, v19, v14
	;; [unrolled: 1-line block ×4, first 2 shown]
	v_add_u32_e32 v12, 0x61d0, v127
	v_add_u32_e32 v142, 0x61d8, v127
	v_dot4c_i32_i8_e32 v165, v143, v15
	v_add_u32_e32 v8, 0x20e0, v127
	ds_read2_b32 v[18:19], v12 offset1:1
	ds_read2_b32 v[142:143], v142 offset1:1
	;; [unrolled: 1-line block ×3, first 2 shown]
	s_waitcnt lgkmcnt(3)
	v_dot4c_i32_i8_e32 v166, v16, v9
	v_dot4c_i32_i8_e32 v166, v17, v13
	s_waitcnt lgkmcnt(2)
	v_dot4c_i32_i8_e32 v166, v18, v10
	v_dot4c_i32_i8_e32 v166, v19, v14
	ds_read_b128 v[16:19], v125 offset:96
	s_waitcnt lgkmcnt(2)
	v_dot4c_i32_i8_e32 v166, v142, v11
	ds_read_b128 v[8:11], v125 offset:112
	ds_read2_b32 v[12:13], v127 offset0:26 offset1:27
	v_dot4c_i32_i8_e32 v166, v143, v15
	s_waitcnt lgkmcnt(2)
	v_dot4c_i32_i8_e32 v167, v150, v16
	v_dot4c_i32_i8_e32 v168, v154, v16
	s_waitcnt lgkmcnt(1)
	v_dot4c_i32_i8_e32 v167, v151, v8
	ds_read2_b32 v[14:15], v127 offset0:28 offset1:29
	ds_read2_b32 v[142:143], v128 offset1:1
	ds_read2_b32 v[150:151], v127 offset0:30 offset1:31
	s_waitcnt lgkmcnt(3)
	v_dot4c_i32_i8_e32 v167, v12, v17
	v_add_u32_e32 v12, 0x20e8, v127
	v_dot4c_i32_i8_e32 v167, v13, v9
	ds_read2_b32 v[12:13], v12 offset1:1
	s_waitcnt lgkmcnt(3)
	v_dot4c_i32_i8_e32 v167, v14, v18
	v_dot4c_i32_i8_e32 v167, v15, v10
	s_waitcnt lgkmcnt(1)
	v_dot4c_i32_i8_e32 v167, v150, v19
	v_add_u32_e32 v14, 0x20f0, v127
	v_add_u32_e32 v150, 0x20f8, v127
	;; [unrolled: 1-line block ×3, first 2 shown]
	v_dot4c_i32_i8_e32 v167, v151, v11
	v_dot4c_i32_i8_e32 v168, v155, v8
	ds_read2_b32 v[14:15], v14 offset1:1
	ds_read2_b32 v[150:151], v150 offset1:1
	ds_read2_b32 v[154:155], v154 offset1:1
	s_waitcnt lgkmcnt(3)
	v_dot4c_i32_i8_e32 v168, v12, v17
	v_dot4c_i32_i8_e32 v168, v13, v9
	s_waitcnt lgkmcnt(2)
	v_dot4c_i32_i8_e32 v168, v14, v18
	v_dot4c_i32_i8_e32 v168, v15, v10
	s_waitcnt lgkmcnt(1)
	v_dot4c_i32_i8_e32 v168, v150, v19
	v_cvt_f32_i32_e32 v15, v156
	v_cvt_f32_i32_e32 v14, v141
	v_dot4c_i32_i8_e32 v168, v151, v11
	v_cvt_f32_i32_e32 v151, v160
	v_cvt_f32_i32_e32 v150, v159
	v_mov_b32_e32 v12, v142
	v_mov_b32_e32 v13, v146
	v_pk_mul_f32 v[12:13], v[2:3], v[12:13] op_sel_hi:[0,1]
	v_mov_b32_e32 v146, v143
	v_pk_fma_f32 v[12:13], v[12:13], v[14:15], v[90:91]
	v_pk_mul_f32 v[14:15], v[2:3], v[146:147] op_sel:[1,0]
	v_pk_fma_f32 v[12:13], v[14:15], v[150:151], v[12:13]
	v_cvt_f32_i32_e32 v15, v164
	v_cvt_f32_i32_e32 v14, v163
	v_mov_b32_e32 v90, v148
	v_mov_b32_e32 v91, v144
	v_pk_mul_f32 v[90:91], v[4:5], v[90:91] op_sel_hi:[0,1]
	v_pk_fma_f32 v[12:13], v[90:91], v[14:15], v[12:13]
	v_cvt_f32_i32_e32 v15, v168
	v_cvt_f32_i32_e32 v14, v167
	v_mov_b32_e32 v142, v5
	v_mov_b32_e32 v144, v149
	v_pk_mul_f32 v[90:91], v[142:143], v[144:145] op_sel_hi:[0,1]
	v_add_u32_e32 v5, 0x4168, v127
	v_pk_fma_f32 v[90:91], v[90:91], v[14:15], v[12:13]
	ds_read2_b32 v[12:13], v5 offset1:1
	v_mov_b32_e32 v141, 0
	s_waitcnt lgkmcnt(1)
	v_dot4c_i32_i8_e32 v141, v154, v16
	v_add_u32_e32 v14, 0x4170, v127
	v_dot4c_i32_i8_e32 v141, v155, v8
	v_add_u32_e32 v143, 0x4178, v127
	v_add_u32_e32 v5, 0x61e0, v127
	ds_read2_b32 v[14:15], v14 offset1:1
	ds_read2_b32 v[144:145], v143 offset1:1
	;; [unrolled: 1-line block ×3, first 2 shown]
	s_waitcnt lgkmcnt(3)
	v_dot4c_i32_i8_e32 v141, v12, v17
	v_add_u32_e32 v5, 0x61e8, v127
	v_dot4c_i32_i8_e32 v141, v13, v9
	ds_read2_b32 v[12:13], v5 offset1:1
	s_waitcnt lgkmcnt(3)
	v_dot4c_i32_i8_e32 v141, v14, v18
	v_add_u32_e32 v5, 0x61f0, v127
	v_dot4c_i32_i8_e32 v141, v15, v10
	v_mov_b32_e32 v143, 0
	ds_read2_b32 v[14:15], v5 offset1:1
	s_waitcnt lgkmcnt(3)
	v_dot4c_i32_i8_e32 v141, v144, v19
	s_waitcnt lgkmcnt(2)
	v_dot4c_i32_i8_e32 v143, v146, v16
	v_add_u32_e32 v5, 0x61f8, v127
	v_dot4c_i32_i8_e32 v141, v145, v11
	v_dot4c_i32_i8_e32 v143, v147, v8
	ds_read2_b32 v[144:145], v5 offset1:1
	s_waitcnt lgkmcnt(2)
	v_dot4c_i32_i8_e32 v143, v12, v17
	v_dot4c_i32_i8_e32 v143, v13, v9
	s_waitcnt lgkmcnt(1)
	v_dot4c_i32_i8_e32 v143, v14, v18
	v_dot4c_i32_i8_e32 v143, v15, v10
	;; [unrolled: 3-line block ×3, first 2 shown]
	v_cvt_f32_i32_e32 v11, v158
	v_cvt_f32_i32_e32 v10, v157
	;; [unrolled: 1-line block ×4, first 2 shown]
	v_mov_b32_e32 v8, v6
	v_mov_b32_e32 v9, v20
	v_pk_mul_f32 v[8:9], v[2:3], v[8:9] op_sel_hi:[0,1]
	v_mov_b32_e32 v20, v7
	v_pk_fma_f32 v[8:9], v[8:9], v[10:11], v[92:93]
	v_pk_mul_f32 v[2:3], v[2:3], v[20:21] op_sel:[1,0]
	v_pk_fma_f32 v[2:3], v[2:3], v[12:13], v[8:9]
	v_mov_b32_e32 v6, v152
	v_mov_b32_e32 v7, v102
	v_cvt_f32_i32_e32 v9, v166
	v_cvt_f32_i32_e32 v8, v165
	v_pk_mul_f32 v[4:5], v[4:5], v[6:7] op_sel_hi:[0,1]
	v_cvt_f32_i32_e32 v7, v143
	v_cvt_f32_i32_e32 v6, v141
	v_mov_b32_e32 v102, v153
	v_pk_fma_f32 v[2:3], v[4:5], v[8:9], v[2:3]
	v_pk_mul_f32 v[4:5], v[142:143], v[102:103] op_sel_hi:[0,1]
	v_pk_fma_f32 v[92:93], v[4:5], v[6:7], v[2:3]
	s_cmp_ge_i32 s20, s15
	s_barrier
	s_cbranch_scc1 .LBB181_5
; %bb.13:                               ;   in Loop: Header=BB181_6 Depth=1
	v_add_u32_e32 v2, s19, v132
	v_cmp_gt_i32_e32 vcc, s9, v2
	s_and_b64 s[24:25], s[2:3], vcc
	s_and_saveexec_b64 s[4:5], s[24:25]
	s_cbranch_execz .LBB181_15
; %bb.14:                               ;   in Loop: Header=BB181_6 Depth=1
	v_add_u32_e32 v2, s19, v134
	v_mad_i64_i32 v[2:3], s[24:25], v2, 36, v[22:23]
	global_load_dword v2, v[2:3], off offset:4
	s_waitcnt vmcnt(0)
	ds_write_b32 v123, v2
.LBB181_15:                             ;   in Loop: Header=BB181_6 Depth=1
	s_or_b64 exec, exec, s[4:5]
	s_and_saveexec_b64 s[4:5], s[0:1]
	s_cbranch_execz .LBB181_4
; %bb.16:                               ;   in Loop: Header=BB181_6 Depth=1
	v_add3_u32 v2, v104, s19, 4
	v_cmp_gt_i32_e32 vcc, s9, v2
	s_and_b64 s[24:25], s[2:3], vcc
	s_and_b64 exec, exec, s[24:25]
	s_cbranch_execz .LBB181_4
; %bb.17:                               ;   in Loop: Header=BB181_6 Depth=1
	global_load_dword v2, v[24:25], off
	s_waitcnt vmcnt(0)
	v_cvt_f32_f16_e32 v2, v2
	ds_write_b32 v124, v2
	s_branch .LBB181_4
.LBB181_18:
	v_mov_b32_e32 v92, v93
	v_mov_b32_e32 v91, v93
	;; [unrolled: 1-line block ×3, first 2 shown]
.LBB181_19:
	s_mul_i32 s0, s11, s8
	s_waitcnt vmcnt(0)
	v_cmp_gt_i32_e32 vcc, s0, v101
	s_and_saveexec_b64 s[0:1], vcc
	s_cbranch_execz .LBB181_28
; %bb.20:
	v_and_b32_e32 v0, 0x3ff, v0
	v_add_u32_e32 v1, s16, v0
	v_mul_lo_u32 v0, v101, s10
	v_cmp_gt_u32_e32 vcc, s10, v1
	s_and_saveexec_b64 s[0:1], vcc
	s_cbranch_execz .LBB181_22
; %bb.21:
	v_add_u32_e32 v2, v0, v1
	v_mov_b32_e32 v3, 0
	v_lshlrev_b64 v[2:3], 2, v[2:3]
	v_mov_b32_e32 v4, s13
	v_add_co_u32_e32 v2, vcc, s12, v2
	v_addc_co_u32_e32 v3, vcc, v4, v3, vcc
	global_store_dword v[2:3], v90, off
.LBB181_22:
	s_or_b64 exec, exec, s[0:1]
	v_add_u32_e32 v2, 32, v1
	v_cmp_gt_u32_e32 vcc, s10, v2
	s_and_saveexec_b64 s[0:1], vcc
	s_cbranch_execz .LBB181_24
; %bb.23:
	v_add_u32_e32 v2, v0, v2
	v_mov_b32_e32 v3, 0
	v_lshlrev_b64 v[2:3], 2, v[2:3]
	v_mov_b32_e32 v4, s13
	v_add_co_u32_e32 v2, vcc, s12, v2
	v_addc_co_u32_e32 v3, vcc, v4, v3, vcc
	global_store_dword v[2:3], v91, off
.LBB181_24:
	s_or_b64 exec, exec, s[0:1]
	v_add_u32_e32 v2, 64, v1
	;; [unrolled: 14-line block ×3, first 2 shown]
	v_cmp_gt_u32_e32 vcc, s10, v1
	s_and_b64 exec, exec, vcc
	s_cbranch_execz .LBB181_28
; %bb.27:
	v_add_u32_e32 v0, v0, v1
	v_mov_b32_e32 v1, 0
	v_lshlrev_b64 v[0:1], 2, v[0:1]
	v_mov_b32_e32 v2, s13
	v_add_co_u32_e32 v0, vcc, s12, v0
	v_addc_co_u32_e32 v1, vcc, v2, v1, vcc
	global_store_dword v[0:1], v93, off
.LBB181_28:
	s_endpgm
	.section	.rodata,"a",@progbits
	.p2align	6, 0x0
	.amdhsa_kernel _ZL8moe_q5_0IfLb0EEvPKvS1_PT_PKiS5_S5_iiiiiii
		.amdhsa_group_segment_fixed_size 38656
		.amdhsa_private_segment_fixed_size 0
		.amdhsa_kernarg_size 76
		.amdhsa_user_sgpr_count 6
		.amdhsa_user_sgpr_private_segment_buffer 1
		.amdhsa_user_sgpr_dispatch_ptr 0
		.amdhsa_user_sgpr_queue_ptr 0
		.amdhsa_user_sgpr_kernarg_segment_ptr 1
		.amdhsa_user_sgpr_dispatch_id 0
		.amdhsa_user_sgpr_flat_scratch_init 0
		.amdhsa_user_sgpr_kernarg_preload_length 0
		.amdhsa_user_sgpr_kernarg_preload_offset 0
		.amdhsa_user_sgpr_private_segment_size 0
		.amdhsa_uses_dynamic_stack 0
		.amdhsa_system_sgpr_private_segment_wavefront_offset 0
		.amdhsa_system_sgpr_workgroup_id_x 1
		.amdhsa_system_sgpr_workgroup_id_y 1
		.amdhsa_system_sgpr_workgroup_id_z 0
		.amdhsa_system_sgpr_workgroup_info 0
		.amdhsa_system_vgpr_workitem_id 1
		.amdhsa_next_free_vgpr 169
		.amdhsa_next_free_sgpr 26
		.amdhsa_accum_offset 172
		.amdhsa_reserve_vcc 1
		.amdhsa_reserve_flat_scratch 0
		.amdhsa_float_round_mode_32 0
		.amdhsa_float_round_mode_16_64 0
		.amdhsa_float_denorm_mode_32 3
		.amdhsa_float_denorm_mode_16_64 3
		.amdhsa_dx10_clamp 1
		.amdhsa_ieee_mode 1
		.amdhsa_fp16_overflow 0
		.amdhsa_tg_split 0
		.amdhsa_exception_fp_ieee_invalid_op 0
		.amdhsa_exception_fp_denorm_src 0
		.amdhsa_exception_fp_ieee_div_zero 0
		.amdhsa_exception_fp_ieee_overflow 0
		.amdhsa_exception_fp_ieee_underflow 0
		.amdhsa_exception_fp_ieee_inexact 0
		.amdhsa_exception_int_div_zero 0
	.end_amdhsa_kernel
	.section	.text._ZL8moe_q5_0IfLb0EEvPKvS1_PT_PKiS5_S5_iiiiiii,"axG",@progbits,_ZL8moe_q5_0IfLb0EEvPKvS1_PT_PKiS5_S5_iiiiiii,comdat
.Lfunc_end181:
	.size	_ZL8moe_q5_0IfLb0EEvPKvS1_PT_PKiS5_S5_iiiiiii, .Lfunc_end181-_ZL8moe_q5_0IfLb0EEvPKvS1_PT_PKiS5_S5_iiiiiii
                                        ; -- End function
	.section	.AMDGPU.csdata,"",@progbits
; Kernel info:
; codeLenInByte = 12804
; NumSgprs: 30
; NumVgprs: 169
; NumAgprs: 0
; TotalNumVgprs: 169
; ScratchSize: 0
; MemoryBound: 0
; FloatMode: 240
; IeeeMode: 1
; LDSByteSize: 38656 bytes/workgroup (compile time only)
; SGPRBlocks: 3
; VGPRBlocks: 21
; NumSGPRsForWavesPerEU: 30
; NumVGPRsForWavesPerEU: 169
; AccumOffset: 172
; Occupancy: 1
; WaveLimiterHint : 1
; COMPUTE_PGM_RSRC2:SCRATCH_EN: 0
; COMPUTE_PGM_RSRC2:USER_SGPR: 6
; COMPUTE_PGM_RSRC2:TRAP_HANDLER: 0
; COMPUTE_PGM_RSRC2:TGID_X_EN: 1
; COMPUTE_PGM_RSRC2:TGID_Y_EN: 1
; COMPUTE_PGM_RSRC2:TGID_Z_EN: 0
; COMPUTE_PGM_RSRC2:TIDIG_COMP_CNT: 1
; COMPUTE_PGM_RSRC3_GFX90A:ACCUM_OFFSET: 42
; COMPUTE_PGM_RSRC3_GFX90A:TG_SPLIT: 0
	.section	.text._ZL8moe_q5_0IfLb1EEvPKvS1_PT_PKiS5_S5_iiiiiii,"axG",@progbits,_ZL8moe_q5_0IfLb1EEvPKvS1_PT_PKiS5_S5_iiiiiii,comdat
	.globl	_ZL8moe_q5_0IfLb1EEvPKvS1_PT_PKiS5_S5_iiiiiii ; -- Begin function _ZL8moe_q5_0IfLb1EEvPKvS1_PT_PKiS5_S5_iiiiiii
	.p2align	8
	.type	_ZL8moe_q5_0IfLb1EEvPKvS1_PT_PKiS5_S5_iiiiiii,@function
_ZL8moe_q5_0IfLb1EEvPKvS1_PT_PKiS5_S5_iiiiiii: ; @_ZL8moe_q5_0IfLb1EEvPKvS1_PT_PKiS5_S5_iiiiiii
; %bb.0:
	s_load_dwordx4 s[0:3], s[4:5], 0x18
	s_mov_b32 s8, s7
	s_mov_b32 s9, 0
	s_lshl_b64 s[10:11], s[8:9], 2
	s_waitcnt lgkmcnt(0)
	s_add_u32 s2, s2, s10
	s_addc_u32 s3, s3, s11
	s_load_dword s2, s[2:3], 0x0
	s_waitcnt lgkmcnt(0)
	s_cmpk_gt_u32 s2, 0xff
	s_cbranch_scc1 .LBB182_28
; %bb.1:
	s_load_dwordx2 s[10:11], s[4:5], 0x28
	s_lshl_b32 s3, s8, 3
	s_waitcnt lgkmcnt(0)
	s_load_dword s7, s[10:11], 0x0
	s_waitcnt lgkmcnt(0)
	s_cmp_gt_u32 s3, s7
	s_cbranch_scc1 .LBB182_28
; %bb.2:
	v_bfe_u32 v1, v0, 10, 10
	v_add_u32_e32 v124, s3, v1
	v_mov_b32_e32 v125, 0
	v_lshlrev_b64 v[2:3], 2, v[124:125]
	v_mov_b32_e32 v4, s1
	v_add_co_u32_e32 v2, vcc, s0, v2
	v_addc_co_u32_e32 v3, vcc, v4, v3, vcc
	global_load_dword v97, v[2:3], off
	s_load_dwordx8 s[8:15], s[4:5], 0x30
	s_load_dwordx2 s[16:17], s[4:5], 0x10
	s_waitcnt lgkmcnt(0)
	s_lshl_b32 s15, s6, 7
	s_cmp_lt_i32 s9, 32
	s_cbranch_scc1 .LBB182_18
; %bb.3:
	s_ashr_i32 s0, s9, 31
	s_lshr_b32 s0, s0, 27
	s_add_i32 s0, s9, s0
	s_ashr_i32 s18, s0, 5
	s_ashr_i32 s0, s12, 31
	s_lshr_b32 s0, s0, 27
	s_add_i32 s0, s12, s0
	s_ashr_i32 s12, s0, 5
	s_not_b32 s0, s15
	s_mul_i32 s8, s2, s8
	s_add_i32 s2, s0, s10
	v_and_b32_e32 v99, 0x3ff, v0
	v_lshlrev_b32_e32 v3, 2, v99
	v_min_i32_e32 v5, s2, v1
	v_lshlrev_b32_e32 v2, 3, v99
	s_movk_i32 s3, 0x104
	v_mul_lo_u32 v6, v5, s18
	v_mad_u64_u32 v[22:23], s[0:1], v5, s3, v[2:3]
	v_add_u32_e32 v5, 8, v1
	v_min_i32_e32 v5, s2, v5
	v_mul_lo_u32 v7, v5, s18
	v_mad_u64_u32 v[24:25], s[0:1], v5, s3, v[2:3]
	v_add_u32_e32 v5, 16, v1
	v_min_i32_e32 v5, s2, v5
	;; [unrolled: 4-line block ×15, first 2 shown]
	v_mad_u64_u32 v[52:53], s[0:1], v5, s3, v[2:3]
	v_lshlrev_b32_e32 v2, 2, v1
	v_lshrrev_b32_e32 v103, 3, v99
	v_mul_lo_u32 v21, v5, s18
	v_add_u32_e32 v5, v103, v2
	v_min_i32_e32 v23, s2, v5
	v_ashrrev_i32_e32 v25, 31, v23
	v_lshrrev_b32_e32 v25, 30, v25
	v_and_b32_e32 v95, 7, v99
	v_mul_lo_u32 v89, v23, s18
	v_add_u32_e32 v25, v23, v25
	v_lshlrev_b32_e32 v124, 5, v23
	v_add_u32_e32 v23, 32, v5
	v_and_b32_e32 v25, -4, v25
	v_lshlrev_b32_e32 v27, 2, v95
	s_mov_b32 s3, 0x8200
	v_min_i32_e32 v23, s2, v23
	v_add3_u32 v123, v25, v27, s3
	v_ashrrev_i32_e32 v25, 31, v23
	v_lshrrev_b32_e32 v25, 30, v25
	v_mul_lo_u32 v91, v23, s18
	v_add_u32_e32 v25, v23, v25
	v_lshlrev_b32_e32 v134, 5, v23
	v_add_u32_e32 v23, 64, v5
	s_load_dwordx4 s[4:7], s[4:5], 0x0
	v_and_b32_e32 v25, -4, v25
	v_min_i32_e32 v23, s2, v23
	v_add3_u32 v125, v25, v27, s3
	v_ashrrev_i32_e32 v25, 31, v23
	v_add_u32_e32 v5, 0x60, v5
	v_lshrrev_b32_e32 v25, 30, v25
	v_min_i32_e32 v5, s2, v5
	v_mul_lo_u32 v93, v23, s18
	v_add_u32_e32 v25, v23, v25
	v_lshlrev_b32_e32 v138, 5, v23
	v_ashrrev_i32_e32 v23, 31, v5
	v_and_b32_e32 v101, 12, v3
	v_lshrrev_b32_e32 v23, 30, v23
	v_and_b32_e32 v3, 28, v3
	v_mul_lo_u32 v122, v5, s18
	v_add_u32_e32 v23, v5, v23
	v_lshlrev_b32_e32 v140, 5, v5
	v_and_b32_e32 v5, 31, v99
	s_waitcnt lgkmcnt(0)
	v_add_co_u32_e32 v54, vcc, s6, v3
	v_lshlrev_b32_e32 v3, 7, v1
	v_lshl_or_b32 v5, v5, 2, v3
	v_add_u32_e32 v105, 0x9280, v5
	v_or_b32_e32 v2, v2, v99
	v_mov_b32_e32 v5, 0x9680
	v_lshl_add_u32 v107, v2, 2, v5
	v_lshl_add_u32 v111, v1, 4, v5
	v_and_b32_e32 v1, 0xfc, v99
	v_lshlrev_b32_e32 v2, 5, v99
	v_add3_u32 v115, v2, v1, s3
	v_add_u32_e32 v1, 32, v99
	v_add_u32_e32 v109, 0x9280, v3
	v_and_b32_e32 v2, 0x1fc, v1
	v_lshlrev_b32_e32 v3, 5, v1
	v_add3_u32 v117, v3, v2, s3
	v_add_u32_e32 v2, 64, v99
	v_and_b32_e32 v3, 0x1fc, v2
	v_lshlrev_b32_e32 v2, 5, v2
	s_abs_i32 s2, s14
	v_add3_u32 v119, v2, v3, s3
	v_cvt_f32_u32_e32 v3, s2
	v_add_u32_e32 v2, 0x60, v99
	v_and_b32_e32 v5, 0x1fc, v2
	v_lshlrev_b32_e32 v2, 5, v2
	v_add3_u32 v121, v2, v5, s3
	v_rcp_iflag_f32_e32 v2, v3
	v_and_b32_e32 v25, -4, v25
	v_and_b32_e32 v23, -4, v23
	v_add3_u32 v135, v25, v27, s3
	v_mul_f32_e32 v2, 0x4f7ffffe, v2
	v_cvt_u32_f32_e32 v2, v2
	v_add3_u32 v139, v23, v27, s3
	s_sub_i32 s3, 0, s2
	s_waitcnt vmcnt(0)
	v_sub_u32_e32 v3, 0, v97
	v_mul_lo_u32 v5, s3, v2
	v_mul_hi_u32 v5, v2, v5
	v_max_i32_e32 v3, v97, v3
	v_add_u32_e32 v2, v2, v5
	v_mul_hi_u32 v2, v3, v2
	v_mov_b32_e32 v23, s7
	v_mul_lo_u32 v5, v2, s2
	v_addc_co_u32_e32 v55, vcc, 0, v23, vcc
	v_sub_u32_e32 v3, v3, v5
	v_add_u32_e32 v5, 1, v2
	v_cmp_le_u32_e32 vcc, s2, v3
	v_cndmask_b32_e32 v2, v2, v5, vcc
	v_subrev_u32_e32 v5, s2, v3
	v_cndmask_b32_e32 v3, v3, v5, vcc
	v_lshrrev_b32_e32 v127, 3, v1
	v_xor_b32_e32 v1, s14, v97
	v_add_u32_e32 v5, 1, v2
	v_cmp_le_u32_e32 vcc, s2, v3
	v_ashrrev_i32_e32 v1, 31, v1
	v_cndmask_b32_e32 v2, v2, v5, vcc
	v_xor_b32_e32 v2, v2, v1
	v_sub_u32_e32 v1, v2, v1
	v_cmp_gt_i32_e64 s[2:3], s11, v1
	v_mul_lo_u32 v1, v1, s12
	v_ashrrev_i32_e32 v2, 31, v1
	v_add_co_u32_e32 v3, vcc, v1, v99
	s_mul_i32 s20, s18, s15
	v_addc_co_u32_e32 v5, vcc, 0, v2, vcc
	v_mad_u64_u32 v[2:3], s[22:23], v3, 36, s[6:7]
	s_movk_i32 s21, 0x90
	v_mad_i32_i24 v3, v5, 36, v3
	v_add_co_u32_e32 v56, vcc, s21, v2
	s_mul_hi_i32 s21, s20, 22
	s_mul_i32 s22, s20, 22
	v_lshrrev_b32_e32 v4, 2, v99
	v_addc_co_u32_e32 v57, vcc, 0, v3, vcc
	v_mov_b32_e32 v2, s22
	v_mov_b32_e32 v3, s21
	v_mad_u64_u32 v[2:3], s[22:23], v4, 22, v[2:3]
	v_mad_i64_i32 v[4:5], s[22:23], v6, 22, v[2:3]
	v_add_u32_e32 v129, v99, v1
	v_add_u32_e32 v131, v127, v1
	;; [unrolled: 1-line block ×3, first 2 shown]
	v_add_co_u32_e32 v1, vcc, v4, v101
	v_addc_co_u32_e32 v6, vcc, 0, v5, vcc
	v_mov_b32_e32 v136, s5
	v_add_co_u32_e32 v58, vcc, s4, v1
	v_addc_co_u32_e32 v1, vcc, v136, v6, vcc
	v_add_co_u32_e32 v60, vcc, s4, v4
	v_addc_co_u32_e32 v23, vcc, v136, v5, vcc
	v_mad_i64_i32 v[4:5], s[22:23], v7, 22, v[2:3]
	v_mov_b32_e32 v6, s5
	v_add_co_u32_e32 v4, vcc, s4, v4
	v_addc_co_u32_e32 v5, vcc, v5, v6, vcc
	v_add_co_u32_e32 v62, vcc, v4, v101
	v_addc_co_u32_e32 v25, vcc, 0, v5, vcc
	v_add_co_u32_e32 v64, vcc, 2, v4
	v_addc_co_u32_e32 v27, vcc, 0, v5, vcc
	v_mad_i64_i32 v[4:5], s[22:23], v8, 22, v[2:3]
	v_add_co_u32_e32 v4, vcc, s4, v4
	v_addc_co_u32_e32 v5, vcc, v5, v6, vcc
	v_add_co_u32_e32 v66, vcc, v4, v101
	v_addc_co_u32_e32 v29, vcc, 0, v5, vcc
	v_add_co_u32_e32 v68, vcc, 2, v4
	v_addc_co_u32_e32 v31, vcc, 0, v5, vcc
	v_mad_i64_i32 v[4:5], s[22:23], v9, 22, v[2:3]
	v_add_co_u32_e32 v4, vcc, s4, v4
	v_addc_co_u32_e32 v5, vcc, v5, v6, vcc
	v_add_co_u32_e32 v70, vcc, v4, v101
	v_addc_co_u32_e32 v33, vcc, 0, v5, vcc
	v_add_co_u32_e32 v72, vcc, 2, v4
	v_addc_co_u32_e32 v35, vcc, 0, v5, vcc
	v_mad_i64_i32 v[4:5], s[22:23], v10, 22, v[2:3]
	v_add_co_u32_e32 v4, vcc, s4, v4
	v_addc_co_u32_e32 v5, vcc, v5, v6, vcc
	v_add_co_u32_e32 v74, vcc, v4, v101
	v_addc_co_u32_e32 v37, vcc, 0, v5, vcc
	v_add_co_u32_e32 v76, vcc, 2, v4
	v_addc_co_u32_e32 v39, vcc, 0, v5, vcc
	v_mad_i64_i32 v[4:5], s[22:23], v11, 22, v[2:3]
	v_add_co_u32_e32 v4, vcc, s4, v4
	v_addc_co_u32_e32 v5, vcc, v5, v6, vcc
	v_add_co_u32_e32 v78, vcc, v4, v101
	v_addc_co_u32_e32 v41, vcc, 0, v5, vcc
	v_add_co_u32_e32 v80, vcc, 2, v4
	v_addc_co_u32_e32 v43, vcc, 0, v5, vcc
	v_mad_i64_i32 v[4:5], s[22:23], v12, 22, v[2:3]
	v_add_co_u32_e32 v4, vcc, s4, v4
	v_addc_co_u32_e32 v5, vcc, v5, v6, vcc
	v_add_co_u32_e32 v82, vcc, v4, v101
	v_addc_co_u32_e32 v45, vcc, 0, v5, vcc
	v_add_co_u32_e32 v84, vcc, 2, v4
	v_addc_co_u32_e32 v47, vcc, 0, v5, vcc
	v_mad_i64_i32 v[4:5], s[22:23], v13, 22, v[2:3]
	v_add_co_u32_e32 v4, vcc, s4, v4
	v_addc_co_u32_e32 v5, vcc, v5, v6, vcc
	v_add_co_u32_e32 v86, vcc, v4, v101
	v_addc_co_u32_e32 v49, vcc, 0, v5, vcc
	v_add_co_u32_e32 v88, vcc, 2, v4
	v_addc_co_u32_e32 v51, vcc, 0, v5, vcc
	v_mad_i64_i32 v[4:5], s[22:23], v14, 22, v[2:3]
	v_add_co_u32_e32 v4, vcc, s4, v4
	v_addc_co_u32_e32 v5, vcc, v5, v6, vcc
	v_add_co_u32_e32 v90, vcc, v4, v101
	v_addc_co_u32_e32 v53, vcc, 0, v5, vcc
	v_add_co_u32_e32 v92, vcc, 2, v4
	v_addc_co_u32_e32 v59, vcc, 0, v5, vcc
	v_mad_i64_i32 v[4:5], s[22:23], v15, 22, v[2:3]
	v_add_co_u32_e32 v4, vcc, s4, v4
	v_addc_co_u32_e32 v5, vcc, v5, v6, vcc
	v_add_co_u32_e32 v94, vcc, v4, v101
	v_addc_co_u32_e32 v61, vcc, 0, v5, vcc
	v_add_co_u32_e32 v96, vcc, 2, v4
	v_addc_co_u32_e32 v63, vcc, 0, v5, vcc
	v_mad_i64_i32 v[4:5], s[22:23], v16, 22, v[2:3]
	v_add_co_u32_e32 v4, vcc, s4, v4
	v_addc_co_u32_e32 v5, vcc, v5, v6, vcc
	v_add_co_u32_e32 v98, vcc, v4, v101
	v_addc_co_u32_e32 v65, vcc, 0, v5, vcc
	v_add_co_u32_e32 v100, vcc, 2, v4
	v_addc_co_u32_e32 v67, vcc, 0, v5, vcc
	v_mad_i64_i32 v[4:5], s[22:23], v17, 22, v[2:3]
	v_add_co_u32_e32 v4, vcc, s4, v4
	v_addc_co_u32_e32 v5, vcc, v5, v6, vcc
	v_add_co_u32_e32 v102, vcc, v4, v101
	v_addc_co_u32_e32 v69, vcc, 0, v5, vcc
	v_add_co_u32_e32 v104, vcc, 2, v4
	v_addc_co_u32_e32 v71, vcc, 0, v5, vcc
	v_mad_i64_i32 v[4:5], s[22:23], v18, 22, v[2:3]
	v_add_co_u32_e32 v4, vcc, s4, v4
	v_addc_co_u32_e32 v5, vcc, v5, v6, vcc
	v_add_co_u32_e32 v106, vcc, v4, v101
	v_addc_co_u32_e32 v73, vcc, 0, v5, vcc
	v_add_co_u32_e32 v108, vcc, 2, v4
	v_addc_co_u32_e32 v75, vcc, 0, v5, vcc
	v_mad_i64_i32 v[4:5], s[22:23], v19, 22, v[2:3]
	v_add_co_u32_e32 v4, vcc, s4, v4
	v_addc_co_u32_e32 v5, vcc, v5, v6, vcc
	v_add_co_u32_e32 v110, vcc, v4, v101
	v_addc_co_u32_e32 v77, vcc, 0, v5, vcc
	v_add_co_u32_e32 v112, vcc, 2, v4
	v_addc_co_u32_e32 v79, vcc, 0, v5, vcc
	v_mad_i64_i32 v[4:5], s[22:23], v20, 22, v[2:3]
	v_add_co_u32_e32 v4, vcc, s4, v4
	v_addc_co_u32_e32 v5, vcc, v5, v6, vcc
	v_add_co_u32_e32 v114, vcc, v4, v101
	v_addc_co_u32_e32 v81, vcc, 0, v5, vcc
	v_add_co_u32_e32 v116, vcc, 2, v4
	v_addc_co_u32_e32 v83, vcc, 0, v5, vcc
	v_mad_i64_i32 v[2:3], s[22:23], v21, 22, v[2:3]
	v_mov_b32_e32 v4, s5
	v_add_co_u32_e32 v2, vcc, s4, v2
	v_addc_co_u32_e32 v3, vcc, v3, v4, vcc
	v_add_co_u32_e32 v118, vcc, v2, v101
	v_addc_co_u32_e32 v85, vcc, 0, v3, vcc
	;; [unrolled: 2-line block ×3, first 2 shown]
	v_mad_i64_i32 v[2:3], s[22:23], v89, 22, 0
	v_mad_i64_i32 v[2:3], s[22:23], s20, 22, v[2:3]
	v_mad_u64_u32 v[2:3], s[22:23], v95, 22, v[2:3]
	v_add_co_u32_e32 v126, vcc, s4, v2
	v_addc_co_u32_e32 v89, vcc, v136, v3, vcc
	v_mad_i64_i32 v[2:3], s[22:23], v91, 22, 0
	v_mad_i64_i32 v[2:3], s[22:23], s20, 22, v[2:3]
	v_mad_u64_u32 v[2:3], s[22:23], v95, 22, v[2:3]
	v_add_co_u32_e32 v128, vcc, s4, v2
	v_addc_co_u32_e32 v91, vcc, v136, v3, vcc
	;; [unrolled: 5-line block ×3, first 2 shown]
	v_mad_i64_i32 v[2:3], s[22:23], v122, 22, 0
	v_mad_i64_i32 v[2:3], s[20:21], s20, 22, v[2:3]
	v_mad_u64_u32 v[2:3], s[20:21], v95, 22, v[2:3]
	v_add_co_u32_e32 v132, vcc, s4, v2
	v_mov_b32_e32 v122, 0
	s_ashr_i32 s19, s8, 31
	s_mov_b32 s10, 0
	v_cmp_gt_u32_e64 s[0:1], 4, v99
	v_mul_u32_u24_e32 v113, 0x104, v99
	v_addc_co_u32_e32 v95, vcc, v136, v3, vcc
	s_movk_i32 s20, 0x80
	s_movk_i32 s21, 0x1f00
	;; [unrolled: 1-line block ×4, first 2 shown]
	v_add_u32_e32 v136, v123, v124
	v_add_u32_e32 v137, v125, v134
	v_add_u32_e32 v138, v135, v138
	v_add_u32_e32 v139, v139, v140
	v_mov_b32_e32 v140, 8
	v_mov_b32_e32 v123, v122
	;; [unrolled: 1-line block ×4, first 2 shown]
	s_branch .LBB182_6
.LBB182_4:                              ;   in Loop: Header=BB182_6 Depth=1
	s_or_b64 exec, exec, s[4:5]
	s_waitcnt lgkmcnt(0)
	s_barrier
	ds_read_b128 v[2:5], v111
	ds_read2_b32 v[134:135], v113 offset0:32 offset1:33
	ds_read_b128 v[14:17], v109
	ds_read_b128 v[18:21], v109 offset:16
	ds_read_b128 v[6:9], v109 offset:32
	;; [unrolled: 1-line block ×3, first 2 shown]
	ds_read2_b32 v[142:143], v113 offset0:34 offset1:35
	v_mov_b32_e32 v141, 0
	s_waitcnt lgkmcnt(4)
	v_dot4c_i32_i8_e32 v141, v134, v14
	s_waitcnt lgkmcnt(3)
	v_dot4c_i32_i8_e32 v141, v135, v18
	ds_read2_b32 v[134:135], v113 offset0:36 offset1:37
	ds_read2_b32 v[144:145], v113 offset0:38 offset1:39
	;; [unrolled: 1-line block ×3, first 2 shown]
	s_waitcnt lgkmcnt(3)
	v_dot4c_i32_i8_e32 v141, v142, v15
	v_dot4c_i32_i8_e32 v141, v143, v19
	s_waitcnt lgkmcnt(2)
	v_dot4c_i32_i8_e32 v141, v134, v16
	v_add_u32_e32 v134, 0x2100, v113
	ds_read2_b32 v[142:143], v134 offset1:1
	v_mov_b32_e32 v156, 0
	v_dot4c_i32_i8_e32 v141, v135, v20
	ds_read2_b32 v[134:135], v121 offset0:6 offset1:7
	s_waitcnt lgkmcnt(3)
	v_dot4c_i32_i8_e32 v141, v144, v17
	s_waitcnt lgkmcnt(1)
	v_dot4c_i32_i8_e32 v156, v142, v14
	v_add_u32_e32 v142, 0x2108, v113
	v_dot4c_i32_i8_e32 v156, v143, v18
	ds_read2_b32 v[142:143], v142 offset1:1
	v_add_u32_e32 v144, 0x2110, v113
	v_add_u32_e32 v148, 0x2118, v113
	;; [unrolled: 1-line block ×3, first 2 shown]
	v_dot4c_i32_i8_e32 v141, v145, v21
	ds_read2_b32 v[144:145], v144 offset1:1
	ds_read2_b32 v[148:149], v148 offset1:1
	;; [unrolled: 1-line block ×3, first 2 shown]
	s_waitcnt lgkmcnt(3)
	v_dot4c_i32_i8_e32 v156, v142, v15
	v_dot4c_i32_i8_e32 v156, v143, v19
	s_waitcnt lgkmcnt(2)
	v_dot4c_i32_i8_e32 v156, v144, v16
	v_dot4c_i32_i8_e32 v156, v145, v20
	v_mov_b32_e32 v157, 0
	s_waitcnt lgkmcnt(1)
	v_dot4c_i32_i8_e32 v156, v148, v17
	s_waitcnt lgkmcnt(0)
	v_dot4c_i32_i8_e32 v157, v150, v14
	v_add_u32_e32 v142, 0x4188, v113
	v_add_u32_e32 v144, 0x4190, v113
	;; [unrolled: 1-line block ×4, first 2 shown]
	v_dot4c_i32_i8_e32 v156, v149, v21
	v_dot4c_i32_i8_e32 v157, v151, v18
	ds_read2_b32 v[142:143], v142 offset1:1
	ds_read2_b32 v[144:145], v144 offset1:1
	;; [unrolled: 1-line block ×4, first 2 shown]
	v_mov_b32_e32 v158, 0
	v_mov_b32_e32 v159, 0
	v_dot4c_i32_i8_e32 v159, v146, v6
	s_waitcnt lgkmcnt(3)
	v_dot4c_i32_i8_e32 v157, v142, v15
	s_waitcnt lgkmcnt(0)
	v_dot4c_i32_i8_e32 v158, v150, v14
	v_add_u32_e32 v14, 0x6208, v113
	v_dot4c_i32_i8_e32 v157, v143, v19
	ds_read2_b32 v[142:143], v14 offset1:1
	v_dot4c_i32_i8_e32 v157, v144, v16
	v_dot4c_i32_i8_e32 v157, v145, v20
	;; [unrolled: 1-line block ×4, first 2 shown]
	v_add_u32_e32 v18, 0x6210, v113
	v_add_u32_e32 v148, 0x6218, v113
	v_dot4c_i32_i8_e32 v157, v149, v21
	v_add_u32_e32 v14, 0x2120, v113
	ds_read2_b32 v[144:145], v18 offset1:1
	ds_read2_b32 v[148:149], v148 offset1:1
	;; [unrolled: 1-line block ×3, first 2 shown]
	s_waitcnt lgkmcnt(3)
	v_dot4c_i32_i8_e32 v158, v142, v15
	v_dot4c_i32_i8_e32 v158, v143, v19
	ds_read2_b32 v[14:15], v113 offset0:42 offset1:43
	s_waitcnt lgkmcnt(3)
	v_dot4c_i32_i8_e32 v158, v144, v16
	v_dot4c_i32_i8_e32 v158, v145, v20
	s_waitcnt lgkmcnt(2)
	v_dot4c_i32_i8_e32 v158, v148, v17
	v_dot4c_i32_i8_e32 v158, v149, v21
	;; [unrolled: 1-line block ×3, first 2 shown]
	ds_read2_b32 v[16:17], v113 offset0:44 offset1:45
	ds_read2_b32 v[18:19], v113 offset0:46 offset1:47
	;; [unrolled: 1-line block ×3, first 2 shown]
	s_waitcnt lgkmcnt(3)
	v_dot4c_i32_i8_e32 v159, v14, v7
	v_add_u32_e32 v14, 0x2128, v113
	v_dot4c_i32_i8_e32 v159, v15, v11
	ds_read2_b32 v[14:15], v14 offset1:1
	s_waitcnt lgkmcnt(3)
	v_dot4c_i32_i8_e32 v159, v16, v8
	v_dot4c_i32_i8_e32 v159, v17, v12
	v_mov_b32_e32 v160, 0
	s_waitcnt lgkmcnt(2)
	v_dot4c_i32_i8_e32 v159, v18, v9
	v_dot4c_i32_i8_e32 v160, v150, v6
	v_add_u32_e32 v16, 0x2130, v113
	v_add_u32_e32 v18, 0x2138, v113
	;; [unrolled: 1-line block ×3, first 2 shown]
	v_dot4c_i32_i8_e32 v159, v19, v13
	v_dot4c_i32_i8_e32 v160, v151, v10
	ds_read2_b32 v[16:17], v16 offset1:1
	ds_read2_b32 v[18:19], v18 offset1:1
	;; [unrolled: 1-line block ×3, first 2 shown]
	s_waitcnt lgkmcnt(3)
	v_dot4c_i32_i8_e32 v160, v14, v7
	v_dot4c_i32_i8_e32 v160, v15, v11
	s_waitcnt lgkmcnt(2)
	v_dot4c_i32_i8_e32 v160, v16, v8
	v_dot4c_i32_i8_e32 v160, v17, v12
	v_mov_b32_e32 v161, 0
	s_waitcnt lgkmcnt(1)
	v_dot4c_i32_i8_e32 v160, v18, v9
	s_waitcnt lgkmcnt(0)
	v_dot4c_i32_i8_e32 v161, v142, v6
	v_add_u32_e32 v14, 0x41a8, v113
	v_add_u32_e32 v16, 0x41b0, v113
	;; [unrolled: 1-line block ×4, first 2 shown]
	v_dot4c_i32_i8_e32 v160, v19, v13
	v_dot4c_i32_i8_e32 v161, v143, v10
	ds_read2_b32 v[14:15], v14 offset1:1
	ds_read2_b32 v[16:17], v16 offset1:1
	ds_read2_b32 v[18:19], v18 offset1:1
	ds_read2_b32 v[142:143], v142 offset1:1
	v_mov_b32_e32 v162, 0
	v_mov_b32_e32 v163, 0
	;; [unrolled: 1-line block ×3, first 2 shown]
	s_waitcnt lgkmcnt(3)
	v_dot4c_i32_i8_e32 v161, v14, v7
	s_waitcnt lgkmcnt(0)
	v_dot4c_i32_i8_e32 v162, v142, v6
	v_add_u32_e32 v6, 0x6228, v113
	v_dot4c_i32_i8_e32 v161, v15, v11
	ds_read2_b32 v[14:15], v6 offset1:1
	v_dot4c_i32_i8_e32 v161, v16, v8
	v_dot4c_i32_i8_e32 v161, v17, v12
	;; [unrolled: 1-line block ×4, first 2 shown]
	v_add_u32_e32 v10, 0x6230, v113
	v_add_u32_e32 v18, 0x6238, v113
	v_dot4c_i32_i8_e32 v161, v19, v13
	v_add_u32_e32 v6, 0x2140, v113
	ds_read2_b32 v[16:17], v10 offset1:1
	ds_read2_b32 v[18:19], v18 offset1:1
	;; [unrolled: 1-line block ×3, first 2 shown]
	s_waitcnt lgkmcnt(3)
	v_dot4c_i32_i8_e32 v162, v14, v7
	v_dot4c_i32_i8_e32 v162, v15, v11
	s_waitcnt lgkmcnt(2)
	v_dot4c_i32_i8_e32 v162, v16, v8
	v_dot4c_i32_i8_e32 v162, v17, v12
	;; [unrolled: 3-line block ×3, first 2 shown]
	ds_read_b128 v[8:11], v109 offset:64
	ds_read_b128 v[12:15], v109 offset:80
	ds_read2_b32 v[6:7], v119 offset0:4 offset1:5
	ds_read2_b32 v[144:145], v117 offset0:6 offset1:7
	;; [unrolled: 1-line block ×5, first 2 shown]
	s_waitcnt lgkmcnt(6)
	v_dot4c_i32_i8_e32 v163, v20, v8
	s_waitcnt lgkmcnt(5)
	v_dot4c_i32_i8_e32 v163, v21, v12
	ds_read2_b32 v[18:19], v113 offset0:52 offset1:53
	ds_read2_b32 v[20:21], v113 offset0:54 offset1:55
	;; [unrolled: 1-line block ×3, first 2 shown]
	v_dot4c_i32_i8_e32 v164, v142, v8
	s_waitcnt lgkmcnt(3)
	v_dot4c_i32_i8_e32 v163, v16, v9
	v_add_u32_e32 v16, 0x2148, v113
	v_dot4c_i32_i8_e32 v163, v17, v13
	ds_read2_b32 v[16:17], v16 offset1:1
	s_waitcnt lgkmcnt(3)
	v_dot4c_i32_i8_e32 v163, v18, v10
	v_dot4c_i32_i8_e32 v163, v19, v14
	s_waitcnt lgkmcnt(2)
	v_dot4c_i32_i8_e32 v163, v20, v11
	v_add_u32_e32 v18, 0x2150, v113
	v_add_u32_e32 v20, 0x2158, v113
	;; [unrolled: 1-line block ×3, first 2 shown]
	v_dot4c_i32_i8_e32 v163, v21, v15
	v_dot4c_i32_i8_e32 v164, v143, v12
	ds_read2_b32 v[18:19], v18 offset1:1
	ds_read2_b32 v[20:21], v20 offset1:1
	;; [unrolled: 1-line block ×3, first 2 shown]
	s_waitcnt lgkmcnt(3)
	v_dot4c_i32_i8_e32 v164, v16, v9
	v_dot4c_i32_i8_e32 v164, v17, v13
	s_waitcnt lgkmcnt(2)
	v_dot4c_i32_i8_e32 v164, v18, v10
	v_dot4c_i32_i8_e32 v164, v19, v14
	v_mov_b32_e32 v165, 0
	s_waitcnt lgkmcnt(1)
	v_dot4c_i32_i8_e32 v164, v20, v11
	s_waitcnt lgkmcnt(0)
	v_dot4c_i32_i8_e32 v165, v142, v8
	v_add_u32_e32 v16, 0x41c8, v113
	v_add_u32_e32 v18, 0x41d0, v113
	;; [unrolled: 1-line block ×4, first 2 shown]
	v_dot4c_i32_i8_e32 v164, v21, v15
	ds_read2_b32 v[20:21], v121 offset0:4 offset1:5
	ds_read2_b32 v[152:153], v119 offset0:6 offset1:7
	v_dot4c_i32_i8_e32 v165, v143, v12
	ds_read2_b32 v[16:17], v16 offset1:1
	ds_read2_b32 v[18:19], v18 offset1:1
	;; [unrolled: 1-line block ×4, first 2 shown]
	v_mov_b32_e32 v166, 0
	v_mov_b32_e32 v167, 0
	;; [unrolled: 1-line block ×3, first 2 shown]
	s_waitcnt lgkmcnt(3)
	v_dot4c_i32_i8_e32 v165, v16, v9
	s_waitcnt lgkmcnt(0)
	v_dot4c_i32_i8_e32 v166, v154, v8
	v_add_u32_e32 v8, 0x6248, v113
	v_dot4c_i32_i8_e32 v165, v17, v13
	ds_read2_b32 v[16:17], v8 offset1:1
	v_dot4c_i32_i8_e32 v165, v18, v10
	v_dot4c_i32_i8_e32 v165, v19, v14
	v_dot4c_i32_i8_e32 v165, v142, v11
	v_dot4c_i32_i8_e32 v166, v155, v12
	v_add_u32_e32 v12, 0x6250, v113
	v_add_u32_e32 v142, 0x6258, v113
	v_dot4c_i32_i8_e32 v165, v143, v15
	v_add_u32_e32 v8, 0x2160, v113
	ds_read2_b32 v[18:19], v12 offset1:1
	ds_read2_b32 v[142:143], v142 offset1:1
	;; [unrolled: 1-line block ×3, first 2 shown]
	s_waitcnt lgkmcnt(3)
	v_dot4c_i32_i8_e32 v166, v16, v9
	v_dot4c_i32_i8_e32 v166, v17, v13
	s_waitcnt lgkmcnt(2)
	v_dot4c_i32_i8_e32 v166, v18, v10
	v_dot4c_i32_i8_e32 v166, v19, v14
	ds_read_b128 v[16:19], v109 offset:96
	s_waitcnt lgkmcnt(2)
	v_dot4c_i32_i8_e32 v166, v142, v11
	ds_read_b128 v[8:11], v109 offset:112
	ds_read2_b32 v[12:13], v113 offset0:58 offset1:59
	v_dot4c_i32_i8_e32 v166, v143, v15
	s_waitcnt lgkmcnt(2)
	v_dot4c_i32_i8_e32 v167, v150, v16
	v_dot4c_i32_i8_e32 v168, v154, v16
	s_waitcnt lgkmcnt(1)
	v_dot4c_i32_i8_e32 v167, v151, v8
	ds_read2_b32 v[14:15], v113 offset0:60 offset1:61
	ds_read2_b32 v[142:143], v115 offset0:4 offset1:5
	;; [unrolled: 1-line block ×3, first 2 shown]
	s_waitcnt lgkmcnt(3)
	v_dot4c_i32_i8_e32 v167, v12, v17
	v_add_u32_e32 v12, 0x2168, v113
	v_dot4c_i32_i8_e32 v167, v13, v9
	ds_read2_b32 v[12:13], v12 offset1:1
	s_waitcnt lgkmcnt(3)
	v_dot4c_i32_i8_e32 v167, v14, v18
	v_dot4c_i32_i8_e32 v167, v15, v10
	s_waitcnt lgkmcnt(1)
	v_dot4c_i32_i8_e32 v167, v150, v19
	v_add_u32_e32 v14, 0x2170, v113
	v_add_u32_e32 v150, 0x2178, v113
	;; [unrolled: 1-line block ×3, first 2 shown]
	v_dot4c_i32_i8_e32 v167, v151, v11
	v_dot4c_i32_i8_e32 v168, v155, v8
	ds_read2_b32 v[14:15], v14 offset1:1
	ds_read2_b32 v[150:151], v150 offset1:1
	;; [unrolled: 1-line block ×3, first 2 shown]
	s_waitcnt lgkmcnt(3)
	v_dot4c_i32_i8_e32 v168, v12, v17
	v_dot4c_i32_i8_e32 v168, v13, v9
	s_waitcnt lgkmcnt(2)
	v_dot4c_i32_i8_e32 v168, v14, v18
	v_dot4c_i32_i8_e32 v168, v15, v10
	s_waitcnt lgkmcnt(1)
	v_dot4c_i32_i8_e32 v168, v150, v19
	v_cvt_f32_i32_e32 v15, v156
	v_cvt_f32_i32_e32 v14, v141
	v_dot4c_i32_i8_e32 v168, v151, v11
	v_cvt_f32_i32_e32 v151, v160
	v_cvt_f32_i32_e32 v150, v159
	v_mov_b32_e32 v12, v142
	v_mov_b32_e32 v13, v146
	v_pk_mul_f32 v[12:13], v[2:3], v[12:13] op_sel_hi:[0,1]
	v_mov_b32_e32 v146, v143
	v_pk_fma_f32 v[12:13], v[12:13], v[14:15], v[122:123]
	v_pk_mul_f32 v[14:15], v[2:3], v[146:147] op_sel:[1,0]
	v_pk_fma_f32 v[12:13], v[14:15], v[150:151], v[12:13]
	v_cvt_f32_i32_e32 v15, v164
	v_cvt_f32_i32_e32 v14, v163
	v_mov_b32_e32 v122, v148
	v_mov_b32_e32 v123, v144
	v_pk_mul_f32 v[122:123], v[4:5], v[122:123] op_sel_hi:[0,1]
	v_pk_fma_f32 v[12:13], v[122:123], v[14:15], v[12:13]
	v_cvt_f32_i32_e32 v15, v168
	v_cvt_f32_i32_e32 v14, v167
	v_mov_b32_e32 v142, v5
	v_mov_b32_e32 v144, v149
	v_pk_mul_f32 v[122:123], v[142:143], v[144:145] op_sel_hi:[0,1]
	v_add_u32_e32 v5, 0x41e8, v113
	v_pk_fma_f32 v[122:123], v[122:123], v[14:15], v[12:13]
	ds_read2_b32 v[12:13], v5 offset1:1
	v_mov_b32_e32 v141, 0
	s_waitcnt lgkmcnt(1)
	v_dot4c_i32_i8_e32 v141, v154, v16
	v_add_u32_e32 v14, 0x41f0, v113
	v_dot4c_i32_i8_e32 v141, v155, v8
	v_add_u32_e32 v143, 0x41f8, v113
	v_add_u32_e32 v5, 0x6260, v113
	ds_read2_b32 v[14:15], v14 offset1:1
	ds_read2_b32 v[144:145], v143 offset1:1
	;; [unrolled: 1-line block ×3, first 2 shown]
	s_waitcnt lgkmcnt(3)
	v_dot4c_i32_i8_e32 v141, v12, v17
	v_add_u32_e32 v5, 0x6268, v113
	v_dot4c_i32_i8_e32 v141, v13, v9
	ds_read2_b32 v[12:13], v5 offset1:1
	s_waitcnt lgkmcnt(3)
	v_dot4c_i32_i8_e32 v141, v14, v18
	v_add_u32_e32 v5, 0x6270, v113
	v_dot4c_i32_i8_e32 v141, v15, v10
	v_mov_b32_e32 v143, 0
	ds_read2_b32 v[14:15], v5 offset1:1
	s_waitcnt lgkmcnt(3)
	v_dot4c_i32_i8_e32 v141, v144, v19
	s_waitcnt lgkmcnt(2)
	v_dot4c_i32_i8_e32 v143, v146, v16
	v_add_u32_e32 v5, 0x6278, v113
	v_dot4c_i32_i8_e32 v141, v145, v11
	v_dot4c_i32_i8_e32 v143, v147, v8
	ds_read2_b32 v[144:145], v5 offset1:1
	s_waitcnt lgkmcnt(2)
	v_dot4c_i32_i8_e32 v143, v12, v17
	v_dot4c_i32_i8_e32 v143, v13, v9
	s_waitcnt lgkmcnt(1)
	v_dot4c_i32_i8_e32 v143, v14, v18
	v_dot4c_i32_i8_e32 v143, v15, v10
	;; [unrolled: 3-line block ×3, first 2 shown]
	v_cvt_f32_i32_e32 v11, v158
	v_cvt_f32_i32_e32 v10, v157
	;; [unrolled: 1-line block ×4, first 2 shown]
	v_mov_b32_e32 v8, v6
	v_mov_b32_e32 v9, v20
	v_pk_mul_f32 v[8:9], v[2:3], v[8:9] op_sel_hi:[0,1]
	v_mov_b32_e32 v20, v7
	v_pk_fma_f32 v[8:9], v[8:9], v[10:11], v[124:125]
	v_pk_mul_f32 v[2:3], v[2:3], v[20:21] op_sel:[1,0]
	v_pk_fma_f32 v[2:3], v[2:3], v[12:13], v[8:9]
	v_mov_b32_e32 v6, v152
	v_mov_b32_e32 v7, v134
	v_cvt_f32_i32_e32 v9, v166
	v_cvt_f32_i32_e32 v8, v165
	v_pk_mul_f32 v[4:5], v[4:5], v[6:7] op_sel_hi:[0,1]
	v_cvt_f32_i32_e32 v7, v143
	v_cvt_f32_i32_e32 v6, v141
	v_mov_b32_e32 v134, v153
	v_pk_fma_f32 v[2:3], v[4:5], v[8:9], v[2:3]
	v_pk_mul_f32 v[4:5], v[142:143], v[134:135] op_sel_hi:[0,1]
	v_pk_fma_f32 v[124:125], v[4:5], v[6:7], v[2:3]
	s_barrier
.LBB182_5:                              ;   in Loop: Header=BB182_6 Depth=1
	v_add_co_u32_e32 v56, vcc, 0x120, v56
	v_addc_co_u32_e32 v57, vcc, 0, v57, vcc
	v_add_co_u32_e32 v58, vcc, 0xb0, v58
	v_addc_co_u32_e32 v1, vcc, 0, v1, vcc
	;; [unrolled: 2-line block ×36, first 2 shown]
	s_add_i32 s10, s10, 8
	s_addk_i32 s20, 0x100
	v_add_co_u32_e32 v132, vcc, 0xb0, v132
	s_cmp_ge_i32 s10, s18
	v_addc_co_u32_e32 v95, vcc, 0, v95, vcc
	s_cbranch_scc1 .LBB182_19
.LBB182_6:                              ; =>This Inner Loop Header: Depth=1
	v_mov_b32_e32 v2, s19
	v_add_co_u32_e32 v4, vcc, s8, v58
	v_addc_co_u32_e32 v5, vcc, v1, v2, vcc
	global_load_dword v3, v[4:5], off offset:6
	v_add_co_u32_e32 v4, vcc, s8, v60
	v_addc_co_u32_e32 v5, vcc, v23, v2, vcc
	global_load_dword v8, v[4:5], off offset:2
	v_add_co_u32_e32 v4, vcc, s8, v62
	v_addc_co_u32_e32 v5, vcc, v25, v2, vcc
	v_add_co_u32_e32 v6, vcc, s8, v64
	v_addc_co_u32_e32 v7, vcc, v27, v2, vcc
	global_load_dword v9, v[6:7], off
	global_load_dword v10, v[4:5], off offset:6
	v_add_co_u32_e32 v4, vcc, s8, v66
	v_addc_co_u32_e32 v5, vcc, v29, v2, vcc
	v_add_co_u32_e32 v6, vcc, s8, v68
	v_addc_co_u32_e32 v7, vcc, v31, v2, vcc
	global_load_dword v11, v[4:5], off offset:6
	global_load_dword v12, v[6:7], off
	s_add_i32 s4, s20, 0xffffff80
	s_cmp_lt_i32 s4, s9
	s_waitcnt vmcnt(5)
	v_and_b32_e32 v5, 0xf0f0f0f, v3
	v_lshrrev_b32_e32 v3, 4, v3
	v_and_b32_e32 v3, 0xf0f0f0f, v3
	s_waitcnt vmcnt(4)
	v_ashrrev_i32_e32 v4, v101, v8
	v_lshlrev_b32_e32 v7, 4, v4
	v_lshlrev_b32_e32 v13, 18, v4
	;; [unrolled: 1-line block ×3, first 2 shown]
	v_lshrrev_b32_e32 v15, 12, v4
	v_lshrrev_b32_e32 v16, 5, v4
	v_lshlrev_b32_e32 v17, 2, v4
	v_and_b32_e32 v7, 16, v7
	s_waitcnt vmcnt(3)
	v_ashrrev_i32_e32 v8, v101, v9
	v_lshlrev_b32_e32 v9, 11, v4
	v_lshlrev_b32_e32 v4, 9, v4
	v_and_b32_e32 v9, 0x1000, v9
	v_and_b32_e32 v13, 0x100000, v13
	;; [unrolled: 1-line block ×6, first 2 shown]
	v_lshlrev_b32_e32 v18, 4, v8
	v_lshlrev_b32_e32 v19, 11, v8
	v_and_b32_e32 v4, 0x10000000, v4
	v_or3_b32 v7, v7, v5, v9
	v_or3_b32 v5, v5, v13, v14
	;; [unrolled: 1-line block ×3, first 2 shown]
	s_waitcnt vmcnt(2)
	v_and_b32_e32 v6, 0xf0f0f0f, v10
	v_and_b32_e32 v18, 16, v18
	;; [unrolled: 1-line block ×4, first 2 shown]
	v_lshlrev_b16_e32 v7, 8, v7
	v_and_b32_sdwa v15, v5, s21 dst_sel:DWORD dst_unused:UNUSED_PAD src0_sel:WORD_1 src1_sel:DWORD
	v_lshlrev_b16_sdwa v5, v140, v5 dst_sel:DWORD dst_unused:UNUSED_PAD src0_sel:DWORD src1_sel:WORD_1
	v_or3_b32 v3, v9, v4, v3
	v_or3_b32 v13, v18, v6, v19
	v_add_u16_e32 v7, 0xf000, v7
	v_add_u16_e32 v5, 0xf000, v5
	v_lshlrev_b16_e32 v16, 8, v3
	v_and_b32_sdwa v17, v3, s23 dst_sel:DWORD dst_unused:UNUSED_PAD src0_sel:WORD_1 src1_sel:DWORD
	v_and_b32_e32 v4, 0x1f00, v13
	v_lshlrev_b16_e32 v9, 8, v13
	v_and_b32_e32 v13, 0x1f00, v3
	v_lshlrev_b16_sdwa v3, v140, v3 dst_sel:DWORD dst_unused:UNUSED_PAD src0_sel:DWORD src1_sel:WORD_1
	v_or_b32_sdwa v7, v14, v7 dst_sel:DWORD dst_unused:UNUSED_PAD src0_sel:DWORD src1_sel:BYTE_1
	v_or_b32_sdwa v5, v15, v5 dst_sel:DWORD dst_unused:UNUSED_PAD src0_sel:DWORD src1_sel:BYTE_1
	v_add_i16 v14, v16, s22 clamp
	v_add_i16 v15, v17, s22 clamp
	v_lshlrev_b32_e32 v20, 18, v8
	v_lshlrev_b32_e32 v21, 25, v8
	v_add_i16 v3, v3, s22 clamp
	v_add_u16_e32 v7, 0xf000, v7
	v_add_u16_sdwa v5, v5, s22 dst_sel:WORD_1 dst_unused:UNUSED_PAD src0_sel:DWORD src1_sel:DWORD
	v_or_b32_sdwa v13, v13, v14 dst_sel:DWORD dst_unused:UNUSED_PAD src0_sel:DWORD src1_sel:BYTE_1
	v_and_b32_e32 v14, 0xffffff00, v15
	v_and_b32_e32 v20, 0x100000, v20
	;; [unrolled: 1-line block ×3, first 2 shown]
	v_or_b32_e32 v5, v7, v5
	v_add_u16_e32 v7, 0xf000, v13
	v_or_b32_sdwa v3, v3, v14 dst_sel:WORD_1 dst_unused:UNUSED_PAD src0_sel:BYTE_1 src1_sel:DWORD
	v_or3_b32 v6, v6, v20, v21
	v_or_b32_e32 v3, v7, v3
	ds_write2_b32 v22, v5, v3 offset1:1
	v_add_u16_e32 v3, 0xf000, v9
	v_lshlrev_b16_sdwa v5, v140, v6 dst_sel:DWORD dst_unused:UNUSED_PAD src0_sel:DWORD src1_sel:WORD_1
	v_or_b32_sdwa v3, v4, v3 dst_sel:DWORD dst_unused:UNUSED_PAD src0_sel:DWORD src1_sel:BYTE_1
	v_and_b32_sdwa v4, v6, s21 dst_sel:DWORD dst_unused:UNUSED_PAD src0_sel:WORD_1 src1_sel:DWORD
	v_add_u16_e32 v5, 0xf000, v5
	v_or_b32_sdwa v4, v4, v5 dst_sel:DWORD dst_unused:UNUSED_PAD src0_sel:DWORD src1_sel:BYTE_1
	v_add_u16_e32 v3, 0xf000, v3
	v_add_u16_sdwa v4, v4, s22 dst_sel:WORD_1 dst_unused:UNUSED_PAD src0_sel:DWORD src1_sel:DWORD
	v_or_b32_e32 v3, v3, v4
	v_lshrrev_b32_e32 v4, 4, v10
	v_and_b32_e32 v9, 0xf0f0f0f, v4
	v_lshrrev_b32_e32 v4, 12, v8
	v_and_b32_e32 v10, 16, v4
	v_add_co_u32_e32 v4, vcc, s8, v70
	v_addc_co_u32_e32 v5, vcc, v33, v2, vcc
	v_add_co_u32_e32 v6, vcc, s8, v72
	v_addc_co_u32_e32 v7, vcc, v35, v2, vcc
	v_lshrrev_b32_e32 v13, 5, v8
	global_load_dword v14, v[6:7], off
	global_load_dword v15, v[4:5], off offset:6
	v_lshlrev_b32_e32 v5, 2, v8
	v_and_b32_e32 v4, 0x1000, v13
	v_and_b32_e32 v5, 0x100000, v5
	v_lshlrev_b32_e32 v6, 9, v8
	v_and_b32_e32 v6, 0x10000000, v6
	v_or3_b32 v4, v4, v10, v5
	v_or3_b32 v4, v4, v6, v9
	v_lshlrev_b16_e32 v6, 8, v4
	v_and_b32_e32 v5, 0x1f00, v4
	v_add_i16 v6, v6, s22 clamp
	v_or_b32_sdwa v5, v5, v6 dst_sel:DWORD dst_unused:UNUSED_PAD src0_sel:DWORD src1_sel:BYTE_1
	v_and_b32_sdwa v6, v4, s23 dst_sel:DWORD dst_unused:UNUSED_PAD src0_sel:WORD_1 src1_sel:DWORD
	v_add_i16 v6, v6, s22 clamp
	v_lshlrev_b16_sdwa v4, v140, v4 dst_sel:DWORD dst_unused:UNUSED_PAD src0_sel:DWORD src1_sel:WORD_1
	v_and_b32_e32 v6, 0xffffff00, v6
	v_add_i16 v4, v4, s22 clamp
	v_add_u16_e32 v5, 0xf000, v5
	v_or_b32_sdwa v4, v4, v6 dst_sel:WORD_1 dst_unused:UNUSED_PAD src0_sel:BYTE_1 src1_sel:DWORD
	v_or_b32_e32 v4, v5, v4
	ds_write2_b32 v24, v3, v4 offset1:1
	s_waitcnt vmcnt(2)
	v_ashrrev_i32_e32 v3, v101, v12
	v_lshlrev_b32_e32 v5, 4, v3
	v_lshlrev_b32_e32 v6, 11, v3
	v_and_b32_e32 v4, 0xf0f0f0f, v11
	v_and_b32_e32 v5, 16, v5
	v_and_b32_e32 v6, 0x1000, v6
	v_or3_b32 v5, v5, v4, v6
	v_lshlrev_b32_e32 v6, 18, v3
	v_lshlrev_b32_e32 v7, 25, v3
	v_and_b32_e32 v6, 0x100000, v6
	v_and_b32_e32 v7, 0x10000000, v7
	v_or3_b32 v4, v4, v6, v7
	v_and_b32_e32 v6, 0x1f00, v5
	v_lshlrev_b16_e32 v5, 8, v5
	v_add_u16_e32 v5, 0xf000, v5
	v_or_b32_sdwa v5, v6, v5 dst_sel:DWORD dst_unused:UNUSED_PAD src0_sel:DWORD src1_sel:BYTE_1
	v_and_b32_sdwa v6, v4, s21 dst_sel:DWORD dst_unused:UNUSED_PAD src0_sel:WORD_1 src1_sel:DWORD
	v_lshlrev_b16_sdwa v4, v140, v4 dst_sel:DWORD dst_unused:UNUSED_PAD src0_sel:DWORD src1_sel:WORD_1
	v_add_u16_e32 v4, 0xf000, v4
	v_or_b32_sdwa v4, v6, v4 dst_sel:DWORD dst_unused:UNUSED_PAD src0_sel:DWORD src1_sel:BYTE_1
	v_add_u16_e32 v5, 0xf000, v5
	v_add_u16_sdwa v4, v4, s22 dst_sel:WORD_1 dst_unused:UNUSED_PAD src0_sel:DWORD src1_sel:DWORD
	v_or_b32_e32 v8, v5, v4
	v_lshrrev_b32_e32 v4, 4, v11
	v_and_b32_e32 v9, 0xf0f0f0f, v4
	v_lshrrev_b32_e32 v4, 12, v3
	v_and_b32_e32 v10, 16, v4
	v_add_co_u32_e32 v4, vcc, s8, v74
	v_addc_co_u32_e32 v5, vcc, v37, v2, vcc
	v_add_co_u32_e32 v6, vcc, s8, v76
	v_addc_co_u32_e32 v7, vcc, v39, v2, vcc
	global_load_dword v12, v[6:7], off
	global_load_dword v13, v[4:5], off offset:6
	v_lshrrev_b32_e32 v11, 5, v3
	v_lshlrev_b32_e32 v5, 2, v3
	v_and_b32_e32 v4, 0x1000, v11
	v_and_b32_e32 v5, 0x100000, v5
	v_lshlrev_b32_e32 v3, 9, v3
	v_and_b32_e32 v3, 0x10000000, v3
	v_or3_b32 v4, v4, v10, v5
	v_or3_b32 v3, v4, v3, v9
	v_lshlrev_b16_e32 v5, 8, v3
	v_and_b32_e32 v4, 0x1f00, v3
	v_add_i16 v5, v5, s22 clamp
	v_or_b32_sdwa v4, v4, v5 dst_sel:DWORD dst_unused:UNUSED_PAD src0_sel:DWORD src1_sel:BYTE_1
	v_and_b32_sdwa v5, v3, s23 dst_sel:DWORD dst_unused:UNUSED_PAD src0_sel:WORD_1 src1_sel:DWORD
	v_add_i16 v5, v5, s22 clamp
	v_lshlrev_b16_sdwa v3, v140, v3 dst_sel:DWORD dst_unused:UNUSED_PAD src0_sel:DWORD src1_sel:WORD_1
	v_and_b32_e32 v5, 0xffffff00, v5
	v_add_i16 v3, v3, s22 clamp
	v_add_u16_e32 v4, 0xf000, v4
	v_or_b32_sdwa v3, v3, v5 dst_sel:WORD_1 dst_unused:UNUSED_PAD src0_sel:BYTE_1 src1_sel:DWORD
	v_or_b32_e32 v3, v4, v3
	ds_write2_b32 v26, v8, v3 offset1:1
	s_waitcnt vmcnt(3)
	v_ashrrev_i32_e32 v3, v101, v14
	v_lshlrev_b32_e32 v5, 4, v3
	v_lshlrev_b32_e32 v6, 11, v3
	s_waitcnt vmcnt(2)
	v_and_b32_e32 v4, 0xf0f0f0f, v15
	v_and_b32_e32 v5, 16, v5
	;; [unrolled: 1-line block ×3, first 2 shown]
	v_or3_b32 v5, v5, v4, v6
	v_lshlrev_b32_e32 v6, 18, v3
	v_lshlrev_b32_e32 v7, 25, v3
	v_and_b32_e32 v6, 0x100000, v6
	v_and_b32_e32 v7, 0x10000000, v7
	v_or3_b32 v4, v4, v6, v7
	v_and_b32_e32 v6, 0x1f00, v5
	v_lshlrev_b16_e32 v5, 8, v5
	v_add_u16_e32 v5, 0xf000, v5
	v_or_b32_sdwa v5, v6, v5 dst_sel:DWORD dst_unused:UNUSED_PAD src0_sel:DWORD src1_sel:BYTE_1
	v_and_b32_sdwa v6, v4, s21 dst_sel:DWORD dst_unused:UNUSED_PAD src0_sel:WORD_1 src1_sel:DWORD
	v_lshlrev_b16_sdwa v4, v140, v4 dst_sel:DWORD dst_unused:UNUSED_PAD src0_sel:DWORD src1_sel:WORD_1
	v_add_u16_e32 v4, 0xf000, v4
	v_or_b32_sdwa v4, v6, v4 dst_sel:DWORD dst_unused:UNUSED_PAD src0_sel:DWORD src1_sel:BYTE_1
	v_add_u16_e32 v5, 0xf000, v5
	v_add_u16_sdwa v4, v4, s22 dst_sel:WORD_1 dst_unused:UNUSED_PAD src0_sel:DWORD src1_sel:DWORD
	v_or_b32_e32 v8, v5, v4
	v_lshrrev_b32_e32 v4, 4, v15
	v_and_b32_e32 v9, 0xf0f0f0f, v4
	v_lshrrev_b32_e32 v4, 12, v3
	v_and_b32_e32 v10, 16, v4
	v_add_co_u32_e32 v4, vcc, s8, v78
	v_addc_co_u32_e32 v5, vcc, v41, v2, vcc
	v_add_co_u32_e32 v6, vcc, s8, v80
	v_addc_co_u32_e32 v7, vcc, v43, v2, vcc
	v_lshrrev_b32_e32 v11, 5, v3
	global_load_dword v14, v[6:7], off
	global_load_dword v15, v[4:5], off offset:6
	v_lshlrev_b32_e32 v5, 2, v3
	v_and_b32_e32 v4, 0x1000, v11
	v_and_b32_e32 v5, 0x100000, v5
	v_lshlrev_b32_e32 v3, 9, v3
	v_and_b32_e32 v3, 0x10000000, v3
	v_or3_b32 v4, v4, v10, v5
	v_or3_b32 v3, v4, v3, v9
	v_lshlrev_b16_e32 v5, 8, v3
	v_and_b32_e32 v4, 0x1f00, v3
	v_add_i16 v5, v5, s22 clamp
	v_or_b32_sdwa v4, v4, v5 dst_sel:DWORD dst_unused:UNUSED_PAD src0_sel:DWORD src1_sel:BYTE_1
	v_and_b32_sdwa v5, v3, s23 dst_sel:DWORD dst_unused:UNUSED_PAD src0_sel:WORD_1 src1_sel:DWORD
	v_add_i16 v5, v5, s22 clamp
	v_lshlrev_b16_sdwa v3, v140, v3 dst_sel:DWORD dst_unused:UNUSED_PAD src0_sel:DWORD src1_sel:WORD_1
	v_and_b32_e32 v5, 0xffffff00, v5
	v_add_i16 v3, v3, s22 clamp
	v_add_u16_e32 v4, 0xf000, v4
	v_or_b32_sdwa v3, v3, v5 dst_sel:WORD_1 dst_unused:UNUSED_PAD src0_sel:BYTE_1 src1_sel:DWORD
	v_or_b32_e32 v3, v4, v3
	ds_write2_b32 v28, v8, v3 offset1:1
	s_waitcnt vmcnt(3)
	v_ashrrev_i32_e32 v3, v101, v12
	v_lshlrev_b32_e32 v5, 4, v3
	v_lshlrev_b32_e32 v6, 11, v3
	s_waitcnt vmcnt(2)
	v_and_b32_e32 v4, 0xf0f0f0f, v13
	v_and_b32_e32 v5, 16, v5
	;; [unrolled: 1-line block ×3, first 2 shown]
	v_or3_b32 v5, v5, v4, v6
	v_lshlrev_b32_e32 v6, 18, v3
	v_lshlrev_b32_e32 v7, 25, v3
	v_and_b32_e32 v6, 0x100000, v6
	v_and_b32_e32 v7, 0x10000000, v7
	v_or3_b32 v4, v4, v6, v7
	v_and_b32_e32 v6, 0x1f00, v5
	v_lshlrev_b16_e32 v5, 8, v5
	v_add_u16_e32 v5, 0xf000, v5
	v_or_b32_sdwa v5, v6, v5 dst_sel:DWORD dst_unused:UNUSED_PAD src0_sel:DWORD src1_sel:BYTE_1
	v_and_b32_sdwa v6, v4, s21 dst_sel:DWORD dst_unused:UNUSED_PAD src0_sel:WORD_1 src1_sel:DWORD
	v_lshlrev_b16_sdwa v4, v140, v4 dst_sel:DWORD dst_unused:UNUSED_PAD src0_sel:DWORD src1_sel:WORD_1
	v_add_u16_e32 v4, 0xf000, v4
	v_or_b32_sdwa v4, v6, v4 dst_sel:DWORD dst_unused:UNUSED_PAD src0_sel:DWORD src1_sel:BYTE_1
	v_add_u16_e32 v5, 0xf000, v5
	v_add_u16_sdwa v4, v4, s22 dst_sel:WORD_1 dst_unused:UNUSED_PAD src0_sel:DWORD src1_sel:DWORD
	v_or_b32_e32 v8, v5, v4
	v_lshrrev_b32_e32 v4, 4, v13
	v_and_b32_e32 v9, 0xf0f0f0f, v4
	v_lshrrev_b32_e32 v4, 12, v3
	v_and_b32_e32 v10, 16, v4
	v_add_co_u32_e32 v4, vcc, s8, v82
	v_addc_co_u32_e32 v5, vcc, v45, v2, vcc
	v_add_co_u32_e32 v6, vcc, s8, v84
	v_addc_co_u32_e32 v7, vcc, v47, v2, vcc
	global_load_dword v12, v[6:7], off
	global_load_dword v13, v[4:5], off offset:6
	v_lshrrev_b32_e32 v11, 5, v3
	v_lshlrev_b32_e32 v5, 2, v3
	v_and_b32_e32 v4, 0x1000, v11
	v_and_b32_e32 v5, 0x100000, v5
	v_lshlrev_b32_e32 v3, 9, v3
	v_and_b32_e32 v3, 0x10000000, v3
	v_or3_b32 v4, v4, v10, v5
	v_or3_b32 v3, v4, v3, v9
	v_lshlrev_b16_e32 v5, 8, v3
	v_and_b32_e32 v4, 0x1f00, v3
	v_add_i16 v5, v5, s22 clamp
	v_or_b32_sdwa v4, v4, v5 dst_sel:DWORD dst_unused:UNUSED_PAD src0_sel:DWORD src1_sel:BYTE_1
	v_and_b32_sdwa v5, v3, s23 dst_sel:DWORD dst_unused:UNUSED_PAD src0_sel:WORD_1 src1_sel:DWORD
	v_add_i16 v5, v5, s22 clamp
	v_lshlrev_b16_sdwa v3, v140, v3 dst_sel:DWORD dst_unused:UNUSED_PAD src0_sel:DWORD src1_sel:WORD_1
	v_and_b32_e32 v5, 0xffffff00, v5
	v_add_i16 v3, v3, s22 clamp
	v_add_u16_e32 v4, 0xf000, v4
	v_or_b32_sdwa v3, v3, v5 dst_sel:WORD_1 dst_unused:UNUSED_PAD src0_sel:BYTE_1 src1_sel:DWORD
	v_or_b32_e32 v3, v4, v3
	ds_write2_b32 v30, v8, v3 offset1:1
	s_waitcnt vmcnt(3)
	v_ashrrev_i32_e32 v3, v101, v14
	v_lshlrev_b32_e32 v5, 4, v3
	v_lshlrev_b32_e32 v6, 11, v3
	s_waitcnt vmcnt(2)
	v_and_b32_e32 v4, 0xf0f0f0f, v15
	v_and_b32_e32 v5, 16, v5
	;; [unrolled: 1-line block ×3, first 2 shown]
	v_or3_b32 v5, v5, v4, v6
	v_lshlrev_b32_e32 v6, 18, v3
	v_lshlrev_b32_e32 v7, 25, v3
	v_and_b32_e32 v6, 0x100000, v6
	v_and_b32_e32 v7, 0x10000000, v7
	v_or3_b32 v4, v4, v6, v7
	v_and_b32_e32 v6, 0x1f00, v5
	v_lshlrev_b16_e32 v5, 8, v5
	v_add_u16_e32 v5, 0xf000, v5
	v_or_b32_sdwa v5, v6, v5 dst_sel:DWORD dst_unused:UNUSED_PAD src0_sel:DWORD src1_sel:BYTE_1
	v_and_b32_sdwa v6, v4, s21 dst_sel:DWORD dst_unused:UNUSED_PAD src0_sel:WORD_1 src1_sel:DWORD
	v_lshlrev_b16_sdwa v4, v140, v4 dst_sel:DWORD dst_unused:UNUSED_PAD src0_sel:DWORD src1_sel:WORD_1
	v_add_u16_e32 v4, 0xf000, v4
	v_or_b32_sdwa v4, v6, v4 dst_sel:DWORD dst_unused:UNUSED_PAD src0_sel:DWORD src1_sel:BYTE_1
	v_add_u16_e32 v5, 0xf000, v5
	v_add_u16_sdwa v4, v4, s22 dst_sel:WORD_1 dst_unused:UNUSED_PAD src0_sel:DWORD src1_sel:DWORD
	v_or_b32_e32 v8, v5, v4
	v_lshrrev_b32_e32 v4, 4, v15
	v_and_b32_e32 v9, 0xf0f0f0f, v4
	v_lshrrev_b32_e32 v4, 12, v3
	v_and_b32_e32 v10, 16, v4
	v_add_co_u32_e32 v4, vcc, s8, v86
	v_addc_co_u32_e32 v5, vcc, v49, v2, vcc
	v_add_co_u32_e32 v6, vcc, s8, v88
	v_addc_co_u32_e32 v7, vcc, v51, v2, vcc
	v_lshrrev_b32_e32 v11, 5, v3
	global_load_dword v14, v[6:7], off
	global_load_dword v15, v[4:5], off offset:6
	v_lshlrev_b32_e32 v5, 2, v3
	v_and_b32_e32 v4, 0x1000, v11
	v_and_b32_e32 v5, 0x100000, v5
	v_lshlrev_b32_e32 v3, 9, v3
	v_and_b32_e32 v3, 0x10000000, v3
	v_or3_b32 v4, v4, v10, v5
	v_or3_b32 v3, v4, v3, v9
	v_lshlrev_b16_e32 v5, 8, v3
	v_and_b32_e32 v4, 0x1f00, v3
	v_add_i16 v5, v5, s22 clamp
	v_or_b32_sdwa v4, v4, v5 dst_sel:DWORD dst_unused:UNUSED_PAD src0_sel:DWORD src1_sel:BYTE_1
	v_and_b32_sdwa v5, v3, s23 dst_sel:DWORD dst_unused:UNUSED_PAD src0_sel:WORD_1 src1_sel:DWORD
	v_add_i16 v5, v5, s22 clamp
	v_lshlrev_b16_sdwa v3, v140, v3 dst_sel:DWORD dst_unused:UNUSED_PAD src0_sel:DWORD src1_sel:WORD_1
	v_and_b32_e32 v5, 0xffffff00, v5
	v_add_i16 v3, v3, s22 clamp
	v_add_u16_e32 v4, 0xf000, v4
	v_or_b32_sdwa v3, v3, v5 dst_sel:WORD_1 dst_unused:UNUSED_PAD src0_sel:BYTE_1 src1_sel:DWORD
	v_or_b32_e32 v3, v4, v3
	ds_write2_b32 v32, v8, v3 offset1:1
	s_waitcnt vmcnt(3)
	v_ashrrev_i32_e32 v3, v101, v12
	v_lshlrev_b32_e32 v5, 4, v3
	v_lshlrev_b32_e32 v6, 11, v3
	s_waitcnt vmcnt(2)
	v_and_b32_e32 v4, 0xf0f0f0f, v13
	v_and_b32_e32 v5, 16, v5
	;; [unrolled: 1-line block ×3, first 2 shown]
	v_or3_b32 v5, v5, v4, v6
	v_lshlrev_b32_e32 v6, 18, v3
	v_lshlrev_b32_e32 v7, 25, v3
	v_and_b32_e32 v6, 0x100000, v6
	v_and_b32_e32 v7, 0x10000000, v7
	v_or3_b32 v4, v4, v6, v7
	v_and_b32_e32 v6, 0x1f00, v5
	v_lshlrev_b16_e32 v5, 8, v5
	v_add_u16_e32 v5, 0xf000, v5
	v_or_b32_sdwa v5, v6, v5 dst_sel:DWORD dst_unused:UNUSED_PAD src0_sel:DWORD src1_sel:BYTE_1
	v_and_b32_sdwa v6, v4, s21 dst_sel:DWORD dst_unused:UNUSED_PAD src0_sel:WORD_1 src1_sel:DWORD
	v_lshlrev_b16_sdwa v4, v140, v4 dst_sel:DWORD dst_unused:UNUSED_PAD src0_sel:DWORD src1_sel:WORD_1
	v_add_u16_e32 v4, 0xf000, v4
	v_or_b32_sdwa v4, v6, v4 dst_sel:DWORD dst_unused:UNUSED_PAD src0_sel:DWORD src1_sel:BYTE_1
	v_add_u16_e32 v5, 0xf000, v5
	v_add_u16_sdwa v4, v4, s22 dst_sel:WORD_1 dst_unused:UNUSED_PAD src0_sel:DWORD src1_sel:DWORD
	v_or_b32_e32 v8, v5, v4
	v_lshrrev_b32_e32 v4, 4, v13
	v_and_b32_e32 v9, 0xf0f0f0f, v4
	v_lshrrev_b32_e32 v4, 12, v3
	v_and_b32_e32 v10, 16, v4
	v_add_co_u32_e32 v4, vcc, s8, v90
	v_addc_co_u32_e32 v5, vcc, v53, v2, vcc
	v_add_co_u32_e32 v6, vcc, s8, v92
	v_addc_co_u32_e32 v7, vcc, v59, v2, vcc
	global_load_dword v12, v[6:7], off
	global_load_dword v13, v[4:5], off offset:6
	v_lshrrev_b32_e32 v11, 5, v3
	v_lshlrev_b32_e32 v5, 2, v3
	v_and_b32_e32 v4, 0x1000, v11
	v_and_b32_e32 v5, 0x100000, v5
	v_lshlrev_b32_e32 v3, 9, v3
	v_and_b32_e32 v3, 0x10000000, v3
	v_or3_b32 v4, v4, v10, v5
	v_or3_b32 v3, v4, v3, v9
	v_lshlrev_b16_e32 v5, 8, v3
	v_and_b32_e32 v4, 0x1f00, v3
	v_add_i16 v5, v5, s22 clamp
	v_or_b32_sdwa v4, v4, v5 dst_sel:DWORD dst_unused:UNUSED_PAD src0_sel:DWORD src1_sel:BYTE_1
	v_and_b32_sdwa v5, v3, s23 dst_sel:DWORD dst_unused:UNUSED_PAD src0_sel:WORD_1 src1_sel:DWORD
	v_add_i16 v5, v5, s22 clamp
	v_lshlrev_b16_sdwa v3, v140, v3 dst_sel:DWORD dst_unused:UNUSED_PAD src0_sel:DWORD src1_sel:WORD_1
	v_and_b32_e32 v5, 0xffffff00, v5
	v_add_i16 v3, v3, s22 clamp
	v_add_u16_e32 v4, 0xf000, v4
	v_or_b32_sdwa v3, v3, v5 dst_sel:WORD_1 dst_unused:UNUSED_PAD src0_sel:BYTE_1 src1_sel:DWORD
	v_or_b32_e32 v3, v4, v3
	ds_write2_b32 v34, v8, v3 offset1:1
	s_waitcnt vmcnt(3)
	v_ashrrev_i32_e32 v3, v101, v14
	v_lshlrev_b32_e32 v5, 4, v3
	v_lshlrev_b32_e32 v6, 11, v3
	s_waitcnt vmcnt(2)
	v_and_b32_e32 v4, 0xf0f0f0f, v15
	v_and_b32_e32 v5, 16, v5
	;; [unrolled: 1-line block ×3, first 2 shown]
	v_or3_b32 v5, v5, v4, v6
	v_lshlrev_b32_e32 v6, 18, v3
	v_lshlrev_b32_e32 v7, 25, v3
	v_and_b32_e32 v6, 0x100000, v6
	v_and_b32_e32 v7, 0x10000000, v7
	v_or3_b32 v4, v4, v6, v7
	v_and_b32_e32 v6, 0x1f00, v5
	v_lshlrev_b16_e32 v5, 8, v5
	v_add_u16_e32 v5, 0xf000, v5
	v_or_b32_sdwa v5, v6, v5 dst_sel:DWORD dst_unused:UNUSED_PAD src0_sel:DWORD src1_sel:BYTE_1
	v_and_b32_sdwa v6, v4, s21 dst_sel:DWORD dst_unused:UNUSED_PAD src0_sel:WORD_1 src1_sel:DWORD
	v_lshlrev_b16_sdwa v4, v140, v4 dst_sel:DWORD dst_unused:UNUSED_PAD src0_sel:DWORD src1_sel:WORD_1
	v_add_u16_e32 v4, 0xf000, v4
	v_or_b32_sdwa v4, v6, v4 dst_sel:DWORD dst_unused:UNUSED_PAD src0_sel:DWORD src1_sel:BYTE_1
	v_add_u16_e32 v5, 0xf000, v5
	v_add_u16_sdwa v4, v4, s22 dst_sel:WORD_1 dst_unused:UNUSED_PAD src0_sel:DWORD src1_sel:DWORD
	v_or_b32_e32 v8, v5, v4
	v_lshrrev_b32_e32 v4, 4, v15
	v_and_b32_e32 v9, 0xf0f0f0f, v4
	v_lshrrev_b32_e32 v4, 12, v3
	v_and_b32_e32 v10, 16, v4
	v_add_co_u32_e32 v4, vcc, s8, v94
	v_addc_co_u32_e32 v5, vcc, v61, v2, vcc
	v_add_co_u32_e32 v6, vcc, s8, v96
	v_addc_co_u32_e32 v7, vcc, v63, v2, vcc
	v_lshrrev_b32_e32 v11, 5, v3
	global_load_dword v14, v[6:7], off
	global_load_dword v15, v[4:5], off offset:6
	v_lshlrev_b32_e32 v5, 2, v3
	v_and_b32_e32 v4, 0x1000, v11
	v_and_b32_e32 v5, 0x100000, v5
	v_lshlrev_b32_e32 v3, 9, v3
	v_and_b32_e32 v3, 0x10000000, v3
	v_or3_b32 v4, v4, v10, v5
	v_or3_b32 v3, v4, v3, v9
	v_lshlrev_b16_e32 v5, 8, v3
	v_and_b32_e32 v4, 0x1f00, v3
	v_add_i16 v5, v5, s22 clamp
	v_or_b32_sdwa v4, v4, v5 dst_sel:DWORD dst_unused:UNUSED_PAD src0_sel:DWORD src1_sel:BYTE_1
	v_and_b32_sdwa v5, v3, s23 dst_sel:DWORD dst_unused:UNUSED_PAD src0_sel:WORD_1 src1_sel:DWORD
	v_add_i16 v5, v5, s22 clamp
	v_lshlrev_b16_sdwa v3, v140, v3 dst_sel:DWORD dst_unused:UNUSED_PAD src0_sel:DWORD src1_sel:WORD_1
	v_and_b32_e32 v5, 0xffffff00, v5
	v_add_i16 v3, v3, s22 clamp
	v_add_u16_e32 v4, 0xf000, v4
	v_or_b32_sdwa v3, v3, v5 dst_sel:WORD_1 dst_unused:UNUSED_PAD src0_sel:BYTE_1 src1_sel:DWORD
	v_or_b32_e32 v3, v4, v3
	ds_write2_b32 v36, v8, v3 offset1:1
	s_waitcnt vmcnt(3)
	v_ashrrev_i32_e32 v3, v101, v12
	v_lshlrev_b32_e32 v5, 4, v3
	v_lshlrev_b32_e32 v6, 11, v3
	s_waitcnt vmcnt(2)
	v_and_b32_e32 v4, 0xf0f0f0f, v13
	v_and_b32_e32 v5, 16, v5
	;; [unrolled: 1-line block ×3, first 2 shown]
	v_or3_b32 v5, v5, v4, v6
	v_lshlrev_b32_e32 v6, 18, v3
	v_lshlrev_b32_e32 v7, 25, v3
	v_and_b32_e32 v6, 0x100000, v6
	v_and_b32_e32 v7, 0x10000000, v7
	v_or3_b32 v4, v4, v6, v7
	v_and_b32_e32 v6, 0x1f00, v5
	v_lshlrev_b16_e32 v5, 8, v5
	v_add_u16_e32 v5, 0xf000, v5
	v_or_b32_sdwa v5, v6, v5 dst_sel:DWORD dst_unused:UNUSED_PAD src0_sel:DWORD src1_sel:BYTE_1
	v_and_b32_sdwa v6, v4, s21 dst_sel:DWORD dst_unused:UNUSED_PAD src0_sel:WORD_1 src1_sel:DWORD
	v_lshlrev_b16_sdwa v4, v140, v4 dst_sel:DWORD dst_unused:UNUSED_PAD src0_sel:DWORD src1_sel:WORD_1
	v_add_u16_e32 v4, 0xf000, v4
	v_or_b32_sdwa v4, v6, v4 dst_sel:DWORD dst_unused:UNUSED_PAD src0_sel:DWORD src1_sel:BYTE_1
	v_add_u16_e32 v5, 0xf000, v5
	v_add_u16_sdwa v4, v4, s22 dst_sel:WORD_1 dst_unused:UNUSED_PAD src0_sel:DWORD src1_sel:DWORD
	v_or_b32_e32 v8, v5, v4
	v_lshrrev_b32_e32 v4, 4, v13
	v_and_b32_e32 v9, 0xf0f0f0f, v4
	v_lshrrev_b32_e32 v4, 12, v3
	v_and_b32_e32 v10, 16, v4
	v_add_co_u32_e32 v4, vcc, s8, v98
	v_addc_co_u32_e32 v5, vcc, v65, v2, vcc
	v_add_co_u32_e32 v6, vcc, s8, v100
	v_addc_co_u32_e32 v7, vcc, v67, v2, vcc
	global_load_dword v12, v[6:7], off
	global_load_dword v13, v[4:5], off offset:6
	v_lshrrev_b32_e32 v11, 5, v3
	v_lshlrev_b32_e32 v5, 2, v3
	v_and_b32_e32 v4, 0x1000, v11
	v_and_b32_e32 v5, 0x100000, v5
	v_lshlrev_b32_e32 v3, 9, v3
	v_and_b32_e32 v3, 0x10000000, v3
	v_or3_b32 v4, v4, v10, v5
	v_or3_b32 v3, v4, v3, v9
	v_lshlrev_b16_e32 v5, 8, v3
	v_and_b32_e32 v4, 0x1f00, v3
	v_add_i16 v5, v5, s22 clamp
	v_or_b32_sdwa v4, v4, v5 dst_sel:DWORD dst_unused:UNUSED_PAD src0_sel:DWORD src1_sel:BYTE_1
	v_and_b32_sdwa v5, v3, s23 dst_sel:DWORD dst_unused:UNUSED_PAD src0_sel:WORD_1 src1_sel:DWORD
	v_add_i16 v5, v5, s22 clamp
	v_lshlrev_b16_sdwa v3, v140, v3 dst_sel:DWORD dst_unused:UNUSED_PAD src0_sel:DWORD src1_sel:WORD_1
	v_and_b32_e32 v5, 0xffffff00, v5
	v_add_i16 v3, v3, s22 clamp
	v_add_u16_e32 v4, 0xf000, v4
	v_or_b32_sdwa v3, v3, v5 dst_sel:WORD_1 dst_unused:UNUSED_PAD src0_sel:BYTE_1 src1_sel:DWORD
	v_or_b32_e32 v3, v4, v3
	ds_write2_b32 v38, v8, v3 offset1:1
	s_waitcnt vmcnt(3)
	v_ashrrev_i32_e32 v3, v101, v14
	v_lshlrev_b32_e32 v5, 4, v3
	v_lshlrev_b32_e32 v6, 11, v3
	s_waitcnt vmcnt(2)
	v_and_b32_e32 v4, 0xf0f0f0f, v15
	v_and_b32_e32 v5, 16, v5
	;; [unrolled: 1-line block ×3, first 2 shown]
	v_or3_b32 v5, v5, v4, v6
	v_lshlrev_b32_e32 v6, 18, v3
	v_lshlrev_b32_e32 v7, 25, v3
	v_and_b32_e32 v6, 0x100000, v6
	v_and_b32_e32 v7, 0x10000000, v7
	v_or3_b32 v4, v4, v6, v7
	v_and_b32_e32 v6, 0x1f00, v5
	v_lshlrev_b16_e32 v5, 8, v5
	v_add_u16_e32 v5, 0xf000, v5
	v_or_b32_sdwa v5, v6, v5 dst_sel:DWORD dst_unused:UNUSED_PAD src0_sel:DWORD src1_sel:BYTE_1
	v_and_b32_sdwa v6, v4, s21 dst_sel:DWORD dst_unused:UNUSED_PAD src0_sel:WORD_1 src1_sel:DWORD
	v_lshlrev_b16_sdwa v4, v140, v4 dst_sel:DWORD dst_unused:UNUSED_PAD src0_sel:DWORD src1_sel:WORD_1
	v_add_u16_e32 v4, 0xf000, v4
	v_or_b32_sdwa v4, v6, v4 dst_sel:DWORD dst_unused:UNUSED_PAD src0_sel:DWORD src1_sel:BYTE_1
	v_add_u16_e32 v5, 0xf000, v5
	v_add_u16_sdwa v4, v4, s22 dst_sel:WORD_1 dst_unused:UNUSED_PAD src0_sel:DWORD src1_sel:DWORD
	v_or_b32_e32 v8, v5, v4
	v_lshrrev_b32_e32 v4, 4, v15
	v_and_b32_e32 v9, 0xf0f0f0f, v4
	v_lshrrev_b32_e32 v4, 12, v3
	v_and_b32_e32 v10, 16, v4
	v_add_co_u32_e32 v4, vcc, s8, v102
	v_addc_co_u32_e32 v5, vcc, v69, v2, vcc
	v_add_co_u32_e32 v6, vcc, s8, v104
	v_addc_co_u32_e32 v7, vcc, v71, v2, vcc
	v_lshrrev_b32_e32 v11, 5, v3
	global_load_dword v14, v[6:7], off
	global_load_dword v15, v[4:5], off offset:6
	v_lshlrev_b32_e32 v5, 2, v3
	v_and_b32_e32 v4, 0x1000, v11
	v_and_b32_e32 v5, 0x100000, v5
	v_lshlrev_b32_e32 v3, 9, v3
	v_and_b32_e32 v3, 0x10000000, v3
	v_or3_b32 v4, v4, v10, v5
	v_or3_b32 v3, v4, v3, v9
	v_lshlrev_b16_e32 v5, 8, v3
	v_and_b32_e32 v4, 0x1f00, v3
	v_add_i16 v5, v5, s22 clamp
	v_or_b32_sdwa v4, v4, v5 dst_sel:DWORD dst_unused:UNUSED_PAD src0_sel:DWORD src1_sel:BYTE_1
	v_and_b32_sdwa v5, v3, s23 dst_sel:DWORD dst_unused:UNUSED_PAD src0_sel:WORD_1 src1_sel:DWORD
	v_add_i16 v5, v5, s22 clamp
	v_lshlrev_b16_sdwa v3, v140, v3 dst_sel:DWORD dst_unused:UNUSED_PAD src0_sel:DWORD src1_sel:WORD_1
	v_and_b32_e32 v5, 0xffffff00, v5
	v_add_i16 v3, v3, s22 clamp
	v_add_u16_e32 v4, 0xf000, v4
	v_or_b32_sdwa v3, v3, v5 dst_sel:WORD_1 dst_unused:UNUSED_PAD src0_sel:BYTE_1 src1_sel:DWORD
	v_or_b32_e32 v3, v4, v3
	ds_write2_b32 v40, v8, v3 offset1:1
	s_waitcnt vmcnt(3)
	v_ashrrev_i32_e32 v3, v101, v12
	v_lshlrev_b32_e32 v5, 4, v3
	v_lshlrev_b32_e32 v6, 11, v3
	s_waitcnt vmcnt(2)
	v_and_b32_e32 v4, 0xf0f0f0f, v13
	v_and_b32_e32 v5, 16, v5
	;; [unrolled: 1-line block ×3, first 2 shown]
	v_or3_b32 v5, v5, v4, v6
	v_lshlrev_b32_e32 v6, 18, v3
	v_lshlrev_b32_e32 v7, 25, v3
	v_and_b32_e32 v6, 0x100000, v6
	v_and_b32_e32 v7, 0x10000000, v7
	v_or3_b32 v4, v4, v6, v7
	v_and_b32_e32 v6, 0x1f00, v5
	v_lshlrev_b16_e32 v5, 8, v5
	v_add_u16_e32 v5, 0xf000, v5
	v_or_b32_sdwa v5, v6, v5 dst_sel:DWORD dst_unused:UNUSED_PAD src0_sel:DWORD src1_sel:BYTE_1
	v_and_b32_sdwa v6, v4, s21 dst_sel:DWORD dst_unused:UNUSED_PAD src0_sel:WORD_1 src1_sel:DWORD
	v_lshlrev_b16_sdwa v4, v140, v4 dst_sel:DWORD dst_unused:UNUSED_PAD src0_sel:DWORD src1_sel:WORD_1
	v_add_u16_e32 v4, 0xf000, v4
	v_or_b32_sdwa v4, v6, v4 dst_sel:DWORD dst_unused:UNUSED_PAD src0_sel:DWORD src1_sel:BYTE_1
	v_add_u16_e32 v5, 0xf000, v5
	v_add_u16_sdwa v4, v4, s22 dst_sel:WORD_1 dst_unused:UNUSED_PAD src0_sel:DWORD src1_sel:DWORD
	v_or_b32_e32 v8, v5, v4
	v_lshrrev_b32_e32 v4, 4, v13
	v_and_b32_e32 v9, 0xf0f0f0f, v4
	v_lshrrev_b32_e32 v4, 12, v3
	v_and_b32_e32 v10, 16, v4
	v_add_co_u32_e32 v4, vcc, s8, v106
	v_addc_co_u32_e32 v5, vcc, v73, v2, vcc
	v_add_co_u32_e32 v6, vcc, s8, v108
	v_addc_co_u32_e32 v7, vcc, v75, v2, vcc
	global_load_dword v12, v[6:7], off
	global_load_dword v13, v[4:5], off offset:6
	v_lshrrev_b32_e32 v11, 5, v3
	v_lshlrev_b32_e32 v5, 2, v3
	v_and_b32_e32 v4, 0x1000, v11
	v_and_b32_e32 v5, 0x100000, v5
	v_lshlrev_b32_e32 v3, 9, v3
	v_and_b32_e32 v3, 0x10000000, v3
	v_or3_b32 v4, v4, v10, v5
	v_or3_b32 v3, v4, v3, v9
	v_lshlrev_b16_e32 v5, 8, v3
	v_and_b32_e32 v4, 0x1f00, v3
	v_add_i16 v5, v5, s22 clamp
	v_or_b32_sdwa v4, v4, v5 dst_sel:DWORD dst_unused:UNUSED_PAD src0_sel:DWORD src1_sel:BYTE_1
	v_and_b32_sdwa v5, v3, s23 dst_sel:DWORD dst_unused:UNUSED_PAD src0_sel:WORD_1 src1_sel:DWORD
	v_add_i16 v5, v5, s22 clamp
	v_lshlrev_b16_sdwa v3, v140, v3 dst_sel:DWORD dst_unused:UNUSED_PAD src0_sel:DWORD src1_sel:WORD_1
	v_and_b32_e32 v5, 0xffffff00, v5
	v_add_i16 v3, v3, s22 clamp
	v_add_u16_e32 v4, 0xf000, v4
	v_or_b32_sdwa v3, v3, v5 dst_sel:WORD_1 dst_unused:UNUSED_PAD src0_sel:BYTE_1 src1_sel:DWORD
	v_or_b32_e32 v3, v4, v3
	ds_write2_b32 v42, v8, v3 offset1:1
	s_waitcnt vmcnt(3)
	v_ashrrev_i32_e32 v3, v101, v14
	v_lshlrev_b32_e32 v5, 4, v3
	v_lshlrev_b32_e32 v6, 11, v3
	s_waitcnt vmcnt(2)
	v_and_b32_e32 v4, 0xf0f0f0f, v15
	v_and_b32_e32 v5, 16, v5
	v_and_b32_e32 v6, 0x1000, v6
	v_or3_b32 v5, v5, v4, v6
	v_lshlrev_b32_e32 v6, 18, v3
	v_lshlrev_b32_e32 v7, 25, v3
	v_and_b32_e32 v6, 0x100000, v6
	v_and_b32_e32 v7, 0x10000000, v7
	v_or3_b32 v4, v4, v6, v7
	v_and_b32_e32 v6, 0x1f00, v5
	v_lshlrev_b16_e32 v5, 8, v5
	v_add_u16_e32 v5, 0xf000, v5
	v_or_b32_sdwa v5, v6, v5 dst_sel:DWORD dst_unused:UNUSED_PAD src0_sel:DWORD src1_sel:BYTE_1
	v_and_b32_sdwa v6, v4, s21 dst_sel:DWORD dst_unused:UNUSED_PAD src0_sel:WORD_1 src1_sel:DWORD
	v_lshlrev_b16_sdwa v4, v140, v4 dst_sel:DWORD dst_unused:UNUSED_PAD src0_sel:DWORD src1_sel:WORD_1
	v_add_u16_e32 v4, 0xf000, v4
	v_or_b32_sdwa v4, v6, v4 dst_sel:DWORD dst_unused:UNUSED_PAD src0_sel:DWORD src1_sel:BYTE_1
	v_add_u16_e32 v5, 0xf000, v5
	v_add_u16_sdwa v4, v4, s22 dst_sel:WORD_1 dst_unused:UNUSED_PAD src0_sel:DWORD src1_sel:DWORD
	v_or_b32_e32 v8, v5, v4
	v_lshrrev_b32_e32 v4, 4, v15
	v_and_b32_e32 v9, 0xf0f0f0f, v4
	v_lshrrev_b32_e32 v4, 12, v3
	v_and_b32_e32 v10, 16, v4
	v_add_co_u32_e32 v4, vcc, s8, v110
	v_addc_co_u32_e32 v5, vcc, v77, v2, vcc
	v_add_co_u32_e32 v6, vcc, s8, v112
	v_addc_co_u32_e32 v7, vcc, v79, v2, vcc
	v_lshrrev_b32_e32 v11, 5, v3
	global_load_dword v14, v[6:7], off
	global_load_dword v15, v[4:5], off offset:6
	v_lshlrev_b32_e32 v5, 2, v3
	v_and_b32_e32 v4, 0x1000, v11
	v_and_b32_e32 v5, 0x100000, v5
	v_lshlrev_b32_e32 v3, 9, v3
	v_and_b32_e32 v3, 0x10000000, v3
	v_or3_b32 v4, v4, v10, v5
	v_or3_b32 v3, v4, v3, v9
	v_lshlrev_b16_e32 v5, 8, v3
	v_and_b32_e32 v4, 0x1f00, v3
	v_add_i16 v5, v5, s22 clamp
	v_or_b32_sdwa v4, v4, v5 dst_sel:DWORD dst_unused:UNUSED_PAD src0_sel:DWORD src1_sel:BYTE_1
	v_and_b32_sdwa v5, v3, s23 dst_sel:DWORD dst_unused:UNUSED_PAD src0_sel:WORD_1 src1_sel:DWORD
	v_add_i16 v5, v5, s22 clamp
	v_lshlrev_b16_sdwa v3, v140, v3 dst_sel:DWORD dst_unused:UNUSED_PAD src0_sel:DWORD src1_sel:WORD_1
	v_and_b32_e32 v5, 0xffffff00, v5
	v_add_i16 v3, v3, s22 clamp
	v_add_u16_e32 v4, 0xf000, v4
	v_or_b32_sdwa v3, v3, v5 dst_sel:WORD_1 dst_unused:UNUSED_PAD src0_sel:BYTE_1 src1_sel:DWORD
	v_or_b32_e32 v3, v4, v3
	ds_write2_b32 v44, v8, v3 offset1:1
	s_waitcnt vmcnt(3)
	v_ashrrev_i32_e32 v3, v101, v12
	v_lshlrev_b32_e32 v5, 4, v3
	v_lshlrev_b32_e32 v6, 11, v3
	s_waitcnt vmcnt(2)
	v_and_b32_e32 v4, 0xf0f0f0f, v13
	v_and_b32_e32 v5, 16, v5
	;; [unrolled: 1-line block ×3, first 2 shown]
	v_or3_b32 v5, v5, v4, v6
	v_lshlrev_b32_e32 v6, 18, v3
	v_lshlrev_b32_e32 v7, 25, v3
	v_and_b32_e32 v6, 0x100000, v6
	v_and_b32_e32 v7, 0x10000000, v7
	v_or3_b32 v4, v4, v6, v7
	v_and_b32_e32 v6, 0x1f00, v5
	v_lshlrev_b16_e32 v5, 8, v5
	v_add_u16_e32 v5, 0xf000, v5
	v_or_b32_sdwa v5, v6, v5 dst_sel:DWORD dst_unused:UNUSED_PAD src0_sel:DWORD src1_sel:BYTE_1
	v_and_b32_sdwa v6, v4, s21 dst_sel:DWORD dst_unused:UNUSED_PAD src0_sel:WORD_1 src1_sel:DWORD
	v_lshlrev_b16_sdwa v4, v140, v4 dst_sel:DWORD dst_unused:UNUSED_PAD src0_sel:DWORD src1_sel:WORD_1
	v_add_u16_e32 v4, 0xf000, v4
	v_or_b32_sdwa v4, v6, v4 dst_sel:DWORD dst_unused:UNUSED_PAD src0_sel:DWORD src1_sel:BYTE_1
	v_add_u16_e32 v5, 0xf000, v5
	v_add_u16_sdwa v4, v4, s22 dst_sel:WORD_1 dst_unused:UNUSED_PAD src0_sel:DWORD src1_sel:DWORD
	v_or_b32_e32 v8, v5, v4
	v_lshrrev_b32_e32 v4, 4, v13
	v_and_b32_e32 v9, 0xf0f0f0f, v4
	v_lshrrev_b32_e32 v4, 12, v3
	v_and_b32_e32 v10, 16, v4
	v_add_co_u32_e32 v4, vcc, s8, v114
	v_addc_co_u32_e32 v5, vcc, v81, v2, vcc
	v_add_co_u32_e32 v6, vcc, s8, v116
	v_addc_co_u32_e32 v7, vcc, v83, v2, vcc
	global_load_dword v12, v[6:7], off
	global_load_dword v13, v[4:5], off offset:6
	v_lshrrev_b32_e32 v11, 5, v3
	v_lshlrev_b32_e32 v5, 2, v3
	v_and_b32_e32 v4, 0x1000, v11
	v_and_b32_e32 v5, 0x100000, v5
	v_lshlrev_b32_e32 v3, 9, v3
	v_and_b32_e32 v3, 0x10000000, v3
	v_or3_b32 v4, v4, v10, v5
	v_or3_b32 v3, v4, v3, v9
	v_lshlrev_b16_e32 v5, 8, v3
	v_and_b32_e32 v4, 0x1f00, v3
	v_add_i16 v5, v5, s22 clamp
	v_or_b32_sdwa v4, v4, v5 dst_sel:DWORD dst_unused:UNUSED_PAD src0_sel:DWORD src1_sel:BYTE_1
	v_and_b32_sdwa v5, v3, s23 dst_sel:DWORD dst_unused:UNUSED_PAD src0_sel:WORD_1 src1_sel:DWORD
	v_add_i16 v5, v5, s22 clamp
	v_lshlrev_b16_sdwa v3, v140, v3 dst_sel:DWORD dst_unused:UNUSED_PAD src0_sel:DWORD src1_sel:WORD_1
	v_and_b32_e32 v5, 0xffffff00, v5
	v_add_i16 v3, v3, s22 clamp
	v_add_u16_e32 v4, 0xf000, v4
	v_or_b32_sdwa v3, v3, v5 dst_sel:WORD_1 dst_unused:UNUSED_PAD src0_sel:BYTE_1 src1_sel:DWORD
	v_or_b32_e32 v3, v4, v3
	ds_write2_b32 v46, v8, v3 offset1:1
	s_waitcnt vmcnt(3)
	v_ashrrev_i32_e32 v3, v101, v14
	v_lshlrev_b32_e32 v5, 4, v3
	v_lshlrev_b32_e32 v6, 11, v3
	s_waitcnt vmcnt(2)
	v_and_b32_e32 v4, 0xf0f0f0f, v15
	v_and_b32_e32 v5, 16, v5
	;; [unrolled: 1-line block ×3, first 2 shown]
	v_or3_b32 v5, v5, v4, v6
	v_lshlrev_b32_e32 v6, 18, v3
	v_lshlrev_b32_e32 v7, 25, v3
	v_and_b32_e32 v6, 0x100000, v6
	v_and_b32_e32 v7, 0x10000000, v7
	v_or3_b32 v4, v4, v6, v7
	v_and_b32_e32 v6, 0x1f00, v5
	v_lshlrev_b16_e32 v5, 8, v5
	v_add_u16_e32 v5, 0xf000, v5
	v_or_b32_sdwa v5, v6, v5 dst_sel:DWORD dst_unused:UNUSED_PAD src0_sel:DWORD src1_sel:BYTE_1
	v_and_b32_sdwa v6, v4, s21 dst_sel:DWORD dst_unused:UNUSED_PAD src0_sel:WORD_1 src1_sel:DWORD
	v_lshlrev_b16_sdwa v4, v140, v4 dst_sel:DWORD dst_unused:UNUSED_PAD src0_sel:DWORD src1_sel:WORD_1
	v_add_u16_e32 v4, 0xf000, v4
	v_or_b32_sdwa v4, v6, v4 dst_sel:DWORD dst_unused:UNUSED_PAD src0_sel:DWORD src1_sel:BYTE_1
	v_add_u16_e32 v5, 0xf000, v5
	v_add_u16_sdwa v4, v4, s22 dst_sel:WORD_1 dst_unused:UNUSED_PAD src0_sel:DWORD src1_sel:DWORD
	v_or_b32_e32 v8, v5, v4
	v_lshrrev_b32_e32 v5, 12, v3
	v_lshrrev_b32_e32 v6, 5, v3
	v_lshlrev_b32_e32 v7, 2, v3
	v_lshrrev_b32_e32 v4, 4, v15
	v_and_b32_e32 v5, 16, v5
	v_and_b32_e32 v6, 0x1000, v6
	;; [unrolled: 1-line block ×3, first 2 shown]
	v_lshlrev_b32_e32 v3, 9, v3
	v_and_b32_e32 v4, 0xf0f0f0f, v4
	v_and_b32_e32 v3, 0x10000000, v3
	v_or3_b32 v5, v6, v5, v7
	v_or3_b32 v3, v5, v3, v4
	v_lshlrev_b16_e32 v4, 8, v3
	v_add_i16 v10, v4, s22 clamp
	v_add_co_u32_e32 v4, vcc, s8, v118
	v_addc_co_u32_e32 v5, vcc, v85, v2, vcc
	v_add_co_u32_e32 v6, vcc, s8, v120
	v_addc_co_u32_e32 v7, vcc, v87, v2, vcc
	global_load_dword v6, v[6:7], off
	s_nop 0
	global_load_dword v7, v[4:5], off offset:6
	v_and_b32_sdwa v5, v3, s23 dst_sel:DWORD dst_unused:UNUSED_PAD src0_sel:WORD_1 src1_sel:DWORD
	v_and_b32_e32 v9, 0x1f00, v3
	v_add_i16 v5, v5, s22 clamp
	v_lshlrev_b16_sdwa v3, v140, v3 dst_sel:DWORD dst_unused:UNUSED_PAD src0_sel:DWORD src1_sel:WORD_1
	v_or_b32_sdwa v4, v9, v10 dst_sel:DWORD dst_unused:UNUSED_PAD src0_sel:DWORD src1_sel:BYTE_1
	v_and_b32_e32 v5, 0xffffff00, v5
	v_add_i16 v3, v3, s22 clamp
	v_add_u16_e32 v4, 0xf000, v4
	v_or_b32_sdwa v3, v3, v5 dst_sel:WORD_1 dst_unused:UNUSED_PAD src0_sel:BYTE_1 src1_sel:DWORD
	v_or_b32_e32 v3, v4, v3
	ds_write2_b32 v48, v8, v3 offset1:1
	s_waitcnt vmcnt(3)
	v_ashrrev_i32_e32 v3, v101, v12
	v_lshlrev_b32_e32 v5, 4, v3
	v_lshlrev_b32_e32 v8, 11, v3
	s_waitcnt vmcnt(2)
	v_and_b32_e32 v4, 0xf0f0f0f, v13
	v_and_b32_e32 v5, 16, v5
	;; [unrolled: 1-line block ×3, first 2 shown]
	v_or3_b32 v5, v5, v4, v8
	v_lshlrev_b32_e32 v8, 18, v3
	v_lshlrev_b32_e32 v9, 25, v3
	v_and_b32_e32 v8, 0x100000, v8
	v_and_b32_e32 v9, 0x10000000, v9
	v_or3_b32 v4, v4, v8, v9
	v_and_b32_e32 v8, 0x1f00, v5
	v_lshlrev_b16_e32 v5, 8, v5
	v_add_u16_e32 v5, 0xf000, v5
	v_or_b32_sdwa v5, v8, v5 dst_sel:DWORD dst_unused:UNUSED_PAD src0_sel:DWORD src1_sel:BYTE_1
	v_add_u16_e32 v8, 0xf000, v5
	v_and_b32_sdwa v5, v4, s21 dst_sel:DWORD dst_unused:UNUSED_PAD src0_sel:WORD_1 src1_sel:DWORD
	v_lshlrev_b16_sdwa v4, v140, v4 dst_sel:DWORD dst_unused:UNUSED_PAD src0_sel:DWORD src1_sel:WORD_1
	v_add_u16_e32 v4, 0xf000, v4
	v_or_b32_sdwa v4, v5, v4 dst_sel:DWORD dst_unused:UNUSED_PAD src0_sel:DWORD src1_sel:BYTE_1
	v_add_u16_sdwa v9, v4, s22 dst_sel:WORD_1 dst_unused:UNUSED_PAD src0_sel:DWORD src1_sel:DWORD
	v_add_co_u32_e32 v4, vcc, s8, v126
	v_addc_co_u32_e32 v5, vcc, v89, v2, vcc
	global_load_ushort v10, v[4:5], off
	v_add_co_u32_e32 v4, vcc, s8, v128
	v_addc_co_u32_e32 v5, vcc, v91, v2, vcc
	global_load_ushort v11, v[4:5], off
	;; [unrolled: 3-line block ×4, first 2 shown]
	v_or_b32_e32 v4, v8, v9
	v_lshrrev_b32_e32 v5, 4, v13
	v_lshrrev_b32_e32 v8, 12, v3
	;; [unrolled: 1-line block ×3, first 2 shown]
	v_lshlrev_b32_e32 v13, 2, v3
	v_and_b32_e32 v8, 16, v8
	v_and_b32_e32 v9, 0x1000, v9
	;; [unrolled: 1-line block ×3, first 2 shown]
	v_lshlrev_b32_e32 v3, 9, v3
	v_and_b32_e32 v5, 0xf0f0f0f, v5
	v_and_b32_e32 v3, 0x10000000, v3
	v_or3_b32 v8, v9, v8, v13
	v_or3_b32 v3, v8, v3, v5
	v_lshlrev_b16_e32 v8, 8, v3
	v_and_b32_e32 v5, 0x1f00, v3
	v_add_i16 v8, v8, s22 clamp
	v_or_b32_sdwa v5, v5, v8 dst_sel:DWORD dst_unused:UNUSED_PAD src0_sel:DWORD src1_sel:BYTE_1
	v_and_b32_sdwa v8, v3, s23 dst_sel:DWORD dst_unused:UNUSED_PAD src0_sel:WORD_1 src1_sel:DWORD
	v_add_i16 v8, v8, s22 clamp
	v_lshlrev_b16_sdwa v3, v140, v3 dst_sel:DWORD dst_unused:UNUSED_PAD src0_sel:DWORD src1_sel:WORD_1
	v_and_b32_e32 v8, 0xffffff00, v8
	v_add_i16 v3, v3, s22 clamp
	v_add_u16_e32 v5, 0xf000, v5
	v_or_b32_sdwa v3, v3, v8 dst_sel:WORD_1 dst_unused:UNUSED_PAD src0_sel:BYTE_1 src1_sel:DWORD
	v_or_b32_e32 v3, v5, v3
	ds_write2_b32 v50, v4, v3 offset1:1
	s_waitcnt vmcnt(5)
	v_ashrrev_i32_e32 v3, v101, v6
	v_lshlrev_b32_e32 v5, 4, v3
	v_lshlrev_b32_e32 v6, 11, v3
	s_waitcnt vmcnt(4)
	v_and_b32_e32 v4, 0xf0f0f0f, v7
	v_and_b32_e32 v5, 16, v5
	;; [unrolled: 1-line block ×3, first 2 shown]
	v_or3_b32 v5, v5, v4, v6
	v_lshlrev_b32_e32 v6, 18, v3
	v_lshlrev_b32_e32 v8, 25, v3
	v_and_b32_e32 v6, 0x100000, v6
	v_and_b32_e32 v8, 0x10000000, v8
	v_or3_b32 v4, v4, v6, v8
	v_and_b32_e32 v6, 0x1f00, v5
	v_lshlrev_b16_e32 v5, 8, v5
	v_add_u16_e32 v5, 0xf000, v5
	v_or_b32_sdwa v5, v6, v5 dst_sel:DWORD dst_unused:UNUSED_PAD src0_sel:DWORD src1_sel:BYTE_1
	v_and_b32_sdwa v6, v4, s21 dst_sel:DWORD dst_unused:UNUSED_PAD src0_sel:WORD_1 src1_sel:DWORD
	v_lshlrev_b16_sdwa v4, v140, v4 dst_sel:DWORD dst_unused:UNUSED_PAD src0_sel:DWORD src1_sel:WORD_1
	v_add_u16_e32 v4, 0xf000, v4
	v_or_b32_sdwa v4, v6, v4 dst_sel:DWORD dst_unused:UNUSED_PAD src0_sel:DWORD src1_sel:BYTE_1
	v_add_u16_e32 v5, 0xf000, v5
	v_add_u16_sdwa v4, v4, s22 dst_sel:WORD_1 dst_unused:UNUSED_PAD src0_sel:DWORD src1_sel:DWORD
	v_or_b32_e32 v4, v5, v4
	v_lshrrev_b32_e32 v5, 4, v7
	v_lshrrev_b32_e32 v6, 12, v3
	;; [unrolled: 1-line block ×3, first 2 shown]
	v_lshlrev_b32_e32 v8, 2, v3
	v_and_b32_e32 v6, 16, v6
	v_and_b32_e32 v7, 0x1000, v7
	;; [unrolled: 1-line block ×3, first 2 shown]
	v_lshlrev_b32_e32 v3, 9, v3
	v_and_b32_e32 v5, 0xf0f0f0f, v5
	v_and_b32_e32 v3, 0x10000000, v3
	v_or3_b32 v6, v7, v6, v8
	v_or3_b32 v3, v6, v3, v5
	v_lshlrev_b16_e32 v6, 8, v3
	v_and_b32_e32 v5, 0x1f00, v3
	v_add_i16 v6, v6, s22 clamp
	v_or_b32_sdwa v5, v5, v6 dst_sel:DWORD dst_unused:UNUSED_PAD src0_sel:DWORD src1_sel:BYTE_1
	v_and_b32_sdwa v6, v3, s23 dst_sel:DWORD dst_unused:UNUSED_PAD src0_sel:WORD_1 src1_sel:DWORD
	v_add_i16 v6, v6, s22 clamp
	v_lshlrev_b16_sdwa v3, v140, v3 dst_sel:DWORD dst_unused:UNUSED_PAD src0_sel:DWORD src1_sel:WORD_1
	v_and_b32_e32 v6, 0xffffff00, v6
	v_add_i16 v3, v3, s22 clamp
	v_add_u16_e32 v5, 0xf000, v5
	v_or_b32_sdwa v3, v3, v6 dst_sel:WORD_1 dst_unused:UNUSED_PAD src0_sel:BYTE_1 src1_sel:DWORD
	v_or_b32_e32 v3, v5, v3
	s_waitcnt vmcnt(3)
	v_cvt_f32_f16_e32 v5, v10
	ds_write2_b32 v52, v4, v3 offset1:1
	s_waitcnt vmcnt(1)
	v_cvt_f32_f16_e32 v3, v12
	v_cvt_f32_f16_e32 v6, v11
	ds_write_b32 v136, v5
	ds_write_b32 v137, v6
	s_waitcnt vmcnt(0)
	v_cvt_f32_f16_e32 v2, v2
	ds_write_b32 v138, v3
	ds_write_b32 v139, v2
	s_cbranch_scc0 .LBB182_5
; %bb.7:                                ;   in Loop: Header=BB182_6 Depth=1
	v_add_u32_e32 v2, s10, v103
	v_cmp_gt_i32_e32 vcc, s12, v2
	s_and_b64 s[24:25], s[2:3], vcc
	s_and_saveexec_b64 s[4:5], s[24:25]
	s_cbranch_execz .LBB182_9
; %bb.8:                                ;   in Loop: Header=BB182_6 Depth=1
	v_add_u32_e32 v2, s10, v133
	v_mad_i64_i32 v[2:3], s[24:25], v2, 36, v[54:55]
	global_load_dword v2, v[2:3], off offset:4
	s_waitcnt vmcnt(0)
	ds_write_b32 v105, v2
.LBB182_9:                              ;   in Loop: Header=BB182_6 Depth=1
	s_or_b64 exec, exec, s[4:5]
	s_and_saveexec_b64 s[4:5], s[0:1]
	s_cbranch_execz .LBB182_12
; %bb.10:                               ;   in Loop: Header=BB182_6 Depth=1
	v_add_u32_e32 v2, s10, v99
	v_cmp_gt_i32_e32 vcc, s12, v2
	s_and_b64 s[24:25], s[2:3], vcc
	s_and_b64 exec, exec, s[24:25]
	s_cbranch_execz .LBB182_12
; %bb.11:                               ;   in Loop: Header=BB182_6 Depth=1
	v_add_u32_e32 v2, s10, v129
	v_mad_i64_i32 v[2:3], s[24:25], v2, 36, s[6:7]
	global_load_dword v2, v[2:3], off
	s_waitcnt vmcnt(0)
	v_cvt_f32_f16_e32 v2, v2
	ds_write_b32 v107, v2
.LBB182_12:                             ;   in Loop: Header=BB182_6 Depth=1
	s_or_b64 exec, exec, s[4:5]
	s_waitcnt lgkmcnt(0)
	s_barrier
	ds_read_b128 v[2:5], v111
	ds_read2_b32 v[134:135], v113 offset1:1
	ds_read_b128 v[14:17], v109
	ds_read_b128 v[18:21], v109 offset:16
	ds_read_b128 v[6:9], v109 offset:32
	ds_read_b128 v[10:13], v109 offset:48
	ds_read2_b32 v[142:143], v113 offset0:2 offset1:3
	v_mov_b32_e32 v141, 0
	s_waitcnt lgkmcnt(4)
	v_dot4c_i32_i8_e32 v141, v134, v14
	s_waitcnt lgkmcnt(3)
	v_dot4c_i32_i8_e32 v141, v135, v18
	ds_read2_b32 v[134:135], v113 offset0:4 offset1:5
	ds_read2_b32 v[144:145], v113 offset0:6 offset1:7
	;; [unrolled: 1-line block ×3, first 2 shown]
	s_waitcnt lgkmcnt(3)
	v_dot4c_i32_i8_e32 v141, v142, v15
	v_dot4c_i32_i8_e32 v141, v143, v19
	s_waitcnt lgkmcnt(2)
	v_dot4c_i32_i8_e32 v141, v134, v16
	v_add_u32_e32 v134, 0x2080, v113
	ds_read2_b32 v[142:143], v134 offset1:1
	v_mov_b32_e32 v156, 0
	v_dot4c_i32_i8_e32 v141, v135, v20
	ds_read2_b32 v[134:135], v121 offset0:2 offset1:3
	s_waitcnt lgkmcnt(3)
	v_dot4c_i32_i8_e32 v141, v144, v17
	s_waitcnt lgkmcnt(1)
	v_dot4c_i32_i8_e32 v156, v142, v14
	v_add_u32_e32 v142, 0x2088, v113
	v_dot4c_i32_i8_e32 v156, v143, v18
	ds_read2_b32 v[142:143], v142 offset1:1
	v_add_u32_e32 v144, 0x2090, v113
	v_add_u32_e32 v148, 0x2098, v113
	;; [unrolled: 1-line block ×3, first 2 shown]
	v_dot4c_i32_i8_e32 v141, v145, v21
	ds_read2_b32 v[144:145], v144 offset1:1
	ds_read2_b32 v[148:149], v148 offset1:1
	;; [unrolled: 1-line block ×3, first 2 shown]
	s_waitcnt lgkmcnt(3)
	v_dot4c_i32_i8_e32 v156, v142, v15
	v_dot4c_i32_i8_e32 v156, v143, v19
	s_waitcnt lgkmcnt(2)
	v_dot4c_i32_i8_e32 v156, v144, v16
	v_dot4c_i32_i8_e32 v156, v145, v20
	v_mov_b32_e32 v157, 0
	s_waitcnt lgkmcnt(1)
	v_dot4c_i32_i8_e32 v156, v148, v17
	s_waitcnt lgkmcnt(0)
	v_dot4c_i32_i8_e32 v157, v150, v14
	v_add_u32_e32 v142, 0x4108, v113
	v_add_u32_e32 v144, 0x4110, v113
	;; [unrolled: 1-line block ×4, first 2 shown]
	v_dot4c_i32_i8_e32 v156, v149, v21
	v_dot4c_i32_i8_e32 v157, v151, v18
	ds_read2_b32 v[142:143], v142 offset1:1
	ds_read2_b32 v[144:145], v144 offset1:1
	;; [unrolled: 1-line block ×4, first 2 shown]
	v_mov_b32_e32 v158, 0
	v_mov_b32_e32 v159, 0
	v_dot4c_i32_i8_e32 v159, v146, v6
	s_waitcnt lgkmcnt(3)
	v_dot4c_i32_i8_e32 v157, v142, v15
	s_waitcnt lgkmcnt(0)
	v_dot4c_i32_i8_e32 v158, v150, v14
	v_add_u32_e32 v14, 0x6188, v113
	v_dot4c_i32_i8_e32 v157, v143, v19
	ds_read2_b32 v[142:143], v14 offset1:1
	v_dot4c_i32_i8_e32 v157, v144, v16
	v_dot4c_i32_i8_e32 v157, v145, v20
	;; [unrolled: 1-line block ×4, first 2 shown]
	v_add_u32_e32 v18, 0x6190, v113
	v_add_u32_e32 v148, 0x6198, v113
	v_dot4c_i32_i8_e32 v157, v149, v21
	v_add_u32_e32 v14, 0x20a0, v113
	ds_read2_b32 v[144:145], v18 offset1:1
	ds_read2_b32 v[148:149], v148 offset1:1
	;; [unrolled: 1-line block ×3, first 2 shown]
	s_waitcnt lgkmcnt(3)
	v_dot4c_i32_i8_e32 v158, v142, v15
	v_dot4c_i32_i8_e32 v158, v143, v19
	ds_read2_b32 v[14:15], v113 offset0:10 offset1:11
	s_waitcnt lgkmcnt(3)
	v_dot4c_i32_i8_e32 v158, v144, v16
	v_dot4c_i32_i8_e32 v158, v145, v20
	s_waitcnt lgkmcnt(2)
	v_dot4c_i32_i8_e32 v158, v148, v17
	v_dot4c_i32_i8_e32 v158, v149, v21
	;; [unrolled: 1-line block ×3, first 2 shown]
	ds_read2_b32 v[16:17], v113 offset0:12 offset1:13
	ds_read2_b32 v[18:19], v113 offset0:14 offset1:15
	;; [unrolled: 1-line block ×3, first 2 shown]
	s_waitcnt lgkmcnt(3)
	v_dot4c_i32_i8_e32 v159, v14, v7
	v_add_u32_e32 v14, 0x20a8, v113
	v_dot4c_i32_i8_e32 v159, v15, v11
	ds_read2_b32 v[14:15], v14 offset1:1
	s_waitcnt lgkmcnt(3)
	v_dot4c_i32_i8_e32 v159, v16, v8
	v_dot4c_i32_i8_e32 v159, v17, v12
	v_mov_b32_e32 v160, 0
	s_waitcnt lgkmcnt(2)
	v_dot4c_i32_i8_e32 v159, v18, v9
	v_dot4c_i32_i8_e32 v160, v150, v6
	v_add_u32_e32 v16, 0x20b0, v113
	v_add_u32_e32 v18, 0x20b8, v113
	;; [unrolled: 1-line block ×3, first 2 shown]
	v_dot4c_i32_i8_e32 v159, v19, v13
	v_dot4c_i32_i8_e32 v160, v151, v10
	ds_read2_b32 v[16:17], v16 offset1:1
	ds_read2_b32 v[18:19], v18 offset1:1
	;; [unrolled: 1-line block ×3, first 2 shown]
	s_waitcnt lgkmcnt(3)
	v_dot4c_i32_i8_e32 v160, v14, v7
	v_dot4c_i32_i8_e32 v160, v15, v11
	s_waitcnt lgkmcnt(2)
	v_dot4c_i32_i8_e32 v160, v16, v8
	v_dot4c_i32_i8_e32 v160, v17, v12
	v_mov_b32_e32 v161, 0
	s_waitcnt lgkmcnt(1)
	v_dot4c_i32_i8_e32 v160, v18, v9
	s_waitcnt lgkmcnt(0)
	v_dot4c_i32_i8_e32 v161, v142, v6
	v_add_u32_e32 v14, 0x4128, v113
	v_add_u32_e32 v16, 0x4130, v113
	;; [unrolled: 1-line block ×4, first 2 shown]
	v_dot4c_i32_i8_e32 v160, v19, v13
	v_dot4c_i32_i8_e32 v161, v143, v10
	ds_read2_b32 v[14:15], v14 offset1:1
	ds_read2_b32 v[16:17], v16 offset1:1
	;; [unrolled: 1-line block ×4, first 2 shown]
	v_mov_b32_e32 v162, 0
	v_mov_b32_e32 v163, 0
	;; [unrolled: 1-line block ×3, first 2 shown]
	s_waitcnt lgkmcnt(3)
	v_dot4c_i32_i8_e32 v161, v14, v7
	s_waitcnt lgkmcnt(0)
	v_dot4c_i32_i8_e32 v162, v142, v6
	v_add_u32_e32 v6, 0x61a8, v113
	v_dot4c_i32_i8_e32 v161, v15, v11
	ds_read2_b32 v[14:15], v6 offset1:1
	v_dot4c_i32_i8_e32 v161, v16, v8
	v_dot4c_i32_i8_e32 v161, v17, v12
	v_dot4c_i32_i8_e32 v161, v18, v9
	v_dot4c_i32_i8_e32 v162, v143, v10
	v_add_u32_e32 v10, 0x61b0, v113
	v_add_u32_e32 v18, 0x61b8, v113
	v_dot4c_i32_i8_e32 v161, v19, v13
	v_add_u32_e32 v6, 0x20c0, v113
	ds_read2_b32 v[16:17], v10 offset1:1
	ds_read2_b32 v[18:19], v18 offset1:1
	;; [unrolled: 1-line block ×3, first 2 shown]
	s_waitcnt lgkmcnt(3)
	v_dot4c_i32_i8_e32 v162, v14, v7
	v_dot4c_i32_i8_e32 v162, v15, v11
	s_waitcnt lgkmcnt(2)
	v_dot4c_i32_i8_e32 v162, v16, v8
	v_dot4c_i32_i8_e32 v162, v17, v12
	s_waitcnt lgkmcnt(1)
	v_dot4c_i32_i8_e32 v162, v18, v9
	v_dot4c_i32_i8_e32 v162, v19, v13
	ds_read_b128 v[8:11], v109 offset:64
	ds_read_b128 v[12:15], v109 offset:80
	ds_read2_b32 v[6:7], v119 offset1:1
	ds_read2_b32 v[144:145], v117 offset0:2 offset1:3
	ds_read2_b32 v[146:147], v117 offset1:1
	ds_read2_b32 v[148:149], v115 offset0:2 offset1:3
	ds_read2_b32 v[16:17], v113 offset0:18 offset1:19
	s_waitcnt lgkmcnt(6)
	v_dot4c_i32_i8_e32 v163, v20, v8
	s_waitcnt lgkmcnt(5)
	v_dot4c_i32_i8_e32 v163, v21, v12
	ds_read2_b32 v[18:19], v113 offset0:20 offset1:21
	ds_read2_b32 v[20:21], v113 offset0:22 offset1:23
	;; [unrolled: 1-line block ×3, first 2 shown]
	v_dot4c_i32_i8_e32 v164, v142, v8
	s_waitcnt lgkmcnt(3)
	v_dot4c_i32_i8_e32 v163, v16, v9
	v_add_u32_e32 v16, 0x20c8, v113
	v_dot4c_i32_i8_e32 v163, v17, v13
	ds_read2_b32 v[16:17], v16 offset1:1
	s_waitcnt lgkmcnt(3)
	v_dot4c_i32_i8_e32 v163, v18, v10
	v_dot4c_i32_i8_e32 v163, v19, v14
	s_waitcnt lgkmcnt(2)
	v_dot4c_i32_i8_e32 v163, v20, v11
	v_add_u32_e32 v18, 0x20d0, v113
	v_add_u32_e32 v20, 0x20d8, v113
	v_add_u32_e32 v142, 0x4140, v113
	v_dot4c_i32_i8_e32 v163, v21, v15
	v_dot4c_i32_i8_e32 v164, v143, v12
	ds_read2_b32 v[18:19], v18 offset1:1
	ds_read2_b32 v[20:21], v20 offset1:1
	;; [unrolled: 1-line block ×3, first 2 shown]
	s_waitcnt lgkmcnt(3)
	v_dot4c_i32_i8_e32 v164, v16, v9
	v_dot4c_i32_i8_e32 v164, v17, v13
	s_waitcnt lgkmcnt(2)
	v_dot4c_i32_i8_e32 v164, v18, v10
	v_dot4c_i32_i8_e32 v164, v19, v14
	v_mov_b32_e32 v165, 0
	s_waitcnt lgkmcnt(1)
	v_dot4c_i32_i8_e32 v164, v20, v11
	s_waitcnt lgkmcnt(0)
	v_dot4c_i32_i8_e32 v165, v142, v8
	v_add_u32_e32 v16, 0x4148, v113
	v_add_u32_e32 v18, 0x4150, v113
	;; [unrolled: 1-line block ×4, first 2 shown]
	v_dot4c_i32_i8_e32 v164, v21, v15
	ds_read2_b32 v[20:21], v121 offset1:1
	ds_read2_b32 v[152:153], v119 offset0:2 offset1:3
	v_dot4c_i32_i8_e32 v165, v143, v12
	ds_read2_b32 v[16:17], v16 offset1:1
	ds_read2_b32 v[18:19], v18 offset1:1
	;; [unrolled: 1-line block ×4, first 2 shown]
	v_mov_b32_e32 v166, 0
	v_mov_b32_e32 v167, 0
	;; [unrolled: 1-line block ×3, first 2 shown]
	s_waitcnt lgkmcnt(3)
	v_dot4c_i32_i8_e32 v165, v16, v9
	s_waitcnt lgkmcnt(0)
	v_dot4c_i32_i8_e32 v166, v154, v8
	v_add_u32_e32 v8, 0x61c8, v113
	v_dot4c_i32_i8_e32 v165, v17, v13
	ds_read2_b32 v[16:17], v8 offset1:1
	v_dot4c_i32_i8_e32 v165, v18, v10
	v_dot4c_i32_i8_e32 v165, v19, v14
	;; [unrolled: 1-line block ×4, first 2 shown]
	v_add_u32_e32 v12, 0x61d0, v113
	v_add_u32_e32 v142, 0x61d8, v113
	v_dot4c_i32_i8_e32 v165, v143, v15
	v_add_u32_e32 v8, 0x20e0, v113
	ds_read2_b32 v[18:19], v12 offset1:1
	ds_read2_b32 v[142:143], v142 offset1:1
	ds_read2_b32 v[154:155], v8 offset1:1
	s_waitcnt lgkmcnt(3)
	v_dot4c_i32_i8_e32 v166, v16, v9
	v_dot4c_i32_i8_e32 v166, v17, v13
	s_waitcnt lgkmcnt(2)
	v_dot4c_i32_i8_e32 v166, v18, v10
	v_dot4c_i32_i8_e32 v166, v19, v14
	ds_read_b128 v[16:19], v109 offset:96
	s_waitcnt lgkmcnt(2)
	v_dot4c_i32_i8_e32 v166, v142, v11
	ds_read_b128 v[8:11], v109 offset:112
	ds_read2_b32 v[12:13], v113 offset0:26 offset1:27
	v_dot4c_i32_i8_e32 v166, v143, v15
	s_waitcnt lgkmcnt(2)
	v_dot4c_i32_i8_e32 v167, v150, v16
	v_dot4c_i32_i8_e32 v168, v154, v16
	s_waitcnt lgkmcnt(1)
	v_dot4c_i32_i8_e32 v167, v151, v8
	ds_read2_b32 v[14:15], v113 offset0:28 offset1:29
	ds_read2_b32 v[142:143], v115 offset1:1
	ds_read2_b32 v[150:151], v113 offset0:30 offset1:31
	s_waitcnt lgkmcnt(3)
	v_dot4c_i32_i8_e32 v167, v12, v17
	v_add_u32_e32 v12, 0x20e8, v113
	v_dot4c_i32_i8_e32 v167, v13, v9
	ds_read2_b32 v[12:13], v12 offset1:1
	s_waitcnt lgkmcnt(3)
	v_dot4c_i32_i8_e32 v167, v14, v18
	v_dot4c_i32_i8_e32 v167, v15, v10
	s_waitcnt lgkmcnt(1)
	v_dot4c_i32_i8_e32 v167, v150, v19
	v_add_u32_e32 v14, 0x20f0, v113
	v_add_u32_e32 v150, 0x20f8, v113
	;; [unrolled: 1-line block ×3, first 2 shown]
	v_dot4c_i32_i8_e32 v167, v151, v11
	v_dot4c_i32_i8_e32 v168, v155, v8
	ds_read2_b32 v[14:15], v14 offset1:1
	ds_read2_b32 v[150:151], v150 offset1:1
	;; [unrolled: 1-line block ×3, first 2 shown]
	s_waitcnt lgkmcnt(3)
	v_dot4c_i32_i8_e32 v168, v12, v17
	v_dot4c_i32_i8_e32 v168, v13, v9
	s_waitcnt lgkmcnt(2)
	v_dot4c_i32_i8_e32 v168, v14, v18
	v_dot4c_i32_i8_e32 v168, v15, v10
	s_waitcnt lgkmcnt(1)
	v_dot4c_i32_i8_e32 v168, v150, v19
	v_cvt_f32_i32_e32 v15, v156
	v_cvt_f32_i32_e32 v14, v141
	v_dot4c_i32_i8_e32 v168, v151, v11
	v_cvt_f32_i32_e32 v151, v160
	v_cvt_f32_i32_e32 v150, v159
	v_mov_b32_e32 v12, v142
	v_mov_b32_e32 v13, v146
	v_pk_mul_f32 v[12:13], v[2:3], v[12:13] op_sel_hi:[0,1]
	v_mov_b32_e32 v146, v143
	v_pk_fma_f32 v[12:13], v[12:13], v[14:15], v[122:123]
	v_pk_mul_f32 v[14:15], v[2:3], v[146:147] op_sel:[1,0]
	v_pk_fma_f32 v[12:13], v[14:15], v[150:151], v[12:13]
	v_cvt_f32_i32_e32 v15, v164
	v_cvt_f32_i32_e32 v14, v163
	v_mov_b32_e32 v122, v148
	v_mov_b32_e32 v123, v144
	v_pk_mul_f32 v[122:123], v[4:5], v[122:123] op_sel_hi:[0,1]
	v_pk_fma_f32 v[12:13], v[122:123], v[14:15], v[12:13]
	v_cvt_f32_i32_e32 v15, v168
	v_cvt_f32_i32_e32 v14, v167
	v_mov_b32_e32 v142, v5
	v_mov_b32_e32 v144, v149
	v_pk_mul_f32 v[122:123], v[142:143], v[144:145] op_sel_hi:[0,1]
	v_add_u32_e32 v5, 0x4168, v113
	v_pk_fma_f32 v[122:123], v[122:123], v[14:15], v[12:13]
	ds_read2_b32 v[12:13], v5 offset1:1
	v_mov_b32_e32 v141, 0
	s_waitcnt lgkmcnt(1)
	v_dot4c_i32_i8_e32 v141, v154, v16
	v_add_u32_e32 v14, 0x4170, v113
	v_dot4c_i32_i8_e32 v141, v155, v8
	v_add_u32_e32 v143, 0x4178, v113
	v_add_u32_e32 v5, 0x61e0, v113
	ds_read2_b32 v[14:15], v14 offset1:1
	ds_read2_b32 v[144:145], v143 offset1:1
	;; [unrolled: 1-line block ×3, first 2 shown]
	s_waitcnt lgkmcnt(3)
	v_dot4c_i32_i8_e32 v141, v12, v17
	v_add_u32_e32 v5, 0x61e8, v113
	v_dot4c_i32_i8_e32 v141, v13, v9
	ds_read2_b32 v[12:13], v5 offset1:1
	s_waitcnt lgkmcnt(3)
	v_dot4c_i32_i8_e32 v141, v14, v18
	v_add_u32_e32 v5, 0x61f0, v113
	v_dot4c_i32_i8_e32 v141, v15, v10
	v_mov_b32_e32 v143, 0
	ds_read2_b32 v[14:15], v5 offset1:1
	s_waitcnt lgkmcnt(3)
	v_dot4c_i32_i8_e32 v141, v144, v19
	s_waitcnt lgkmcnt(2)
	v_dot4c_i32_i8_e32 v143, v146, v16
	v_add_u32_e32 v5, 0x61f8, v113
	v_dot4c_i32_i8_e32 v141, v145, v11
	v_dot4c_i32_i8_e32 v143, v147, v8
	ds_read2_b32 v[144:145], v5 offset1:1
	s_waitcnt lgkmcnt(2)
	v_dot4c_i32_i8_e32 v143, v12, v17
	v_dot4c_i32_i8_e32 v143, v13, v9
	s_waitcnt lgkmcnt(1)
	v_dot4c_i32_i8_e32 v143, v14, v18
	v_dot4c_i32_i8_e32 v143, v15, v10
	;; [unrolled: 3-line block ×3, first 2 shown]
	v_cvt_f32_i32_e32 v11, v158
	v_cvt_f32_i32_e32 v10, v157
	;; [unrolled: 1-line block ×4, first 2 shown]
	v_mov_b32_e32 v8, v6
	v_mov_b32_e32 v9, v20
	v_pk_mul_f32 v[8:9], v[2:3], v[8:9] op_sel_hi:[0,1]
	v_mov_b32_e32 v20, v7
	v_pk_fma_f32 v[8:9], v[8:9], v[10:11], v[124:125]
	v_pk_mul_f32 v[2:3], v[2:3], v[20:21] op_sel:[1,0]
	v_pk_fma_f32 v[2:3], v[2:3], v[12:13], v[8:9]
	v_mov_b32_e32 v6, v152
	v_mov_b32_e32 v7, v134
	v_cvt_f32_i32_e32 v9, v166
	v_cvt_f32_i32_e32 v8, v165
	v_pk_mul_f32 v[4:5], v[4:5], v[6:7] op_sel_hi:[0,1]
	v_cvt_f32_i32_e32 v7, v143
	v_cvt_f32_i32_e32 v6, v141
	v_mov_b32_e32 v134, v153
	v_pk_fma_f32 v[2:3], v[4:5], v[8:9], v[2:3]
	v_pk_mul_f32 v[4:5], v[142:143], v[134:135] op_sel_hi:[0,1]
	v_pk_fma_f32 v[124:125], v[4:5], v[6:7], v[2:3]
	s_cmp_ge_i32 s20, s9
	s_barrier
	s_cbranch_scc1 .LBB182_5
; %bb.13:                               ;   in Loop: Header=BB182_6 Depth=1
	v_add_u32_e32 v2, s10, v127
	v_cmp_gt_i32_e32 vcc, s12, v2
	s_and_b64 s[24:25], s[2:3], vcc
	s_and_saveexec_b64 s[4:5], s[24:25]
	s_cbranch_execz .LBB182_15
; %bb.14:                               ;   in Loop: Header=BB182_6 Depth=1
	v_add_u32_e32 v2, s10, v131
	v_mad_i64_i32 v[2:3], s[24:25], v2, 36, v[54:55]
	global_load_dword v2, v[2:3], off offset:4
	s_waitcnt vmcnt(0)
	ds_write_b32 v105, v2
.LBB182_15:                             ;   in Loop: Header=BB182_6 Depth=1
	s_or_b64 exec, exec, s[4:5]
	s_and_saveexec_b64 s[4:5], s[0:1]
	s_cbranch_execz .LBB182_4
; %bb.16:                               ;   in Loop: Header=BB182_6 Depth=1
	v_add3_u32 v2, v99, s10, 4
	v_cmp_gt_i32_e32 vcc, s12, v2
	s_and_b64 s[24:25], s[2:3], vcc
	s_and_b64 exec, exec, s[24:25]
	s_cbranch_execz .LBB182_4
; %bb.17:                               ;   in Loop: Header=BB182_6 Depth=1
	global_load_dword v2, v[56:57], off
	s_waitcnt vmcnt(0)
	v_cvt_f32_f16_e32 v2, v2
	ds_write_b32 v107, v2
	s_branch .LBB182_4
.LBB182_18:
	v_mov_b32_e32 v124, v125
	v_mov_b32_e32 v123, v125
	;; [unrolled: 1-line block ×3, first 2 shown]
.LBB182_19:
	s_mul_i32 s0, s14, s11
	s_waitcnt vmcnt(0)
	v_cmp_gt_i32_e32 vcc, s0, v97
	s_and_saveexec_b64 s[0:1], vcc
	s_cbranch_execz .LBB182_28
; %bb.20:
	v_and_b32_e32 v0, 0x3ff, v0
	v_add_u32_e32 v1, s15, v0
	v_mul_lo_u32 v0, v97, s13
	v_cmp_gt_u32_e32 vcc, s13, v1
	s_and_saveexec_b64 s[0:1], vcc
	s_cbranch_execz .LBB182_22
; %bb.21:
	v_add_u32_e32 v2, v0, v1
	v_mov_b32_e32 v3, 0
	v_lshlrev_b64 v[2:3], 2, v[2:3]
	v_mov_b32_e32 v4, s17
	v_add_co_u32_e32 v2, vcc, s16, v2
	v_addc_co_u32_e32 v3, vcc, v4, v3, vcc
	global_store_dword v[2:3], v122, off
.LBB182_22:
	s_or_b64 exec, exec, s[0:1]
	v_add_u32_e32 v2, 32, v1
	v_cmp_gt_u32_e32 vcc, s13, v2
	s_and_saveexec_b64 s[0:1], vcc
	s_cbranch_execz .LBB182_24
; %bb.23:
	v_add_u32_e32 v2, v0, v2
	v_mov_b32_e32 v3, 0
	v_lshlrev_b64 v[2:3], 2, v[2:3]
	v_mov_b32_e32 v4, s17
	v_add_co_u32_e32 v2, vcc, s16, v2
	v_addc_co_u32_e32 v3, vcc, v4, v3, vcc
	global_store_dword v[2:3], v123, off
.LBB182_24:
	s_or_b64 exec, exec, s[0:1]
	v_add_u32_e32 v2, 64, v1
	;; [unrolled: 14-line block ×3, first 2 shown]
	v_cmp_gt_u32_e32 vcc, s13, v1
	s_and_b64 exec, exec, vcc
	s_cbranch_execz .LBB182_28
; %bb.27:
	v_add_u32_e32 v0, v0, v1
	v_mov_b32_e32 v1, 0
	v_lshlrev_b64 v[0:1], 2, v[0:1]
	v_mov_b32_e32 v2, s17
	v_add_co_u32_e32 v0, vcc, s16, v0
	v_addc_co_u32_e32 v1, vcc, v2, v1, vcc
	global_store_dword v[0:1], v125, off
.LBB182_28:
	s_endpgm
	.section	.rodata,"a",@progbits
	.p2align	6, 0x0
	.amdhsa_kernel _ZL8moe_q5_0IfLb1EEvPKvS1_PT_PKiS5_S5_iiiiiii
		.amdhsa_group_segment_fixed_size 38656
		.amdhsa_private_segment_fixed_size 0
		.amdhsa_kernarg_size 76
		.amdhsa_user_sgpr_count 6
		.amdhsa_user_sgpr_private_segment_buffer 1
		.amdhsa_user_sgpr_dispatch_ptr 0
		.amdhsa_user_sgpr_queue_ptr 0
		.amdhsa_user_sgpr_kernarg_segment_ptr 1
		.amdhsa_user_sgpr_dispatch_id 0
		.amdhsa_user_sgpr_flat_scratch_init 0
		.amdhsa_user_sgpr_kernarg_preload_length 0
		.amdhsa_user_sgpr_kernarg_preload_offset 0
		.amdhsa_user_sgpr_private_segment_size 0
		.amdhsa_uses_dynamic_stack 0
		.amdhsa_system_sgpr_private_segment_wavefront_offset 0
		.amdhsa_system_sgpr_workgroup_id_x 1
		.amdhsa_system_sgpr_workgroup_id_y 1
		.amdhsa_system_sgpr_workgroup_id_z 0
		.amdhsa_system_sgpr_workgroup_info 0
		.amdhsa_system_vgpr_workitem_id 1
		.amdhsa_next_free_vgpr 169
		.amdhsa_next_free_sgpr 26
		.amdhsa_accum_offset 172
		.amdhsa_reserve_vcc 1
		.amdhsa_reserve_flat_scratch 0
		.amdhsa_float_round_mode_32 0
		.amdhsa_float_round_mode_16_64 0
		.amdhsa_float_denorm_mode_32 3
		.amdhsa_float_denorm_mode_16_64 3
		.amdhsa_dx10_clamp 1
		.amdhsa_ieee_mode 1
		.amdhsa_fp16_overflow 0
		.amdhsa_tg_split 0
		.amdhsa_exception_fp_ieee_invalid_op 0
		.amdhsa_exception_fp_denorm_src 0
		.amdhsa_exception_fp_ieee_div_zero 0
		.amdhsa_exception_fp_ieee_overflow 0
		.amdhsa_exception_fp_ieee_underflow 0
		.amdhsa_exception_fp_ieee_inexact 0
		.amdhsa_exception_int_div_zero 0
	.end_amdhsa_kernel
	.section	.text._ZL8moe_q5_0IfLb1EEvPKvS1_PT_PKiS5_S5_iiiiiii,"axG",@progbits,_ZL8moe_q5_0IfLb1EEvPKvS1_PT_PKiS5_S5_iiiiiii,comdat
.Lfunc_end182:
	.size	_ZL8moe_q5_0IfLb1EEvPKvS1_PT_PKiS5_S5_iiiiiii, .Lfunc_end182-_ZL8moe_q5_0IfLb1EEvPKvS1_PT_PKiS5_S5_iiiiiii
                                        ; -- End function
	.section	.AMDGPU.csdata,"",@progbits
; Kernel info:
; codeLenInByte = 13068
; NumSgprs: 30
; NumVgprs: 169
; NumAgprs: 0
; TotalNumVgprs: 169
; ScratchSize: 0
; MemoryBound: 0
; FloatMode: 240
; IeeeMode: 1
; LDSByteSize: 38656 bytes/workgroup (compile time only)
; SGPRBlocks: 3
; VGPRBlocks: 21
; NumSGPRsForWavesPerEU: 30
; NumVGPRsForWavesPerEU: 169
; AccumOffset: 172
; Occupancy: 1
; WaveLimiterHint : 1
; COMPUTE_PGM_RSRC2:SCRATCH_EN: 0
; COMPUTE_PGM_RSRC2:USER_SGPR: 6
; COMPUTE_PGM_RSRC2:TRAP_HANDLER: 0
; COMPUTE_PGM_RSRC2:TGID_X_EN: 1
; COMPUTE_PGM_RSRC2:TGID_Y_EN: 1
; COMPUTE_PGM_RSRC2:TGID_Z_EN: 0
; COMPUTE_PGM_RSRC2:TIDIG_COMP_CNT: 1
; COMPUTE_PGM_RSRC3_GFX90A:ACCUM_OFFSET: 42
; COMPUTE_PGM_RSRC3_GFX90A:TG_SPLIT: 0
	.section	.text._ZL8moe_q5_1IfLb0EEvPKvS1_PT_PKiS5_S5_iiiiiii,"axG",@progbits,_ZL8moe_q5_1IfLb0EEvPKvS1_PT_PKiS5_S5_iiiiiii,comdat
	.globl	_ZL8moe_q5_1IfLb0EEvPKvS1_PT_PKiS5_S5_iiiiiii ; -- Begin function _ZL8moe_q5_1IfLb0EEvPKvS1_PT_PKiS5_S5_iiiiiii
	.p2align	8
	.type	_ZL8moe_q5_1IfLb0EEvPKvS1_PT_PKiS5_S5_iiiiiii,@function
_ZL8moe_q5_1IfLb0EEvPKvS1_PT_PKiS5_S5_iiiiiii: ; @_ZL8moe_q5_1IfLb0EEvPKvS1_PT_PKiS5_S5_iiiiiii
; %bb.0:
	s_load_dwordx4 s[0:3], s[4:5], 0x18
	s_mov_b32 s8, s7
	s_mov_b32 s9, 0
	s_lshl_b64 s[10:11], s[8:9], 2
	s_waitcnt lgkmcnt(0)
	s_add_u32 s2, s2, s10
	s_addc_u32 s3, s3, s11
	s_load_dword s2, s[2:3], 0x0
	s_waitcnt lgkmcnt(0)
	s_cmpk_gt_u32 s2, 0xff
	s_cbranch_scc1 .LBB183_28
; %bb.1:
	s_load_dwordx2 s[10:11], s[4:5], 0x28
	s_lshl_b32 s3, s8, 3
	s_waitcnt lgkmcnt(0)
	s_load_dword s7, s[10:11], 0x0
	s_waitcnt lgkmcnt(0)
	s_cmp_gt_u32 s3, s7
	s_cbranch_scc1 .LBB183_28
; %bb.2:
	v_bfe_u32 v1, v0, 10, 10
	v_add_u32_e32 v96, s3, v1
	v_mov_b32_e32 v97, 0
	v_lshlrev_b64 v[2:3], 2, v[96:97]
	v_mov_b32_e32 v4, s1
	v_add_co_u32_e32 v2, vcc, s0, v2
	v_addc_co_u32_e32 v3, vcc, v4, v3, vcc
	global_load_dword v101, v[2:3], off
	s_load_dwordx2 s[14:15], s[4:5], 0x30
	s_load_dwordx2 s[12:13], s[4:5], 0x10
	s_load_dwordx4 s[8:11], s[4:5], 0x3c
	s_lshl_b32 s16, s6, 7
	s_waitcnt lgkmcnt(0)
	s_cmp_lt_i32 s15, 32
	s_cbranch_scc1 .LBB183_18
; %bb.3:
	s_ashr_i32 s1, s9, 31
	s_lshr_b32 s1, s1, 27
	s_add_i32 s1, s9, s1
	v_and_b32_e32 v116, 0x3ff, v0
	s_ashr_i32 s9, s1, 5
	v_lshlrev_b32_e32 v3, 3, v116
	s_movk_i32 s1, 0x104
	s_ashr_i32 s0, s15, 31
	v_mad_u32_u24 v118, v1, s1, v3
	v_lshlrev_b32_e32 v3, 2, v1
	v_lshrrev_b32_e32 v134, 3, v116
	s_load_dwordx4 s[4:7], s[4:5], 0x0
	s_lshr_b32 s0, s0, 27
	v_and_b32_e32 v21, 7, v116
	v_add_u32_e32 v22, v134, v3
	s_add_i32 s0, s15, s0
	s_mul_i32 s14, s2, s14
	v_and_b32_e32 v23, 0x1ffc, v22
	v_lshlrev_b32_e32 v24, 2, v21
	s_mov_b32 s2, 0x8200
	s_ashr_i32 s17, s0, 5
	v_add3_u32 v93, v23, v24, s2
	v_add_u32_e32 v23, 32, v22
	v_lshlrev_b32_e32 v2, 2, v116
	v_mul_lo_u32 v89, s17, v22
	v_lshlrev_b32_e32 v96, 5, v22
	v_and_b32_e32 v25, 0x3ffc, v23
	v_lshlrev_b32_e32 v102, 5, v23
	v_add_u32_e32 v23, 64, v22
	v_add_u32_e32 v22, 0x60, v22
	v_and_b32_e32 v117, 12, v2
	v_add3_u32 v97, v25, v24, s2
	v_and_b32_e32 v25, 0x3ffc, v23
	v_lshlrev_b32_e32 v104, 5, v23
	v_and_b32_e32 v23, 0x3ffc, v22
	v_and_b32_e32 v2, 28, v2
	v_add3_u32 v103, v25, v24, s2
	v_add3_u32 v105, v23, v24, s2
	v_lshlrev_b32_e32 v106, 5, v22
	v_and_b32_e32 v24, 31, v116
	s_waitcnt lgkmcnt(0)
	v_add_co_u32_e32 v22, vcc, s6, v2
	v_lshlrev_b32_e32 v2, 7, v1
	v_lshl_or_b32 v24, v24, 2, v2
	v_add_u32_e32 v135, 0x9280, v24
	v_mov_b32_e32 v24, 0x9680
	v_mul_lo_u32 v5, s17, v1
	v_add_u32_e32 v137, 0x9280, v2
	v_lshl_add_u32 v138, v1, 4, v24
	v_and_b32_e32 v1, 0xfc, v116
	v_lshlrev_b32_e32 v2, 5, v116
	v_or_b32_e32 v3, v3, v116
	v_add3_u32 v140, v2, v1, s2
	v_add_u32_e32 v1, 32, v116
	v_lshl_add_u32 v136, v3, 2, v24
	v_and_b32_e32 v2, 0x1fc, v1
	v_lshlrev_b32_e32 v3, 5, v1
	v_add3_u32 v141, v3, v2, s2
	v_add_u32_e32 v2, 64, v116
	v_and_b32_e32 v3, 0x1fc, v2
	v_lshlrev_b32_e32 v2, 5, v2
	s_abs_i32 s3, s11
	v_add3_u32 v142, v2, v3, s2
	v_cvt_f32_u32_e32 v3, s3
	v_add_u32_e32 v2, 0x60, v116
	v_and_b32_e32 v24, 0x1fc, v2
	v_lshlrev_b32_e32 v2, 5, v2
	v_add3_u32 v143, v2, v24, s2
	v_rcp_iflag_f32_e32 v2, v3
	s_sub_i32 s2, 0, s3
	s_waitcnt vmcnt(0)
	v_sub_u32_e32 v3, 0, v101
	v_max_i32_e32 v3, v101, v3
	v_mul_f32_e32 v2, 0x4f7ffffe, v2
	v_cvt_u32_f32_e32 v2, v2
	v_mov_b32_e32 v23, s7
	v_addc_co_u32_e32 v23, vcc, 0, v23, vcc
	v_mul_lo_u32 v24, s2, v2
	v_mul_hi_u32 v24, v2, v24
	v_add_u32_e32 v2, v2, v24
	v_mul_hi_u32 v2, v3, v2
	v_mul_lo_u32 v24, v2, s3
	v_sub_u32_e32 v3, v3, v24
	v_add_u32_e32 v24, 1, v2
	v_cmp_le_u32_e32 vcc, s3, v3
	v_cndmask_b32_e32 v2, v2, v24, vcc
	v_subrev_u32_e32 v24, s3, v3
	v_cndmask_b32_e32 v3, v3, v24, vcc
	v_lshrrev_b32_e32 v144, 3, v1
	v_xor_b32_e32 v1, s11, v101
	v_add_u32_e32 v24, 1, v2
	v_cmp_le_u32_e32 vcc, s3, v3
	v_ashrrev_i32_e32 v1, 31, v1
	v_cndmask_b32_e32 v2, v2, v24, vcc
	v_xor_b32_e32 v2, v2, v1
	v_sub_u32_e32 v1, v2, v1
	v_cmp_gt_i32_e64 s[2:3], s8, v1
	v_mul_lo_u32 v1, v1, s9
	v_ashrrev_i32_e32 v2, 31, v1
	v_add_co_u32_e32 v3, vcc, v1, v116
	s_mul_i32 s20, s17, s16
	v_addc_co_u32_e32 v24, vcc, 0, v2, vcc
	v_mad_u64_u32 v[2:3], s[22:23], v3, 36, s[6:7]
	s_movk_i32 s21, 0x90
	v_mad_i32_i24 v3, v24, 36, v3
	v_add_co_u32_e32 v24, vcc, s21, v2
	s_mul_hi_i32 s21, s20, 24
	s_mul_i32 s22, s20, 24
	v_lshrrev_b32_e32 v4, 2, v116
	v_addc_co_u32_e32 v25, vcc, 0, v3, vcc
	v_mov_b32_e32 v2, s22
	v_mov_b32_e32 v3, s21
	s_lshl_b32 s1, s17, 3
	v_mad_u64_u32 v[2:3], s[22:23], v4, 24, v[2:3]
	v_add_u32_e32 v6, s1, v5
	v_mad_u64_u32 v[4:5], s[22:23], v5, 24, v[2:3]
	v_add_u32_e32 v145, v116, v1
	v_add_u32_e32 v146, v144, v1
	;; [unrolled: 1-line block ×3, first 2 shown]
	v_add_co_u32_e32 v1, vcc, v4, v117
	v_addc_co_u32_e32 v26, vcc, 0, v5, vcc
	v_mov_b32_e32 v85, s5
	v_add_co_u32_e32 v1, vcc, s4, v1
	v_addc_co_u32_e32 v27, vcc, v26, v85, vcc
	v_add_co_u32_e32 v26, vcc, 8, v1
	v_addc_co_u32_e32 v1, vcc, 0, v27, vcc
	v_mov_b32_e32 v27, s5
	v_add_co_u32_e32 v28, vcc, s4, v4
	v_addc_co_u32_e32 v27, vcc, v27, v5, vcc
	v_mad_u64_u32 v[4:5], s[22:23], v6, 24, v[2:3]
	v_add_co_u32_e32 v4, vcc, s4, v4
	v_addc_co_u32_e32 v5, vcc, v5, v85, vcc
	v_add_u32_e32 v7, s1, v6
	v_add_co_u32_e32 v6, vcc, v4, v117
	v_addc_co_u32_e32 v29, vcc, 0, v5, vcc
	v_add_co_u32_e32 v30, vcc, 8, v6
	v_addc_co_u32_e32 v29, vcc, 0, v29, vcc
	;; [unrolled: 2-line block ×3, first 2 shown]
	v_mad_u64_u32 v[4:5], s[22:23], v7, 24, v[2:3]
	v_add_co_u32_e32 v4, vcc, s4, v4
	v_addc_co_u32_e32 v5, vcc, v5, v85, vcc
	v_add_co_u32_e32 v6, vcc, v4, v117
	v_add_u32_e32 v8, s1, v7
	v_addc_co_u32_e32 v7, vcc, 0, v5, vcc
	v_add_co_u32_e32 v34, vcc, 8, v6
	v_addc_co_u32_e32 v33, vcc, 0, v7, vcc
	v_add_co_u32_e32 v36, vcc, 4, v4
	v_addc_co_u32_e32 v35, vcc, 0, v5, vcc
	v_mad_u64_u32 v[4:5], s[22:23], v8, 24, v[2:3]
	v_add_co_u32_e32 v4, vcc, s4, v4
	v_addc_co_u32_e32 v5, vcc, v5, v85, vcc
	v_add_co_u32_e32 v6, vcc, v4, v117
	v_addc_co_u32_e32 v7, vcc, 0, v5, vcc
	v_add_co_u32_e32 v38, vcc, 8, v6
	v_addc_co_u32_e32 v37, vcc, 0, v7, vcc
	v_add_u32_e32 v9, s1, v8
	v_add_co_u32_e32 v40, vcc, 4, v4
	v_addc_co_u32_e32 v39, vcc, 0, v5, vcc
	v_mad_u64_u32 v[4:5], s[22:23], v9, 24, v[2:3]
	v_add_co_u32_e32 v4, vcc, s4, v4
	v_addc_co_u32_e32 v5, vcc, v5, v85, vcc
	v_add_co_u32_e32 v6, vcc, v4, v117
	v_addc_co_u32_e32 v7, vcc, 0, v5, vcc
	v_add_co_u32_e32 v42, vcc, 8, v6
	v_addc_co_u32_e32 v41, vcc, 0, v7, vcc
	v_add_u32_e32 v10, s1, v9
	;; [unrolled: 10-line block ×12, first 2 shown]
	v_add_co_u32_e32 v84, vcc, 4, v4
	v_addc_co_u32_e32 v83, vcc, 0, v5, vcc
	v_mad_u64_u32 v[2:3], s[22:23], v20, 24, v[2:3]
	v_add_co_u32_e32 v2, vcc, s4, v2
	v_addc_co_u32_e32 v3, vcc, v3, v85, vcc
	v_add_co_u32_e32 v4, vcc, v2, v117
	v_addc_co_u32_e32 v5, vcc, 0, v3, vcc
	;; [unrolled: 2-line block ×4, first 2 shown]
	v_mad_u64_u32 v[2:3], s[22:23], v89, 24, 0
	v_mad_i64_i32 v[2:3], s[22:23], s20, 24, v[2:3]
	s_andn2_b32 s0, s0, 31
	v_mad_u64_u32 v[2:3], s[22:23], v21, 24, v[2:3]
	v_add_u32_e32 v91, s0, v89
	v_mov_b32_e32 v4, s5
	v_add_co_u32_e32 v90, vcc, s4, v2
	v_addc_co_u32_e32 v89, vcc, v4, v3, vcc
	v_mad_u64_u32 v[2:3], s[22:23], v91, 24, 0
	v_mad_i64_i32 v[2:3], s[22:23], s20, 24, v[2:3]
	v_mad_u64_u32 v[2:3], s[22:23], v21, 24, v[2:3]
	v_add_u32_e32 v92, s0, v91
	v_add_co_u32_e32 v94, vcc, s4, v2
	v_addc_co_u32_e32 v91, vcc, v4, v3, vcc
	v_mad_u64_u32 v[2:3], s[22:23], v92, 24, 0
	v_mad_i64_i32 v[2:3], s[22:23], s20, 24, v[2:3]
	v_mad_u64_u32 v[2:3], s[22:23], v21, 24, v[2:3]
	v_add_u32_e32 v99, s0, v92
	v_add_co_u32_e32 v98, vcc, s4, v2
	v_addc_co_u32_e32 v95, vcc, v4, v3, vcc
	v_mad_u64_u32 v[2:3], s[22:23], v99, 24, 0
	v_mad_i64_i32 v[2:3], s[20:21], s20, 24, v[2:3]
	v_mad_u64_u32 v[2:3], s[20:21], v21, 24, v[2:3]
	v_add_co_u32_e32 v100, vcc, s4, v2
	v_mov_b32_e32 v92, 0
	s_ashr_i32 s18, s14, 31
	s_mov_b32 s19, 0
	v_add_u32_e32 v119, 0x820, v118
	v_add_u32_e32 v120, 0x1040, v118
	;; [unrolled: 1-line block ×15, first 2 shown]
	v_cmp_gt_u32_e64 s[0:1], 4, v116
	v_mul_u32_u24_e32 v139, 0x104, v116
	v_addc_co_u32_e32 v99, vcc, v4, v3, vcc
	s_movk_i32 s20, 0x80
	v_add_u32_e32 v148, v93, v96
	v_add_u32_e32 v149, v97, v102
	;; [unrolled: 1-line block ×4, first 2 shown]
	v_mov_b32_e32 v93, v92
	v_mov_b32_e32 v96, v92
	;; [unrolled: 1-line block ×3, first 2 shown]
	s_branch .LBB183_6
.LBB183_4:                              ;   in Loop: Header=BB183_6 Depth=1
	s_or_b64 exec, exec, s[4:5]
	s_waitcnt lgkmcnt(0)
	s_barrier
	ds_read_b128 v[14:17], v137
	ds_read_b128 v[18:21], v137 offset:16
	ds_read_b128 v[2:5], v138
	ds_read2_b32 v[102:103], v139 offset0:32 offset1:33
	ds_read_b128 v[10:13], v137 offset:32
	ds_read_b128 v[6:9], v137 offset:48
	ds_read2_b32 v[104:105], v140 offset0:4 offset1:5
	ds_read2_b32 v[106:107], v139 offset0:34 offset1:35
	v_mov_b32_e32 v110, 0
	s_waitcnt lgkmcnt(4)
	v_dot4c_i32_i8_e32 v110, v102, v14
	v_dot4c_i32_i8_e32 v110, v103, v18
	ds_read2_b32 v[102:103], v139 offset0:36 offset1:37
	ds_read2_b32 v[112:113], v139 offset0:38 offset1:39
	;; [unrolled: 1-line block ×3, first 2 shown]
	s_waitcnt lgkmcnt(3)
	v_dot4c_i32_i8_e32 v110, v106, v15
	v_dot4c_i32_i8_e32 v110, v107, v19
	s_waitcnt lgkmcnt(2)
	v_dot4c_i32_i8_e32 v110, v102, v16
	v_dot4c_i32_i8_e32 v110, v103, v20
	;; [unrolled: 3-line block ×3, first 2 shown]
	v_add_u32_e32 v102, 0x2100, v139
	ds_read2_b32 v[112:113], v139 offset0:58 offset1:59
	ds_read2_b32 v[114:115], v139 offset0:60 offset1:61
	;; [unrolled: 1-line block ×3, first 2 shown]
	ds_read2_b32 v[106:107], v102 offset1:1
	v_mov_b32_e32 v168, 0
	v_pk_mul_f16 v111, v2, v104
	v_add_u32_e32 v104, 0x2108, v139
	ds_read2_b32 v[154:155], v141 offset0:4 offset1:5
	ds_read2_b32 v[102:103], v143 offset0:6 offset1:7
	s_waitcnt lgkmcnt(2)
	v_dot4c_i32_i8_e32 v168, v106, v14
	v_dot4c_i32_i8_e32 v168, v107, v18
	ds_read2_b32 v[106:107], v104 offset1:1
	v_add_u32_e32 v156, 0x2110, v139
	v_add_u32_e32 v158, 0x2118, v139
	;; [unrolled: 1-line block ×3, first 2 shown]
	ds_read2_b32 v[156:157], v156 offset1:1
	ds_read2_b32 v[158:159], v158 offset1:1
	;; [unrolled: 1-line block ×3, first 2 shown]
	s_waitcnt lgkmcnt(3)
	v_dot4c_i32_i8_e32 v168, v106, v15
	v_dot4c_i32_i8_e32 v168, v107, v19
	s_waitcnt lgkmcnt(2)
	v_dot4c_i32_i8_e32 v168, v156, v16
	v_dot4c_i32_i8_e32 v168, v157, v20
	v_mov_b32_e32 v169, 0
	s_waitcnt lgkmcnt(1)
	v_dot4c_i32_i8_e32 v168, v158, v17
	s_waitcnt lgkmcnt(0)
	v_dot4c_i32_i8_e32 v169, v160, v14
	v_add_u32_e32 v104, 0x4188, v139
	v_add_u32_e32 v162, 0x4190, v139
	;; [unrolled: 1-line block ×3, first 2 shown]
	v_dot4c_i32_i8_e32 v168, v159, v21
	ds_read2_b32 v[156:157], v142 offset0:4 offset1:5
	ds_read2_b32 v[106:107], v141 offset0:6 offset1:7
	;; [unrolled: 1-line block ×3, first 2 shown]
	v_dot4c_i32_i8_e32 v169, v161, v18
	ds_read2_b32 v[160:161], v104 offset1:1
	v_add_u32_e32 v104, 0x6200, v139
	ds_read2_b32 v[162:163], v162 offset1:1
	ds_read2_b32 v[164:165], v164 offset1:1
	;; [unrolled: 1-line block ×3, first 2 shown]
	v_mov_b32_e32 v170, 0
	v_add_u32_e32 v104, 0x6218, v139
	s_waitcnt lgkmcnt(3)
	v_dot4c_i32_i8_e32 v169, v160, v15
	v_dot4c_i32_i8_e32 v169, v161, v19
	s_waitcnt lgkmcnt(0)
	v_dot4c_i32_i8_e32 v170, v166, v14
	v_add_u32_e32 v14, 0x6208, v139
	ds_read2_b32 v[160:161], v14 offset1:1
	v_dot4c_i32_i8_e32 v169, v162, v16
	v_dot4c_i32_i8_e32 v169, v163, v20
	v_dot4c_i32_i8_e32 v169, v164, v17
	v_dot4c_i32_i8_e32 v170, v167, v18
	v_add_u32_e32 v18, 0x6210, v139
	v_dot4c_i32_i8_e32 v169, v165, v21
	v_add_u32_e32 v14, 0x2120, v139
	ds_read2_b32 v[162:163], v18 offset1:1
	ds_read2_b32 v[164:165], v104 offset1:1
	;; [unrolled: 1-line block ×3, first 2 shown]
	s_waitcnt lgkmcnt(3)
	v_dot4c_i32_i8_e32 v170, v160, v15
	v_dot4c_i32_i8_e32 v170, v161, v19
	s_waitcnt lgkmcnt(2)
	v_dot4c_i32_i8_e32 v170, v162, v16
	v_dot4c_i32_i8_e32 v170, v163, v20
	ds_read2_b32 v[18:19], v143 offset0:4 offset1:5
	ds_read2_b32 v[14:15], v142 offset0:6 offset1:7
	s_waitcnt lgkmcnt(3)
	v_dot4c_i32_i8_e32 v170, v164, v17
	ds_read2_b32 v[16:17], v139 offset0:42 offset1:43
	v_mov_b32_e32 v163, 0
	v_dot4c_i32_i8_e32 v163, v108, v10
	v_dot4c_i32_i8_e32 v170, v165, v21
	;; [unrolled: 1-line block ×3, first 2 shown]
	ds_read2_b32 v[20:21], v139 offset0:44 offset1:45
	ds_read2_b32 v[108:109], v139 offset0:46 offset1:47
	;; [unrolled: 1-line block ×3, first 2 shown]
	v_pk_mul_f16 v154, v2, v154
	v_pk_mul_f16 v156, v2, v156
	s_waitcnt lgkmcnt(5)
	v_pk_mul_f16 v162, v2, v18
	s_waitcnt lgkmcnt(3)
	v_dot4c_i32_i8_e32 v163, v16, v11
	v_add_u32_e32 v2, 0x2128, v139
	v_dot4c_i32_i8_e32 v163, v17, v7
	ds_read2_b32 v[16:17], v2 offset1:1
	s_waitcnt lgkmcnt(3)
	v_dot4c_i32_i8_e32 v163, v20, v12
	v_dot4c_i32_i8_e32 v163, v21, v8
	v_mov_b32_e32 v165, 0
	s_waitcnt lgkmcnt(2)
	v_dot4c_i32_i8_e32 v163, v108, v13
	v_dot4c_i32_i8_e32 v165, v166, v10
	v_add_u32_e32 v18, 0x2130, v139
	v_add_u32_e32 v104, 0x2138, v139
	v_dot4c_i32_i8_e32 v163, v109, v9
	v_pk_mul_f16 v164, v3, v105
	v_dot4c_i32_i8_e32 v165, v167, v6
	v_add_u32_e32 v2, 0x41a0, v139
	ds_read2_b32 v[20:21], v18 offset1:1
	ds_read2_b32 v[104:105], v104 offset1:1
	;; [unrolled: 1-line block ×3, first 2 shown]
	s_waitcnt lgkmcnt(3)
	v_dot4c_i32_i8_e32 v165, v16, v11
	v_dot4c_i32_i8_e32 v165, v17, v7
	v_add_u32_e32 v2, 0x41a8, v139
	s_waitcnt lgkmcnt(2)
	v_dot4c_i32_i8_e32 v165, v20, v12
	ds_read2_b32 v[16:17], v2 offset1:1
	v_dot4c_i32_i8_e32 v165, v21, v8
	v_mov_b32_e32 v166, 0
	s_waitcnt lgkmcnt(2)
	v_dot4c_i32_i8_e32 v165, v104, v13
	s_waitcnt lgkmcnt(1)
	v_dot4c_i32_i8_e32 v166, v108, v10
	v_add_u32_e32 v18, 0x41b0, v139
	v_add_u32_e32 v104, 0x41b8, v139
	v_dot4c_i32_i8_e32 v165, v105, v9
	v_dot4c_i32_i8_e32 v166, v109, v6
	v_add_u32_e32 v2, 0x6220, v139
	ds_read2_b32 v[20:21], v18 offset1:1
	ds_read2_b32 v[104:105], v104 offset1:1
	;; [unrolled: 1-line block ×3, first 2 shown]
	s_waitcnt lgkmcnt(3)
	v_dot4c_i32_i8_e32 v166, v16, v11
	v_add_u32_e32 v2, 0x6228, v139
	v_dot4c_i32_i8_e32 v166, v17, v7
	ds_read2_b32 v[16:17], v2 offset1:1
	s_waitcnt lgkmcnt(3)
	v_dot4c_i32_i8_e32 v166, v20, v12
	v_mov_b32_e32 v167, 0
	v_dot4c_i32_i8_e32 v166, v21, v8
	s_waitcnt lgkmcnt(1)
	v_dot4c_i32_i8_e32 v167, v108, v10
	v_dot4c_i32_i8_e32 v166, v104, v13
	;; [unrolled: 1-line block ×3, first 2 shown]
	v_add_u32_e32 v6, 0x6230, v139
	v_dot4c_i32_i8_e32 v166, v105, v9
	v_add_u32_e32 v10, 0x6238, v139
	v_add_u32_e32 v2, 0x2140, v139
	ds_read2_b32 v[20:21], v6 offset1:1
	ds_read2_b32 v[104:105], v10 offset1:1
	;; [unrolled: 1-line block ×3, first 2 shown]
	s_waitcnt lgkmcnt(3)
	v_dot4c_i32_i8_e32 v167, v16, v11
	v_dot4c_i32_i8_e32 v167, v17, v7
	s_waitcnt lgkmcnt(2)
	v_dot4c_i32_i8_e32 v167, v20, v12
	v_dot4c_i32_i8_e32 v167, v21, v8
	s_waitcnt lgkmcnt(1)
	v_dot4c_i32_i8_e32 v167, v104, v13
	ds_read_b128 v[10:13], v137 offset:64
	v_dot4c_i32_i8_e32 v167, v105, v9
	ds_read_b128 v[6:9], v137 offset:80
	v_pk_mul_f16 v155, v3, v155
	v_pk_mul_f16 v157, v3, v157
	;; [unrolled: 1-line block ×3, first 2 shown]
	ds_read2_b32 v[2:3], v139 offset0:50 offset1:51
	v_mov_b32_e32 v172, 0
	s_waitcnt lgkmcnt(2)
	v_dot4c_i32_i8_e32 v172, v160, v10
	s_waitcnt lgkmcnt(1)
	v_dot4c_i32_i8_e32 v172, v161, v6
	ds_read2_b32 v[16:17], v139 offset0:52 offset1:53
	ds_read2_b32 v[18:19], v139 offset0:54 offset1:55
	;; [unrolled: 1-line block ×3, first 2 shown]
	s_waitcnt lgkmcnt(3)
	v_dot4c_i32_i8_e32 v172, v2, v11
	v_add_u32_e32 v2, 0x2148, v139
	v_dot4c_i32_i8_e32 v172, v3, v7
	ds_read2_b32 v[2:3], v2 offset1:1
	s_waitcnt lgkmcnt(3)
	v_dot4c_i32_i8_e32 v172, v16, v12
	v_dot4c_i32_i8_e32 v172, v17, v8
	v_mov_b32_e32 v160, 0
	s_waitcnt lgkmcnt(2)
	v_dot4c_i32_i8_e32 v172, v18, v13
	v_dot4c_i32_i8_e32 v160, v108, v10
	v_add_u32_e32 v16, 0x2150, v139
	v_add_u32_e32 v18, 0x2158, v139
	;; [unrolled: 1-line block ×3, first 2 shown]
	v_dot4c_i32_i8_e32 v172, v19, v9
	v_dot4c_i32_i8_e32 v160, v109, v6
	ds_read2_b32 v[16:17], v16 offset1:1
	ds_read2_b32 v[18:19], v18 offset1:1
	;; [unrolled: 1-line block ×3, first 2 shown]
	s_waitcnt lgkmcnt(3)
	v_dot4c_i32_i8_e32 v160, v2, v11
	v_dot4c_i32_i8_e32 v160, v3, v7
	v_add_u32_e32 v2, 0x41c8, v139
	s_waitcnt lgkmcnt(2)
	v_dot4c_i32_i8_e32 v160, v16, v12
	ds_read2_b32 v[2:3], v2 offset1:1
	v_dot4c_i32_i8_e32 v160, v17, v8
	v_mov_b32_e32 v161, 0
	s_waitcnt lgkmcnt(2)
	v_dot4c_i32_i8_e32 v160, v18, v13
	s_waitcnt lgkmcnt(1)
	v_dot4c_i32_i8_e32 v161, v104, v10
	v_add_u32_e32 v16, 0x41d0, v139
	v_add_u32_e32 v18, 0x41d8, v139
	v_add_u32_e32 v104, 0x6240, v139
	v_dot4c_i32_i8_e32 v160, v19, v9
	v_dot4c_i32_i8_e32 v161, v105, v6
	ds_read2_b32 v[16:17], v16 offset1:1
	ds_read2_b32 v[18:19], v18 offset1:1
	ds_read2_b32 v[104:105], v104 offset1:1
	s_waitcnt lgkmcnt(3)
	v_dot4c_i32_i8_e32 v161, v2, v11
	v_add_u32_e32 v2, 0x6248, v139
	v_dot4c_i32_i8_e32 v161, v3, v7
	ds_read2_b32 v[2:3], v2 offset1:1
	v_mov_b32_e32 v174, 0
	s_waitcnt lgkmcnt(1)
	v_dot4c_i32_i8_e32 v174, v104, v10
	v_dot4c_i32_i8_e32 v161, v16, v12
	;; [unrolled: 1-line block ×3, first 2 shown]
	v_add_u32_e32 v6, 0x6250, v139
	v_dot4c_i32_i8_e32 v161, v17, v8
	v_pk_mul_f16 v173, v4, v14
	v_add_u32_e32 v10, 0x6258, v139
	v_add_u32_e32 v14, 0x2160, v139
	ds_read2_b32 v[16:17], v6 offset1:1
	ds_read2_b32 v[104:105], v10 offset1:1
	;; [unrolled: 1-line block ×3, first 2 shown]
	s_waitcnt lgkmcnt(3)
	v_dot4c_i32_i8_e32 v174, v2, v11
	v_dot4c_i32_i8_e32 v174, v3, v7
	s_waitcnt lgkmcnt(2)
	v_dot4c_i32_i8_e32 v174, v16, v12
	v_dot4c_i32_i8_e32 v161, v18, v13
	;; [unrolled: 1-line block ×4, first 2 shown]
	s_waitcnt lgkmcnt(1)
	v_dot4c_i32_i8_e32 v174, v104, v13
	ds_read_b128 v[10:13], v137 offset:96
	ds_read_b128 v[16:19], v137 offset:112
	v_pk_mul_f16 v158, v4, v158
	v_pk_mul_f16 v106, v4, v106
	v_pk_mul_f16 v102, v4, v102
	v_mov_b32_e32 v4, 0
	v_add_u32_e32 v2, 0x2168, v139
	s_waitcnt lgkmcnt(1)
	v_dot4c_i32_i8_e32 v4, v20, v10
	ds_read2_b32 v[2:3], v2 offset1:1
	s_waitcnt lgkmcnt(1)
	v_dot4c_i32_i8_e32 v4, v21, v16
	v_dot4c_i32_i8_e32 v4, v112, v11
	v_mov_b32_e32 v112, 0
	v_dot4c_i32_i8_e32 v112, v108, v10
	v_add_u32_e32 v6, 0x2170, v139
	v_add_u32_e32 v8, 0x2178, v139
	;; [unrolled: 1-line block ×3, first 2 shown]
	v_dot4c_i32_i8_e32 v174, v105, v9
	v_dot4c_i32_i8_e32 v112, v109, v16
	ds_read2_b32 v[6:7], v6 offset1:1
	ds_read2_b32 v[8:9], v8 offset1:1
	;; [unrolled: 1-line block ×3, first 2 shown]
	s_waitcnt lgkmcnt(3)
	v_dot4c_i32_i8_e32 v112, v2, v11
	v_dot4c_i32_i8_e32 v112, v3, v17
	s_waitcnt lgkmcnt(2)
	v_dot4c_i32_i8_e32 v112, v6, v12
	v_dot4c_i32_i8_e32 v112, v7, v18
	;; [unrolled: 3-line block ×3, first 2 shown]
	v_cvt_f32_f16_e32 v3, v154
	v_cvt_f32_f16_e32 v2, v111
	v_cvt_f32_f16_sdwa v7, v154 dst_sel:DWORD dst_unused:UNUSED_PAD src0_sel:WORD_1
	v_cvt_f32_f16_sdwa v6, v111 dst_sel:DWORD dst_unused:UNUSED_PAD src0_sel:WORD_1
	v_cvt_f32_i32_e32 v9, v168
	v_cvt_f32_i32_e32 v8, v110
	v_dot4c_i32_i8_e32 v4, v113, v17
	v_cvt_f32_f16_e32 v105, v155
	v_cvt_f32_f16_e32 v104, v164
	v_cvt_f32_f16_sdwa v109, v155 dst_sel:DWORD dst_unused:UNUSED_PAD src0_sel:WORD_1
	v_cvt_f32_f16_sdwa v108, v164 dst_sel:DWORD dst_unused:UNUSED_PAD src0_sel:WORD_1
	v_cvt_f32_i32_e32 v111, v165
	v_cvt_f32_i32_e32 v110, v163
	v_dot4c_i32_i8_e32 v4, v114, v12
	v_dot4c_i32_i8_e32 v4, v115, v18
	;; [unrolled: 1-line block ×3, first 2 shown]
	v_pk_fma_f32 v[2:3], v[2:3], v[8:9], v[6:7]
	v_dot4c_i32_i8_e32 v4, v153, v19
	v_pk_mul_f16 v14, v5, v159
	v_pk_mul_f16 v113, v5, v107
	v_pk_add_f32 v[2:3], v[92:93], v[2:3]
	v_pk_fma_f32 v[6:7], v[104:105], v[110:111], v[108:109]
	v_cvt_f32_f16_e32 v9, v106
	v_cvt_f32_f16_e32 v8, v158
	v_cvt_f32_f16_sdwa v93, v106 dst_sel:DWORD dst_unused:UNUSED_PAD src0_sel:WORD_1
	v_cvt_f32_f16_sdwa v92, v158 dst_sel:DWORD dst_unused:UNUSED_PAD src0_sel:WORD_1
	v_cvt_f32_i32_e32 v105, v160
	v_cvt_f32_i32_e32 v104, v172
	v_cvt_f32_f16_e32 v107, v113
	v_cvt_f32_f16_e32 v106, v14
	v_cvt_f32_f16_sdwa v109, v113 dst_sel:DWORD dst_unused:UNUSED_PAD src0_sel:WORD_1
	v_cvt_f32_f16_sdwa v108, v14 dst_sel:DWORD dst_unused:UNUSED_PAD src0_sel:WORD_1
	v_cvt_f32_i32_e32 v111, v112
	v_cvt_f32_i32_e32 v110, v4
	v_pk_add_f32 v[2:3], v[2:3], v[6:7]
	v_pk_fma_f32 v[6:7], v[8:9], v[104:105], v[92:93]
	v_pk_add_f32 v[2:3], v[2:3], v[6:7]
	v_pk_fma_f32 v[6:7], v[106:107], v[110:111], v[108:109]
	v_pk_add_f32 v[92:93], v[2:3], v[6:7]
	v_add_u32_e32 v2, 0x41e8, v139
	ds_read2_b32 v[2:3], v2 offset1:1
	v_mov_b32_e32 v104, 0
	s_waitcnt lgkmcnt(1)
	v_dot4c_i32_i8_e32 v104, v20, v10
	v_add_u32_e32 v4, 0x41f0, v139
	v_add_u32_e32 v8, 0x41f8, v139
	v_dot4c_i32_i8_e32 v104, v21, v16
	v_add_u32_e32 v14, 0x6260, v139
	ds_read2_b32 v[6:7], v4 offset1:1
	ds_read2_b32 v[8:9], v8 offset1:1
	;; [unrolled: 1-line block ×3, first 2 shown]
	s_waitcnt lgkmcnt(3)
	v_dot4c_i32_i8_e32 v104, v2, v11
	v_add_u32_e32 v2, 0x6268, v139
	v_dot4c_i32_i8_e32 v104, v3, v17
	ds_read2_b32 v[2:3], v2 offset1:1
	s_waitcnt lgkmcnt(3)
	v_dot4c_i32_i8_e32 v104, v6, v12
	v_add_u32_e32 v4, 0x6270, v139
	v_dot4c_i32_i8_e32 v104, v7, v18
	ds_read2_b32 v[6:7], v4 offset1:1
	v_mov_b32_e32 v106, 0
	s_waitcnt lgkmcnt(3)
	v_dot4c_i32_i8_e32 v104, v8, v13
	s_waitcnt lgkmcnt(2)
	v_dot4c_i32_i8_e32 v106, v20, v10
	v_add_u32_e32 v4, 0x6278, v139
	v_dot4c_i32_i8_e32 v104, v9, v19
	v_dot4c_i32_i8_e32 v106, v21, v16
	ds_read2_b32 v[8:9], v4 offset1:1
	s_waitcnt lgkmcnt(2)
	v_dot4c_i32_i8_e32 v106, v2, v11
	v_dot4c_i32_i8_e32 v106, v3, v17
	s_waitcnt lgkmcnt(1)
	v_dot4c_i32_i8_e32 v106, v6, v12
	v_dot4c_i32_i8_e32 v106, v7, v18
	s_waitcnt lgkmcnt(0)
	v_dot4c_i32_i8_e32 v106, v8, v13
	v_pk_mul_f16 v105, v5, v15
	v_dot4c_i32_i8_e32 v106, v9, v19
	v_cvt_f32_f16_e32 v3, v162
	v_cvt_f32_f16_e32 v2, v156
	v_cvt_f32_f16_sdwa v7, v162 dst_sel:DWORD dst_unused:UNUSED_PAD src0_sel:WORD_1
	v_cvt_f32_f16_sdwa v6, v156 dst_sel:DWORD dst_unused:UNUSED_PAD src0_sel:WORD_1
	v_cvt_f32_i32_e32 v9, v170
	v_cvt_f32_i32_e32 v8, v169
	v_cvt_f32_f16_e32 v11, v171
	v_cvt_f32_f16_e32 v10, v157
	v_cvt_f32_f16_sdwa v13, v171 dst_sel:DWORD dst_unused:UNUSED_PAD src0_sel:WORD_1
	v_cvt_f32_f16_sdwa v12, v157 dst_sel:DWORD dst_unused:UNUSED_PAD src0_sel:WORD_1
	v_cvt_f32_i32_e32 v15, v167
	v_cvt_f32_i32_e32 v14, v166
	v_pk_mul_f16 v16, v5, v103
	v_pk_fma_f32 v[2:3], v[2:3], v[8:9], v[6:7]
	v_cvt_f32_f16_e32 v7, v102
	v_pk_fma_f32 v[4:5], v[10:11], v[14:15], v[12:13]
	v_cvt_f32_f16_e32 v6, v173
	v_cvt_f32_f16_sdwa v9, v102 dst_sel:DWORD dst_unused:UNUSED_PAD src0_sel:WORD_1
	v_cvt_f32_f16_sdwa v8, v173 dst_sel:DWORD dst_unused:UNUSED_PAD src0_sel:WORD_1
	v_cvt_f32_i32_e32 v11, v174
	v_cvt_f32_i32_e32 v10, v161
	v_cvt_f32_f16_e32 v13, v16
	v_cvt_f32_f16_e32 v12, v105
	v_cvt_f32_f16_sdwa v15, v16 dst_sel:DWORD dst_unused:UNUSED_PAD src0_sel:WORD_1
	v_cvt_f32_f16_sdwa v14, v105 dst_sel:DWORD dst_unused:UNUSED_PAD src0_sel:WORD_1
	v_cvt_f32_i32_e32 v17, v106
	v_cvt_f32_i32_e32 v16, v104
	v_pk_add_f32 v[2:3], v[96:97], v[2:3]
	v_pk_add_f32 v[2:3], v[2:3], v[4:5]
	v_pk_fma_f32 v[4:5], v[6:7], v[10:11], v[8:9]
	v_pk_add_f32 v[2:3], v[2:3], v[4:5]
	v_pk_fma_f32 v[4:5], v[12:13], v[16:17], v[14:15]
	v_pk_add_f32 v[96:97], v[2:3], v[4:5]
	s_barrier
.LBB183_5:                              ;   in Loop: Header=BB183_6 Depth=1
	v_add_co_u32_e32 v24, vcc, 0x120, v24
	v_addc_co_u32_e32 v25, vcc, 0, v25, vcc
	v_add_co_u32_e32 v26, vcc, 0xc0, v26
	v_addc_co_u32_e32 v1, vcc, 0, v1, vcc
	;; [unrolled: 2-line block ×36, first 2 shown]
	s_add_i32 s19, s19, 8
	s_addk_i32 s20, 0x100
	v_add_co_u32_e32 v100, vcc, 0xc0, v100
	s_cmp_ge_i32 s19, s17
	v_addc_co_u32_e32 v99, vcc, 0, v99, vcc
	s_cbranch_scc1 .LBB183_19
.LBB183_6:                              ; =>This Inner Loop Header: Depth=1
	v_mov_b32_e32 v2, s18
	v_add_co_u32_e32 v4, vcc, s14, v26
	v_addc_co_u32_e32 v5, vcc, v1, v2, vcc
	global_load_dword v3, v[4:5], off
	v_add_co_u32_e32 v4, vcc, s14, v28
	v_addc_co_u32_e32 v5, vcc, v27, v2, vcc
	global_load_dword v8, v[4:5], off offset:4
	v_add_co_u32_e32 v4, vcc, s14, v30
	v_addc_co_u32_e32 v5, vcc, v29, v2, vcc
	v_add_co_u32_e32 v6, vcc, s14, v32
	v_addc_co_u32_e32 v7, vcc, v31, v2, vcc
	global_load_dword v9, v[6:7], off
	global_load_dword v10, v[4:5], off
	v_add_co_u32_e32 v4, vcc, s14, v36
	v_addc_co_u32_e32 v5, vcc, v35, v2, vcc
	global_load_dword v11, v[4:5], off
	v_add_co_u32_e32 v4, vcc, s14, v34
	v_addc_co_u32_e32 v5, vcc, v33, v2, vcc
	;; [unrolled: 3-line block ×3, first 2 shown]
	v_add_co_u32_e32 v6, vcc, s14, v40
	v_addc_co_u32_e32 v7, vcc, v39, v2, vcc
	global_load_dword v13, v[4:5], off
	s_nop 0
	global_load_dword v6, v[6:7], off
	s_add_i32 s4, s20, 0xffffff80
	s_cmp_lt_i32 s4, s15
	s_waitcnt vmcnt(7)
	v_lshrrev_b32_e32 v5, 4, v3
	v_and_b32_e32 v3, 0xf0f0f0f, v3
	v_and_b32_e32 v5, 0xf0f0f0f, v5
	s_waitcnt vmcnt(6)
	v_ashrrev_i32_e32 v4, v117, v8
	v_lshlrev_b32_e32 v14, 11, v4
	v_lshrrev_b32_e32 v15, 12, v4
	v_lshrrev_b32_e32 v16, 5, v4
	v_lshlrev_b32_e32 v17, 2, v4
	v_lshlrev_b32_e32 v18, 18, v4
	;; [unrolled: 1-line block ×3, first 2 shown]
	v_and_b32_e32 v15, 16, v15
	s_waitcnt vmcnt(5)
	v_ashrrev_i32_e32 v7, v117, v9
	s_waitcnt vmcnt(4)
	v_lshrrev_b32_e32 v8, 4, v10
	v_and_b32_e32 v9, 0xf0f0f0f, v10
	v_lshlrev_b32_e32 v10, 4, v4
	v_lshlrev_b32_e32 v4, 25, v4
	v_and_b32_e32 v10, 16, v10
	v_and_b32_e32 v16, 0x1000, v16
	v_and_b32_e32 v14, 0x1000, v14
	v_and_b32_e32 v18, 0x100000, v18
	v_and_b32_e32 v17, 0x100000, v17
	v_and_b32_e32 v4, 0x10000000, v4
	v_and_b32_e32 v19, 0x10000000, v19
	v_or3_b32 v3, v10, v3, v14
	v_or3_b32 v5, v15, v5, v16
	;; [unrolled: 1-line block ×4, first 2 shown]
	v_add_co_u32_e32 v4, vcc, s14, v44
	ds_write2_b32 v118, v3, v5 offset1:1
	v_addc_co_u32_e32 v5, vcc, v43, v2, vcc
	global_load_dword v3, v[4:5], off
	v_add_co_u32_e32 v4, vcc, s14, v42
	v_lshlrev_b32_e32 v20, 4, v7
	v_lshlrev_b32_e32 v21, 11, v7
	v_lshrrev_b32_e32 v102, 12, v7
	v_lshrrev_b32_e32 v103, 5, v7
	v_addc_co_u32_e32 v5, vcc, v41, v2, vcc
	v_and_b32_e32 v8, 0xf0f0f0f, v8
	v_lshlrev_b32_e32 v104, 2, v7
	v_lshlrev_b32_e32 v105, 18, v7
	;; [unrolled: 1-line block ×3, first 2 shown]
	v_and_b32_e32 v102, 16, v102
	v_and_b32_e32 v20, 16, v20
	;; [unrolled: 1-line block ×4, first 2 shown]
	global_load_dword v10, v[4:5], off
	v_lshlrev_b32_e32 v4, 25, v7
	v_and_b32_e32 v105, 0x100000, v105
	v_and_b32_e32 v104, 0x100000, v104
	v_or3_b32 v9, v20, v9, v21
	v_or3_b32 v8, v102, v8, v103
	v_and_b32_e32 v4, 0x10000000, v4
	v_and_b32_e32 v5, 0x10000000, v106
	v_or3_b32 v5, v8, v104, v5
	v_or3_b32 v4, v9, v105, v4
	s_waitcnt vmcnt(5)
	v_ashrrev_i32_e32 v7, v117, v11
	ds_write2_b32 v119, v4, v5 offset1:1
	v_lshlrev_b32_e32 v4, 4, v7
	v_lshlrev_b32_e32 v5, 11, v7
	s_waitcnt vmcnt(4)
	v_lshrrev_b32_e32 v8, 4, v12
	v_lshrrev_b32_e32 v9, 12, v7
	;; [unrolled: 1-line block ×3, first 2 shown]
	v_and_b32_e32 v12, 0xf0f0f0f, v12
	v_and_b32_e32 v4, 16, v4
	;; [unrolled: 1-line block ×6, first 2 shown]
	v_or3_b32 v12, v4, v12, v5
	v_lshlrev_b32_e32 v4, 2, v7
	v_or3_b32 v8, v9, v8, v11
	v_lshlrev_b32_e32 v5, 18, v7
	v_and_b32_e32 v11, 0x100000, v4
	v_add_co_u32_e32 v4, vcc, s14, v48
	v_and_b32_e32 v9, 0x100000, v5
	v_addc_co_u32_e32 v5, vcc, v47, v2, vcc
	global_load_dword v15, v[4:5], off
	v_add_co_u32_e32 v4, vcc, s14, v46
	v_addc_co_u32_e32 v5, vcc, v45, v2, vcc
	v_lshlrev_b32_e32 v14, 9, v7
	global_load_dword v16, v[4:5], off
	v_lshlrev_b32_e32 v4, 25, v7
	v_and_b32_e32 v4, 0x10000000, v4
	v_and_b32_e32 v5, 0x10000000, v14
	v_or3_b32 v5, v8, v11, v5
	v_or3_b32 v4, v12, v9, v4
	s_waitcnt vmcnt(4)
	v_ashrrev_i32_e32 v6, v117, v6
	ds_write2_b32 v120, v4, v5 offset1:1
	v_lshlrev_b32_e32 v4, 4, v6
	v_lshlrev_b32_e32 v5, 11, v6
	v_lshrrev_b32_e32 v7, 4, v13
	v_lshrrev_b32_e32 v8, 12, v6
	v_lshrrev_b32_e32 v9, 5, v6
	v_and_b32_e32 v11, 0xf0f0f0f, v13
	v_and_b32_e32 v4, 16, v4
	;; [unrolled: 1-line block ×6, first 2 shown]
	v_or3_b32 v11, v4, v11, v5
	v_lshlrev_b32_e32 v4, 2, v6
	v_or3_b32 v7, v8, v7, v9
	v_lshlrev_b32_e32 v5, 18, v6
	v_and_b32_e32 v9, 0x100000, v4
	v_add_co_u32_e32 v4, vcc, s14, v52
	v_and_b32_e32 v8, 0x100000, v5
	v_addc_co_u32_e32 v5, vcc, v51, v2, vcc
	global_load_dword v13, v[4:5], off
	v_add_co_u32_e32 v4, vcc, s14, v50
	v_addc_co_u32_e32 v5, vcc, v49, v2, vcc
	global_load_dword v14, v[4:5], off
	v_lshlrev_b32_e32 v12, 9, v6
	v_lshlrev_b32_e32 v4, 25, v6
	v_and_b32_e32 v4, 0x10000000, v4
	v_and_b32_e32 v5, 0x10000000, v12
	v_or3_b32 v5, v7, v9, v5
	v_or3_b32 v4, v11, v8, v4
	s_waitcnt vmcnt(5)
	v_ashrrev_i32_e32 v3, v117, v3
	ds_write2_b32 v121, v4, v5 offset1:1
	v_lshlrev_b32_e32 v4, 4, v3
	v_lshlrev_b32_e32 v5, 11, v3
	s_waitcnt vmcnt(4)
	v_lshrrev_b32_e32 v6, 4, v10
	v_lshrrev_b32_e32 v7, 12, v3
	;; [unrolled: 1-line block ×3, first 2 shown]
	v_and_b32_e32 v9, 0xf0f0f0f, v10
	v_and_b32_e32 v4, 16, v4
	;; [unrolled: 1-line block ×6, first 2 shown]
	v_or3_b32 v9, v4, v9, v5
	v_lshlrev_b32_e32 v4, 2, v3
	v_or3_b32 v6, v7, v6, v8
	v_lshlrev_b32_e32 v5, 18, v3
	v_and_b32_e32 v8, 0x100000, v4
	v_add_co_u32_e32 v4, vcc, s14, v56
	v_and_b32_e32 v7, 0x100000, v5
	v_addc_co_u32_e32 v5, vcc, v55, v2, vcc
	global_load_dword v11, v[4:5], off
	v_add_co_u32_e32 v4, vcc, s14, v54
	v_lshlrev_b32_e32 v10, 9, v3
	v_addc_co_u32_e32 v5, vcc, v53, v2, vcc
	v_lshlrev_b32_e32 v3, 25, v3
	global_load_dword v12, v[4:5], off
	v_and_b32_e32 v3, 0x10000000, v3
	v_and_b32_e32 v4, 0x10000000, v10
	v_or3_b32 v4, v6, v8, v4
	v_or3_b32 v3, v9, v7, v3
	ds_write2_b32 v122, v3, v4 offset1:1
	s_waitcnt vmcnt(5)
	v_ashrrev_i32_e32 v3, v117, v15
	v_lshlrev_b32_e32 v4, 4, v3
	v_lshlrev_b32_e32 v5, 11, v3
	s_waitcnt vmcnt(4)
	v_lshrrev_b32_e32 v6, 4, v16
	v_lshrrev_b32_e32 v7, 12, v3
	;; [unrolled: 1-line block ×3, first 2 shown]
	v_and_b32_e32 v9, 0xf0f0f0f, v16
	v_and_b32_e32 v4, 16, v4
	;; [unrolled: 1-line block ×6, first 2 shown]
	v_or3_b32 v9, v4, v9, v5
	v_lshlrev_b32_e32 v4, 2, v3
	v_or3_b32 v6, v7, v6, v8
	v_lshlrev_b32_e32 v5, 18, v3
	v_and_b32_e32 v8, 0x100000, v4
	v_add_co_u32_e32 v4, vcc, s14, v60
	v_and_b32_e32 v7, 0x100000, v5
	v_addc_co_u32_e32 v5, vcc, v59, v2, vcc
	global_load_dword v15, v[4:5], off
	v_add_co_u32_e32 v4, vcc, s14, v58
	v_lshlrev_b32_e32 v10, 9, v3
	v_addc_co_u32_e32 v5, vcc, v57, v2, vcc
	v_lshlrev_b32_e32 v3, 25, v3
	global_load_dword v16, v[4:5], off
	v_and_b32_e32 v3, 0x10000000, v3
	v_and_b32_e32 v4, 0x10000000, v10
	v_or3_b32 v4, v6, v8, v4
	v_or3_b32 v3, v9, v7, v3
	ds_write2_b32 v123, v3, v4 offset1:1
	s_waitcnt vmcnt(5)
	v_ashrrev_i32_e32 v3, v117, v13
	v_lshlrev_b32_e32 v4, 4, v3
	v_lshlrev_b32_e32 v5, 11, v3
	s_waitcnt vmcnt(4)
	v_lshrrev_b32_e32 v6, 4, v14
	v_lshrrev_b32_e32 v7, 12, v3
	;; [unrolled: 1-line block ×3, first 2 shown]
	v_and_b32_e32 v9, 0xf0f0f0f, v14
	v_and_b32_e32 v4, 16, v4
	;; [unrolled: 1-line block ×6, first 2 shown]
	v_or3_b32 v9, v4, v9, v5
	v_lshlrev_b32_e32 v4, 2, v3
	v_or3_b32 v6, v7, v6, v8
	v_lshlrev_b32_e32 v5, 18, v3
	v_and_b32_e32 v8, 0x100000, v4
	v_add_co_u32_e32 v4, vcc, s14, v64
	v_and_b32_e32 v7, 0x100000, v5
	v_addc_co_u32_e32 v5, vcc, v63, v2, vcc
	global_load_dword v13, v[4:5], off
	v_add_co_u32_e32 v4, vcc, s14, v62
	v_addc_co_u32_e32 v5, vcc, v61, v2, vcc
	global_load_dword v14, v[4:5], off
	v_lshlrev_b32_e32 v10, 9, v3
	v_lshlrev_b32_e32 v3, 25, v3
	v_and_b32_e32 v3, 0x10000000, v3
	v_and_b32_e32 v4, 0x10000000, v10
	v_or3_b32 v4, v6, v8, v4
	v_or3_b32 v3, v9, v7, v3
	ds_write2_b32 v124, v3, v4 offset1:1
	s_waitcnt vmcnt(5)
	v_ashrrev_i32_e32 v3, v117, v11
	v_lshlrev_b32_e32 v4, 4, v3
	v_lshlrev_b32_e32 v5, 11, v3
	v_lshrrev_b32_e32 v7, 12, v3
	s_waitcnt vmcnt(4)
	v_lshrrev_b32_e32 v6, 4, v12
	v_lshrrev_b32_e32 v8, 5, v3
	v_and_b32_e32 v9, 0xf0f0f0f, v12
	v_and_b32_e32 v4, 16, v4
	;; [unrolled: 1-line block ×6, first 2 shown]
	v_or3_b32 v9, v4, v9, v5
	v_lshlrev_b32_e32 v4, 2, v3
	v_or3_b32 v6, v7, v6, v8
	v_lshlrev_b32_e32 v5, 18, v3
	v_and_b32_e32 v8, 0x100000, v4
	v_add_co_u32_e32 v4, vcc, s14, v68
	v_and_b32_e32 v7, 0x100000, v5
	v_addc_co_u32_e32 v5, vcc, v67, v2, vcc
	global_load_dword v11, v[4:5], off
	v_add_co_u32_e32 v4, vcc, s14, v66
	v_lshlrev_b32_e32 v10, 9, v3
	v_addc_co_u32_e32 v5, vcc, v65, v2, vcc
	v_lshlrev_b32_e32 v3, 25, v3
	global_load_dword v12, v[4:5], off
	v_and_b32_e32 v3, 0x10000000, v3
	v_and_b32_e32 v4, 0x10000000, v10
	v_or3_b32 v4, v6, v8, v4
	v_or3_b32 v3, v9, v7, v3
	ds_write2_b32 v125, v3, v4 offset1:1
	s_waitcnt vmcnt(5)
	v_ashrrev_i32_e32 v3, v117, v15
	v_lshlrev_b32_e32 v4, 4, v3
	v_lshlrev_b32_e32 v5, 11, v3
	v_and_b32_e32 v4, 16, v4
	s_waitcnt vmcnt(4)
	v_and_b32_e32 v9, 0xf0f0f0f, v16
	v_and_b32_e32 v5, 0x1000, v5
	v_lshrrev_b32_e32 v6, 4, v16
	v_lshrrev_b32_e32 v7, 12, v3
	;; [unrolled: 1-line block ×3, first 2 shown]
	v_or3_b32 v9, v4, v9, v5
	v_add_co_u32_e32 v4, vcc, s14, v72
	v_and_b32_e32 v6, 0xf0f0f0f, v6
	v_and_b32_e32 v7, 16, v7
	;; [unrolled: 1-line block ×3, first 2 shown]
	v_addc_co_u32_e32 v5, vcc, v71, v2, vcc
	v_or3_b32 v6, v7, v6, v8
	global_load_dword v7, v[4:5], off
	v_add_co_u32_e32 v4, vcc, s14, v70
	v_addc_co_u32_e32 v5, vcc, v69, v2, vcc
	global_load_dword v8, v[4:5], off
	v_lshlrev_b32_e32 v4, 2, v3
	v_lshlrev_b32_e32 v5, 18, v3
	;; [unrolled: 1-line block ×4, first 2 shown]
	v_and_b32_e32 v5, 0x100000, v5
	v_and_b32_e32 v4, 0x100000, v4
	v_and_b32_e32 v3, 0x10000000, v3
	v_and_b32_e32 v10, 0x10000000, v10
	v_or3_b32 v4, v6, v4, v10
	v_or3_b32 v3, v9, v5, v3
	ds_write2_b32 v126, v3, v4 offset1:1
	s_waitcnt vmcnt(5)
	v_ashrrev_i32_e32 v3, v117, v13
	v_lshrrev_b32_e32 v5, 12, v3
	s_waitcnt vmcnt(4)
	v_lshrrev_b32_e32 v4, 4, v14
	v_and_b32_e32 v13, 0xf0f0f0f, v4
	v_add_co_u32_e32 v4, vcc, s14, v76
	v_and_b32_e32 v15, 16, v5
	v_addc_co_u32_e32 v5, vcc, v75, v2, vcc
	global_load_dword v16, v[4:5], off
	v_add_co_u32_e32 v4, vcc, s14, v74
	v_addc_co_u32_e32 v5, vcc, v73, v2, vcc
	global_load_dword v17, v[4:5], off
	v_lshlrev_b32_e32 v6, 4, v3
	v_lshlrev_b32_e32 v9, 11, v3
	v_lshrrev_b32_e32 v10, 5, v3
	v_and_b32_e32 v14, 0xf0f0f0f, v14
	v_and_b32_e32 v4, 16, v6
	;; [unrolled: 1-line block ×4, first 2 shown]
	v_or3_b32 v4, v4, v14, v6
	v_lshlrev_b32_e32 v6, 2, v3
	v_lshlrev_b32_e32 v9, 18, v3
	v_lshlrev_b32_e32 v10, 9, v3
	v_lshlrev_b32_e32 v3, 25, v3
	v_or3_b32 v5, v15, v13, v5
	v_and_b32_e32 v9, 0x100000, v9
	v_and_b32_e32 v6, 0x100000, v6
	;; [unrolled: 1-line block ×4, first 2 shown]
	v_or3_b32 v5, v5, v6, v10
	v_or3_b32 v3, v4, v9, v3
	ds_write2_b32 v127, v3, v5 offset1:1
	s_waitcnt vmcnt(5)
	v_ashrrev_i32_e32 v3, v117, v11
	v_lshlrev_b32_e32 v4, 4, v3
	v_lshlrev_b32_e32 v5, 11, v3
	v_lshrrev_b32_e32 v9, 12, v3
	s_waitcnt vmcnt(4)
	v_lshrrev_b32_e32 v6, 4, v12
	v_lshrrev_b32_e32 v10, 5, v3
	v_and_b32_e32 v11, 0xf0f0f0f, v12
	v_and_b32_e32 v4, 16, v4
	;; [unrolled: 1-line block ×6, first 2 shown]
	v_or3_b32 v11, v4, v11, v5
	v_lshlrev_b32_e32 v4, 2, v3
	v_or3_b32 v6, v9, v6, v10
	v_lshlrev_b32_e32 v5, 18, v3
	v_and_b32_e32 v10, 0x100000, v4
	v_add_co_u32_e32 v4, vcc, s14, v80
	v_and_b32_e32 v9, 0x100000, v5
	v_lshlrev_b32_e32 v12, 9, v3
	v_lshlrev_b32_e32 v3, 25, v3
	v_addc_co_u32_e32 v5, vcc, v79, v2, vcc
	v_and_b32_e32 v3, 0x10000000, v3
	global_load_dword v13, v[4:5], off
	v_and_b32_e32 v4, 0x10000000, v12
	v_or3_b32 v4, v6, v10, v4
	v_or3_b32 v3, v11, v9, v3
	ds_write2_b32 v128, v3, v4 offset1:1
	s_waitcnt vmcnt(4)
	v_ashrrev_i32_e32 v3, v117, v7
	v_lshlrev_b32_e32 v4, 4, v3
	v_lshlrev_b32_e32 v5, 11, v3
	s_waitcnt vmcnt(3)
	v_lshrrev_b32_e32 v6, 4, v8
	v_and_b32_e32 v8, 0xf0f0f0f, v8
	v_and_b32_e32 v4, 16, v4
	;; [unrolled: 1-line block ×3, first 2 shown]
	v_lshrrev_b32_e32 v7, 12, v3
	v_lshrrev_b32_e32 v9, 5, v3
	v_or3_b32 v8, v4, v8, v5
	v_add_co_u32_e32 v4, vcc, s14, v78
	v_and_b32_e32 v6, 0xf0f0f0f, v6
	v_and_b32_e32 v7, 16, v7
	v_and_b32_e32 v9, 0x1000, v9
	v_addc_co_u32_e32 v5, vcc, v77, v2, vcc
	v_or3_b32 v6, v7, v6, v9
	global_load_dword v7, v[4:5], off
	v_lshlrev_b32_e32 v4, 2, v3
	v_lshlrev_b32_e32 v5, 18, v3
	;; [unrolled: 1-line block ×4, first 2 shown]
	v_and_b32_e32 v5, 0x100000, v5
	v_and_b32_e32 v4, 0x100000, v4
	;; [unrolled: 1-line block ×4, first 2 shown]
	v_or3_b32 v4, v6, v4, v9
	v_or3_b32 v3, v8, v5, v3
	ds_write2_b32 v129, v3, v4 offset1:1
	v_add_co_u32_e32 v4, vcc, s14, v84
	v_addc_co_u32_e32 v5, vcc, v83, v2, vcc
	global_load_dword v10, v[4:5], off
	v_add_co_u32_e32 v4, vcc, s14, v82
	s_waitcnt vmcnt(4)
	v_ashrrev_i32_e32 v3, v117, v16
	v_addc_co_u32_e32 v5, vcc, v81, v2, vcc
	v_lshlrev_b32_e32 v6, 4, v3
	v_lshlrev_b32_e32 v8, 11, v3
	s_waitcnt vmcnt(3)
	v_lshrrev_b32_e32 v9, 4, v17
	global_load_dword v11, v[4:5], off
	v_lshrrev_b32_e32 v4, 12, v3
	v_lshrrev_b32_e32 v5, 5, v3
	v_and_b32_e32 v9, 0xf0f0f0f, v9
	v_and_b32_e32 v12, 0xf0f0f0f, v17
	;; [unrolled: 1-line block ×6, first 2 shown]
	v_or3_b32 v6, v6, v12, v8
	v_or3_b32 v8, v4, v9, v5
	v_lshlrev_b32_e32 v4, 2, v3
	v_lshlrev_b32_e32 v5, 18, v3
	v_and_b32_e32 v12, 0x100000, v4
	v_add_co_u32_e32 v4, vcc, s14, v88
	v_and_b32_e32 v9, 0x100000, v5
	v_addc_co_u32_e32 v5, vcc, v87, v2, vcc
	global_load_dword v15, v[4:5], off
	v_add_co_u32_e32 v4, vcc, s14, v86
	v_lshlrev_b32_e32 v14, 9, v3
	v_addc_co_u32_e32 v5, vcc, v85, v2, vcc
	v_lshlrev_b32_e32 v3, 25, v3
	global_load_dword v16, v[4:5], off
	v_and_b32_e32 v3, 0x10000000, v3
	v_and_b32_e32 v4, 0x10000000, v14
	v_or3_b32 v4, v8, v12, v4
	v_or3_b32 v3, v6, v9, v3
	ds_write2_b32 v130, v3, v4 offset1:1
	v_add_co_u32_e32 v4, vcc, s14, v90
	v_addc_co_u32_e32 v5, vcc, v89, v2, vcc
	global_load_dword v6, v[4:5], off
	v_add_co_u32_e32 v4, vcc, s14, v94
	v_addc_co_u32_e32 v5, vcc, v91, v2, vcc
	global_load_dword v8, v[4:5], off
	;; [unrolled: 3-line block ×4, first 2 shown]
	s_waitcnt vmcnt(9)
	v_ashrrev_i32_e32 v3, v117, v13
	v_lshlrev_b32_e32 v4, 4, v3
	v_lshlrev_b32_e32 v5, 11, v3
	s_waitcnt vmcnt(8)
	v_lshrrev_b32_e32 v12, 4, v7
	v_lshrrev_b32_e32 v13, 12, v3
	;; [unrolled: 1-line block ×3, first 2 shown]
	v_and_b32_e32 v12, 0xf0f0f0f, v12
	v_and_b32_e32 v7, 0xf0f0f0f, v7
	;; [unrolled: 1-line block ×6, first 2 shown]
	v_or3_b32 v4, v4, v7, v5
	v_or3_b32 v5, v13, v12, v14
	v_lshlrev_b32_e32 v7, 2, v3
	v_lshlrev_b32_e32 v12, 18, v3
	;; [unrolled: 1-line block ×4, first 2 shown]
	v_and_b32_e32 v12, 0x100000, v12
	v_and_b32_e32 v7, 0x100000, v7
	;; [unrolled: 1-line block ×4, first 2 shown]
	v_or3_b32 v5, v5, v7, v13
	v_or3_b32 v3, v4, v12, v3
	ds_write2_b32 v131, v3, v5 offset1:1
	s_waitcnt vmcnt(7)
	v_ashrrev_i32_e32 v3, v117, v10
	v_lshlrev_b32_e32 v4, 4, v3
	v_lshlrev_b32_e32 v5, 11, v3
	s_waitcnt vmcnt(6)
	v_lshrrev_b32_e32 v7, 4, v11
	v_lshrrev_b32_e32 v10, 12, v3
	;; [unrolled: 1-line block ×3, first 2 shown]
	v_and_b32_e32 v7, 0xf0f0f0f, v7
	v_and_b32_e32 v11, 0xf0f0f0f, v11
	;; [unrolled: 1-line block ×6, first 2 shown]
	v_or3_b32 v4, v4, v11, v5
	v_or3_b32 v5, v10, v7, v12
	v_lshlrev_b32_e32 v7, 2, v3
	v_lshlrev_b32_e32 v10, 18, v3
	;; [unrolled: 1-line block ×4, first 2 shown]
	v_and_b32_e32 v10, 0x100000, v10
	v_and_b32_e32 v7, 0x100000, v7
	;; [unrolled: 1-line block ×4, first 2 shown]
	v_or3_b32 v5, v5, v7, v11
	v_or3_b32 v3, v4, v10, v3
	ds_write2_b32 v132, v3, v5 offset1:1
	s_waitcnt vmcnt(5)
	v_ashrrev_i32_e32 v3, v117, v15
	v_lshlrev_b32_e32 v4, 4, v3
	v_lshlrev_b32_e32 v5, 11, v3
	v_lshrrev_b32_e32 v10, 12, v3
	s_waitcnt vmcnt(4)
	v_lshrrev_b32_e32 v7, 4, v16
	v_lshrrev_b32_e32 v11, 5, v3
	v_and_b32_e32 v7, 0xf0f0f0f, v7
	v_and_b32_e32 v12, 0xf0f0f0f, v16
	;; [unrolled: 1-line block ×6, first 2 shown]
	v_or3_b32 v4, v4, v12, v5
	v_or3_b32 v5, v10, v7, v11
	v_lshlrev_b32_e32 v7, 2, v3
	v_lshlrev_b32_e32 v10, 18, v3
	;; [unrolled: 1-line block ×4, first 2 shown]
	v_and_b32_e32 v10, 0x100000, v10
	v_and_b32_e32 v7, 0x100000, v7
	;; [unrolled: 1-line block ×4, first 2 shown]
	v_or3_b32 v5, v5, v7, v11
	v_or3_b32 v3, v4, v10, v3
	ds_write2_b32 v133, v3, v5 offset1:1
	s_waitcnt vmcnt(3)
	ds_write_b32 v148, v6
	s_waitcnt vmcnt(2)
	ds_write_b32 v149, v8
	;; [unrolled: 2-line block ×4, first 2 shown]
	s_cbranch_scc0 .LBB183_5
; %bb.7:                                ;   in Loop: Header=BB183_6 Depth=1
	v_add_u32_e32 v2, s19, v134
	v_cmp_gt_i32_e32 vcc, s9, v2
	s_and_b64 s[22:23], s[2:3], vcc
	s_and_saveexec_b64 s[4:5], s[22:23]
	s_cbranch_execz .LBB183_9
; %bb.8:                                ;   in Loop: Header=BB183_6 Depth=1
	v_add_u32_e32 v2, s19, v147
	v_mad_i64_i32 v[2:3], s[22:23], v2, 36, v[22:23]
	global_load_dword v2, v[2:3], off offset:4
	s_waitcnt vmcnt(0)
	ds_write_b32 v135, v2
.LBB183_9:                              ;   in Loop: Header=BB183_6 Depth=1
	s_or_b64 exec, exec, s[4:5]
	s_and_saveexec_b64 s[4:5], s[0:1]
	s_cbranch_execz .LBB183_12
; %bb.10:                               ;   in Loop: Header=BB183_6 Depth=1
	v_add_u32_e32 v2, s19, v116
	v_cmp_gt_i32_e32 vcc, s9, v2
	s_and_b64 s[22:23], s[2:3], vcc
	s_and_b64 exec, exec, s[22:23]
	s_cbranch_execz .LBB183_12
; %bb.11:                               ;   in Loop: Header=BB183_6 Depth=1
	v_add_u32_e32 v2, s19, v145
	v_mad_i64_i32 v[2:3], s[22:23], v2, 36, s[6:7]
	global_load_dword v2, v[2:3], off
	s_waitcnt vmcnt(0)
	ds_write_b32 v136, v2
.LBB183_12:                             ;   in Loop: Header=BB183_6 Depth=1
	s_or_b64 exec, exec, s[4:5]
	s_waitcnt lgkmcnt(0)
	s_barrier
	ds_read_b128 v[14:17], v137
	ds_read_b128 v[18:21], v137 offset:16
	ds_read_b128 v[2:5], v138
	ds_read2_b32 v[104:105], v139 offset1:1
	ds_read_b128 v[10:13], v137 offset:32
	ds_read_b128 v[6:9], v137 offset:48
	ds_read2_b32 v[102:103], v140 offset1:1
	ds_read2_b32 v[106:107], v139 offset0:2 offset1:3
	v_mov_b32_e32 v166, 0
	s_waitcnt lgkmcnt(4)
	v_dot4c_i32_i8_e32 v166, v104, v14
	v_dot4c_i32_i8_e32 v166, v105, v18
	s_waitcnt lgkmcnt(1)
	v_pk_mul_f16 v172, v2, v102
	s_waitcnt lgkmcnt(0)
	v_dot4c_i32_i8_e32 v166, v106, v15
	v_add_u32_e32 v102, 0x2080, v139
	ds_read2_b32 v[104:105], v139 offset0:4 offset1:5
	ds_read2_b32 v[108:109], v139 offset0:6 offset1:7
	;; [unrolled: 1-line block ×3, first 2 shown]
	v_dot4c_i32_i8_e32 v166, v107, v19
	ds_read2_b32 v[152:153], v139 offset0:26 offset1:27
	ds_read2_b32 v[154:155], v139 offset0:28 offset1:29
	;; [unrolled: 1-line block ×3, first 2 shown]
	ds_read2_b32 v[106:107], v102 offset1:1
	ds_read2_b32 v[158:159], v141 offset1:1
	v_mov_b32_e32 v102, 0
	s_waitcnt lgkmcnt(7)
	v_dot4c_i32_i8_e32 v166, v104, v16
	v_dot4c_i32_i8_e32 v166, v105, v20
	s_waitcnt lgkmcnt(1)
	v_dot4c_i32_i8_e32 v102, v106, v14
	v_add_u32_e32 v106, 0x2088, v139
	ds_read2_b32 v[104:105], v143 offset0:2 offset1:3
	v_dot4c_i32_i8_e32 v102, v107, v18
	ds_read2_b32 v[106:107], v106 offset1:1
	v_dot4c_i32_i8_e32 v166, v108, v17
	v_dot4c_i32_i8_e32 v166, v109, v21
	v_add_u32_e32 v109, 0x2090, v139
	v_add_u32_e32 v114, 0x2098, v139
	;; [unrolled: 1-line block ×3, first 2 shown]
	ds_read2_b32 v[112:113], v109 offset1:1
	ds_read2_b32 v[114:115], v114 offset1:1
	;; [unrolled: 1-line block ×3, first 2 shown]
	s_waitcnt lgkmcnt(3)
	v_dot4c_i32_i8_e32 v102, v106, v15
	v_dot4c_i32_i8_e32 v102, v107, v19
	s_waitcnt lgkmcnt(2)
	v_dot4c_i32_i8_e32 v102, v112, v16
	v_dot4c_i32_i8_e32 v102, v113, v20
	;; [unrolled: 3-line block ×3, first 2 shown]
	v_add_u32_e32 v106, 0x4108, v139
	ds_read2_b32 v[162:163], v142 offset1:1
	ds_read2_b32 v[112:113], v141 offset0:2 offset1:3
	ds_read2_b32 v[164:165], v140 offset0:2 offset1:3
	v_cvt_f32_i32_e32 v115, v102
	v_mov_b32_e32 v102, 0
	ds_read2_b32 v[106:107], v106 offset1:1
	v_pk_mul_f16 v173, v2, v158
	v_cvt_f32_i32_e32 v114, v166
	s_waitcnt lgkmcnt(4)
	v_dot4c_i32_i8_e32 v102, v160, v14
	v_add_u32_e32 v158, 0x4110, v139
	v_add_u32_e32 v166, 0x4118, v139
	;; [unrolled: 1-line block ×3, first 2 shown]
	v_dot4c_i32_i8_e32 v102, v161, v18
	ds_read2_b32 v[160:161], v158 offset1:1
	ds_read2_b32 v[166:167], v166 offset1:1
	;; [unrolled: 1-line block ×3, first 2 shown]
	s_waitcnt lgkmcnt(3)
	v_dot4c_i32_i8_e32 v102, v106, v15
	v_dot4c_i32_i8_e32 v102, v107, v19
	v_mov_b32_e32 v158, 0
	s_waitcnt lgkmcnt(2)
	v_dot4c_i32_i8_e32 v102, v160, v16
	s_waitcnt lgkmcnt(0)
	v_dot4c_i32_i8_e32 v158, v168, v14
	v_add_u32_e32 v14, 0x6188, v139
	v_dot4c_i32_i8_e32 v102, v161, v20
	ds_read2_b32 v[160:161], v14 offset1:1
	v_dot4c_i32_i8_e32 v102, v166, v17
	v_dot4c_i32_i8_e32 v158, v169, v18
	v_add_u32_e32 v18, 0x6190, v139
	v_dot4c_i32_i8_e32 v102, v167, v21
	v_add_u32_e32 v107, 0x6198, v139
	v_add_u32_e32 v14, 0x20a0, v139
	ds_read2_b32 v[166:167], v18 offset1:1
	ds_read2_b32 v[168:169], v107 offset1:1
	;; [unrolled: 1-line block ×3, first 2 shown]
	s_waitcnt lgkmcnt(3)
	v_dot4c_i32_i8_e32 v158, v160, v15
	v_dot4c_i32_i8_e32 v158, v161, v19
	s_waitcnt lgkmcnt(2)
	v_dot4c_i32_i8_e32 v158, v166, v16
	v_dot4c_i32_i8_e32 v158, v167, v20
	s_waitcnt lgkmcnt(1)
	v_dot4c_i32_i8_e32 v158, v168, v17
	ds_read2_b32 v[18:19], v143 offset1:1
	ds_read2_b32 v[16:17], v142 offset0:2 offset1:3
	v_dot4c_i32_i8_e32 v158, v169, v21
	ds_read2_b32 v[20:21], v139 offset0:10 offset1:11
	v_mov_b32_e32 v169, 0
	v_dot4c_i32_i8_e32 v169, v110, v10
	v_dot4c_i32_i8_e32 v169, v111, v6
	ds_read2_b32 v[110:111], v139 offset0:12 offset1:13
	ds_read2_b32 v[160:161], v139 offset0:14 offset1:15
	;; [unrolled: 1-line block ×3, first 2 shown]
	v_pk_mul_f16 v162, v2, v162
	s_waitcnt lgkmcnt(5)
	v_pk_mul_f16 v168, v2, v18
	s_waitcnt lgkmcnt(3)
	v_dot4c_i32_i8_e32 v169, v20, v11
	v_add_u32_e32 v2, 0x20a8, v139
	v_dot4c_i32_i8_e32 v169, v21, v7
	ds_read2_b32 v[20:21], v2 offset1:1
	s_waitcnt lgkmcnt(3)
	v_dot4c_i32_i8_e32 v169, v110, v12
	v_dot4c_i32_i8_e32 v169, v111, v8
	v_mov_b32_e32 v175, 0
	s_waitcnt lgkmcnt(2)
	v_dot4c_i32_i8_e32 v169, v160, v13
	v_dot4c_i32_i8_e32 v175, v170, v10
	v_add_u32_e32 v18, 0x20b0, v139
	v_add_u32_e32 v110, 0x20b8, v139
	v_cvt_f32_i32_e32 v14, v102
	v_dot4c_i32_i8_e32 v169, v161, v9
	v_pk_mul_f16 v174, v3, v103
	v_dot4c_i32_i8_e32 v175, v171, v6
	v_add_u32_e32 v2, 0x4120, v139
	ds_read2_b32 v[102:103], v18 offset1:1
	ds_read2_b32 v[110:111], v110 offset1:1
	;; [unrolled: 1-line block ×3, first 2 shown]
	s_waitcnt lgkmcnt(3)
	v_dot4c_i32_i8_e32 v175, v20, v11
	v_dot4c_i32_i8_e32 v175, v21, v7
	v_add_u32_e32 v2, 0x4128, v139
	s_waitcnt lgkmcnt(2)
	v_dot4c_i32_i8_e32 v175, v102, v12
	ds_read2_b32 v[20:21], v2 offset1:1
	v_dot4c_i32_i8_e32 v175, v103, v8
	s_waitcnt lgkmcnt(2)
	v_dot4c_i32_i8_e32 v175, v110, v13
	v_mov_b32_e32 v171, 0
	v_add_u32_e32 v18, 0x4130, v139
	v_add_u32_e32 v110, 0x4138, v139
	v_cvt_f32_i32_e32 v15, v158
	v_dot4c_i32_i8_e32 v175, v111, v9
	v_pk_mul_f16 v170, v3, v159
	s_waitcnt lgkmcnt(1)
	v_dot4c_i32_i8_e32 v171, v160, v10
	v_add_u32_e32 v2, 0x61a0, v139
	ds_read2_b32 v[102:103], v18 offset1:1
	ds_read2_b32 v[110:111], v110 offset1:1
	;; [unrolled: 1-line block ×3, first 2 shown]
	v_dot4c_i32_i8_e32 v171, v161, v6
	s_waitcnt lgkmcnt(3)
	v_dot4c_i32_i8_e32 v171, v20, v11
	v_add_u32_e32 v2, 0x61a8, v139
	v_dot4c_i32_i8_e32 v171, v21, v7
	ds_read2_b32 v[20:21], v2 offset1:1
	s_waitcnt lgkmcnt(3)
	v_dot4c_i32_i8_e32 v171, v102, v12
	v_mov_b32_e32 v161, 0
	v_dot4c_i32_i8_e32 v171, v103, v8
	s_waitcnt lgkmcnt(1)
	v_dot4c_i32_i8_e32 v161, v158, v10
	v_dot4c_i32_i8_e32 v171, v110, v13
	;; [unrolled: 1-line block ×3, first 2 shown]
	v_add_u32_e32 v6, 0x61b0, v139
	v_dot4c_i32_i8_e32 v171, v111, v9
	v_add_u32_e32 v10, 0x61b8, v139
	v_add_u32_e32 v2, 0x20c0, v139
	ds_read2_b32 v[102:103], v6 offset1:1
	ds_read2_b32 v[110:111], v10 offset1:1
	;; [unrolled: 1-line block ×3, first 2 shown]
	s_waitcnt lgkmcnt(3)
	v_dot4c_i32_i8_e32 v161, v20, v11
	v_dot4c_i32_i8_e32 v161, v21, v7
	s_waitcnt lgkmcnt(2)
	v_dot4c_i32_i8_e32 v161, v102, v12
	v_dot4c_i32_i8_e32 v161, v103, v8
	s_waitcnt lgkmcnt(1)
	v_dot4c_i32_i8_e32 v161, v110, v13
	ds_read_b128 v[10:13], v137 offset:64
	v_dot4c_i32_i8_e32 v161, v111, v9
	ds_read_b128 v[6:9], v137 offset:80
	v_pk_mul_f16 v160, v3, v163
	v_pk_mul_f16 v163, v3, v19
	ds_read2_b32 v[2:3], v139 offset0:18 offset1:19
	v_mov_b32_e32 v176, 0
	s_waitcnt lgkmcnt(2)
	v_dot4c_i32_i8_e32 v176, v166, v10
	s_waitcnt lgkmcnt(1)
	v_dot4c_i32_i8_e32 v176, v167, v6
	ds_read2_b32 v[18:19], v139 offset0:20 offset1:21
	ds_read2_b32 v[20:21], v139 offset0:22 offset1:23
	;; [unrolled: 1-line block ×3, first 2 shown]
	s_waitcnt lgkmcnt(3)
	v_dot4c_i32_i8_e32 v176, v2, v11
	v_add_u32_e32 v2, 0x20c8, v139
	v_dot4c_i32_i8_e32 v176, v3, v7
	ds_read2_b32 v[2:3], v2 offset1:1
	s_waitcnt lgkmcnt(3)
	v_dot4c_i32_i8_e32 v176, v18, v12
	v_dot4c_i32_i8_e32 v176, v19, v8
	v_mov_b32_e32 v166, 0
	s_waitcnt lgkmcnt(2)
	v_dot4c_i32_i8_e32 v176, v20, v13
	v_dot4c_i32_i8_e32 v166, v158, v10
	v_add_u32_e32 v18, 0x20d0, v139
	v_add_u32_e32 v20, 0x20d8, v139
	;; [unrolled: 1-line block ×3, first 2 shown]
	v_dot4c_i32_i8_e32 v176, v21, v9
	v_dot4c_i32_i8_e32 v166, v159, v6
	ds_read2_b32 v[18:19], v18 offset1:1
	ds_read2_b32 v[20:21], v20 offset1:1
	;; [unrolled: 1-line block ×3, first 2 shown]
	s_waitcnt lgkmcnt(3)
	v_dot4c_i32_i8_e32 v166, v2, v11
	v_dot4c_i32_i8_e32 v166, v3, v7
	v_add_u32_e32 v2, 0x4148, v139
	s_waitcnt lgkmcnt(2)
	v_dot4c_i32_i8_e32 v166, v18, v12
	ds_read2_b32 v[2:3], v2 offset1:1
	v_dot4c_i32_i8_e32 v166, v19, v8
	v_mov_b32_e32 v167, 0
	s_waitcnt lgkmcnt(2)
	v_dot4c_i32_i8_e32 v166, v20, v13
	s_waitcnt lgkmcnt(1)
	v_dot4c_i32_i8_e32 v167, v110, v10
	v_add_u32_e32 v18, 0x4150, v139
	v_add_u32_e32 v20, 0x4158, v139
	;; [unrolled: 1-line block ×3, first 2 shown]
	v_dot4c_i32_i8_e32 v166, v21, v9
	v_dot4c_i32_i8_e32 v167, v111, v6
	ds_read2_b32 v[18:19], v18 offset1:1
	ds_read2_b32 v[20:21], v20 offset1:1
	;; [unrolled: 1-line block ×3, first 2 shown]
	s_waitcnt lgkmcnt(3)
	v_dot4c_i32_i8_e32 v167, v2, v11
	v_add_u32_e32 v2, 0x61c8, v139
	v_dot4c_i32_i8_e32 v167, v3, v7
	ds_read2_b32 v[2:3], v2 offset1:1
	v_mov_b32_e32 v177, 0
	s_waitcnt lgkmcnt(3)
	v_dot4c_i32_i8_e32 v167, v18, v12
	s_waitcnt lgkmcnt(1)
	v_dot4c_i32_i8_e32 v177, v110, v10
	v_dot4c_i32_i8_e32 v167, v19, v8
	;; [unrolled: 1-line block ×3, first 2 shown]
	v_add_u32_e32 v6, 0x61d0, v139
	v_dot4c_i32_i8_e32 v167, v20, v13
	v_add_u32_e32 v10, 0x61d8, v139
	v_add_u32_e32 v20, 0x20e0, v139
	ds_read2_b32 v[18:19], v6 offset1:1
	ds_read2_b32 v[110:111], v10 offset1:1
	;; [unrolled: 1-line block ×3, first 2 shown]
	s_waitcnt lgkmcnt(3)
	v_dot4c_i32_i8_e32 v177, v2, v11
	v_dot4c_i32_i8_e32 v177, v3, v7
	s_waitcnt lgkmcnt(2)
	v_dot4c_i32_i8_e32 v177, v18, v12
	v_dot4c_i32_i8_e32 v177, v19, v8
	;; [unrolled: 1-line block ×3, first 2 shown]
	s_waitcnt lgkmcnt(1)
	v_dot4c_i32_i8_e32 v177, v110, v13
	ds_read_b128 v[10:13], v137 offset:96
	ds_read_b128 v[18:21], v137 offset:112
	v_pk_mul_f16 v164, v4, v164
	v_pk_mul_f16 v112, v4, v112
	;; [unrolled: 1-line block ×4, first 2 shown]
	v_mov_b32_e32 v4, 0
	s_waitcnt lgkmcnt(1)
	v_dot4c_i32_i8_e32 v4, v102, v10
	v_add_u32_e32 v2, 0x20e8, v139
	s_waitcnt lgkmcnt(0)
	v_dot4c_i32_i8_e32 v4, v103, v18
	ds_read2_b32 v[2:3], v2 offset1:1
	v_dot4c_i32_i8_e32 v4, v152, v11
	v_dot4c_i32_i8_e32 v4, v153, v19
	v_mov_b32_e32 v153, 0
	v_dot4c_i32_i8_e32 v153, v158, v10
	v_add_u32_e32 v6, 0x20f0, v139
	v_add_u32_e32 v8, 0x20f8, v139
	;; [unrolled: 1-line block ×3, first 2 shown]
	v_dot4c_i32_i8_e32 v177, v111, v9
	v_dot4c_i32_i8_e32 v153, v159, v18
	ds_read2_b32 v[6:7], v6 offset1:1
	ds_read2_b32 v[8:9], v8 offset1:1
	;; [unrolled: 1-line block ×3, first 2 shown]
	s_waitcnt lgkmcnt(3)
	v_dot4c_i32_i8_e32 v153, v2, v11
	v_dot4c_i32_i8_e32 v153, v3, v19
	s_waitcnt lgkmcnt(2)
	v_dot4c_i32_i8_e32 v153, v6, v12
	v_dot4c_i32_i8_e32 v153, v7, v20
	v_cvt_f32_f16_e32 v108, v172
	v_cvt_f32_f16_e32 v109, v173
	s_waitcnt lgkmcnt(1)
	v_dot4c_i32_i8_e32 v153, v8, v13
	v_cvt_f32_f16_sdwa v3, v173 dst_sel:DWORD dst_unused:UNUSED_PAD src0_sel:WORD_1
	v_cvt_f32_f16_sdwa v2, v172 dst_sel:DWORD dst_unused:UNUSED_PAD src0_sel:WORD_1
	v_dot4c_i32_i8_e32 v153, v9, v21
	v_cvt_f32_f16_e32 v7, v170
	v_cvt_f32_f16_e32 v6, v174
	v_cvt_f32_f16_sdwa v9, v170 dst_sel:DWORD dst_unused:UNUSED_PAD src0_sel:WORD_1
	v_cvt_f32_f16_sdwa v8, v174 dst_sel:DWORD dst_unused:UNUSED_PAD src0_sel:WORD_1
	v_cvt_f32_i32_e32 v111, v175
	v_cvt_f32_i32_e32 v110, v169
	v_dot4c_i32_i8_e32 v4, v154, v12
	v_dot4c_i32_i8_e32 v4, v155, v20
	;; [unrolled: 1-line block ×3, first 2 shown]
	v_pk_fma_f32 v[2:3], v[108:109], v[114:115], v[2:3]
	v_dot4c_i32_i8_e32 v4, v157, v21
	v_pk_mul_f16 v152, v5, v165
	v_pk_mul_f16 v113, v5, v113
	v_pk_add_f32 v[2:3], v[92:93], v[2:3]
	v_pk_fma_f32 v[6:7], v[6:7], v[110:111], v[8:9]
	v_cvt_f32_f16_e32 v9, v112
	v_cvt_f32_f16_e32 v8, v164
	v_cvt_f32_f16_sdwa v93, v112 dst_sel:DWORD dst_unused:UNUSED_PAD src0_sel:WORD_1
	v_cvt_f32_f16_sdwa v92, v164 dst_sel:DWORD dst_unused:UNUSED_PAD src0_sel:WORD_1
	v_cvt_f32_i32_e32 v109, v166
	v_cvt_f32_i32_e32 v108, v176
	v_cvt_f32_f16_e32 v111, v113
	v_cvt_f32_f16_e32 v110, v152
	v_cvt_f32_f16_sdwa v113, v113 dst_sel:DWORD dst_unused:UNUSED_PAD src0_sel:WORD_1
	v_cvt_f32_f16_sdwa v112, v152 dst_sel:DWORD dst_unused:UNUSED_PAD src0_sel:WORD_1
	v_cvt_f32_i32_e32 v115, v153
	v_cvt_f32_i32_e32 v114, v4
	v_pk_add_f32 v[2:3], v[2:3], v[6:7]
	v_pk_fma_f32 v[6:7], v[8:9], v[108:109], v[92:93]
	v_pk_add_f32 v[2:3], v[2:3], v[6:7]
	v_pk_fma_f32 v[6:7], v[110:111], v[114:115], v[112:113]
	v_pk_add_f32 v[92:93], v[2:3], v[6:7]
	v_add_u32_e32 v2, 0x4168, v139
	ds_read2_b32 v[2:3], v2 offset1:1
	v_mov_b32_e32 v108, 0
	s_waitcnt lgkmcnt(1)
	v_dot4c_i32_i8_e32 v108, v102, v10
	v_add_u32_e32 v4, 0x4170, v139
	v_add_u32_e32 v8, 0x4178, v139
	;; [unrolled: 1-line block ×3, first 2 shown]
	v_dot4c_i32_i8_e32 v108, v103, v18
	ds_read2_b32 v[6:7], v4 offset1:1
	ds_read2_b32 v[8:9], v8 offset1:1
	ds_read2_b32 v[102:103], v102 offset1:1
	s_waitcnt lgkmcnt(3)
	v_dot4c_i32_i8_e32 v108, v2, v11
	v_add_u32_e32 v2, 0x61e8, v139
	v_dot4c_i32_i8_e32 v108, v3, v19
	ds_read2_b32 v[2:3], v2 offset1:1
	s_waitcnt lgkmcnt(3)
	v_dot4c_i32_i8_e32 v108, v6, v12
	v_add_u32_e32 v4, 0x61f0, v139
	v_dot4c_i32_i8_e32 v108, v7, v20
	ds_read2_b32 v[6:7], v4 offset1:1
	v_mov_b32_e32 v109, 0
	s_waitcnt lgkmcnt(3)
	v_dot4c_i32_i8_e32 v108, v8, v13
	s_waitcnt lgkmcnt(2)
	v_dot4c_i32_i8_e32 v109, v102, v10
	v_add_u32_e32 v4, 0x61f8, v139
	v_dot4c_i32_i8_e32 v108, v9, v21
	v_dot4c_i32_i8_e32 v109, v103, v18
	ds_read2_b32 v[8:9], v4 offset1:1
	s_waitcnt lgkmcnt(2)
	v_dot4c_i32_i8_e32 v109, v2, v11
	v_dot4c_i32_i8_e32 v109, v3, v19
	s_waitcnt lgkmcnt(1)
	v_dot4c_i32_i8_e32 v109, v6, v12
	v_dot4c_i32_i8_e32 v109, v7, v20
	;; [unrolled: 3-line block ×3, first 2 shown]
	v_cvt_f32_f16_e32 v7, v163
	v_cvt_f32_f16_e32 v6, v160
	v_cvt_f32_f16_sdwa v9, v163 dst_sel:DWORD dst_unused:UNUSED_PAD src0_sel:WORD_1
	v_cvt_f32_f16_sdwa v8, v160 dst_sel:DWORD dst_unused:UNUSED_PAD src0_sel:WORD_1
	v_cvt_f32_i32_e32 v11, v161
	v_cvt_f32_i32_e32 v10, v171
	v_cvt_f32_f16_e32 v106, v162
	v_cvt_f32_f16_e32 v107, v168
	v_cvt_f32_f16_sdwa v3, v168 dst_sel:DWORD dst_unused:UNUSED_PAD src0_sel:WORD_1
	v_cvt_f32_f16_sdwa v2, v162 dst_sel:DWORD dst_unused:UNUSED_PAD src0_sel:WORD_1
	v_pk_mul_f16 v17, v5, v17
	v_pk_mul_f16 v18, v5, v105
	v_pk_fma_f32 v[4:5], v[6:7], v[10:11], v[8:9]
	v_cvt_f32_f16_e32 v7, v104
	v_cvt_f32_f16_e32 v6, v16
	v_cvt_f32_f16_sdwa v9, v104 dst_sel:DWORD dst_unused:UNUSED_PAD src0_sel:WORD_1
	v_cvt_f32_f16_sdwa v8, v16 dst_sel:DWORD dst_unused:UNUSED_PAD src0_sel:WORD_1
	v_cvt_f32_i32_e32 v11, v177
	v_cvt_f32_i32_e32 v10, v167
	v_pk_fma_f32 v[2:3], v[106:107], v[14:15], v[2:3]
	v_cvt_f32_f16_e32 v13, v18
	v_cvt_f32_f16_e32 v12, v17
	v_cvt_f32_f16_sdwa v15, v18 dst_sel:DWORD dst_unused:UNUSED_PAD src0_sel:WORD_1
	v_cvt_f32_f16_sdwa v14, v17 dst_sel:DWORD dst_unused:UNUSED_PAD src0_sel:WORD_1
	v_cvt_f32_i32_e32 v17, v109
	v_cvt_f32_i32_e32 v16, v108
	v_pk_add_f32 v[2:3], v[96:97], v[2:3]
	v_pk_add_f32 v[2:3], v[2:3], v[4:5]
	v_pk_fma_f32 v[4:5], v[6:7], v[10:11], v[8:9]
	v_pk_add_f32 v[2:3], v[2:3], v[4:5]
	v_pk_fma_f32 v[4:5], v[12:13], v[16:17], v[14:15]
	v_pk_add_f32 v[96:97], v[2:3], v[4:5]
	s_cmp_ge_i32 s20, s15
	s_barrier
	s_cbranch_scc1 .LBB183_5
; %bb.13:                               ;   in Loop: Header=BB183_6 Depth=1
	v_add_u32_e32 v2, s19, v144
	v_cmp_gt_i32_e32 vcc, s9, v2
	s_and_b64 s[22:23], s[2:3], vcc
	s_and_saveexec_b64 s[4:5], s[22:23]
	s_cbranch_execz .LBB183_15
; %bb.14:                               ;   in Loop: Header=BB183_6 Depth=1
	v_add_u32_e32 v2, s19, v146
	v_mad_i64_i32 v[2:3], s[22:23], v2, 36, v[22:23]
	global_load_dword v2, v[2:3], off offset:4
	s_waitcnt vmcnt(0)
	ds_write_b32 v135, v2
.LBB183_15:                             ;   in Loop: Header=BB183_6 Depth=1
	s_or_b64 exec, exec, s[4:5]
	s_and_saveexec_b64 s[4:5], s[0:1]
	s_cbranch_execz .LBB183_4
; %bb.16:                               ;   in Loop: Header=BB183_6 Depth=1
	v_add3_u32 v2, v116, s19, 4
	v_cmp_gt_i32_e32 vcc, s9, v2
	s_and_b64 s[22:23], s[2:3], vcc
	s_and_b64 exec, exec, s[22:23]
	s_cbranch_execz .LBB183_4
; %bb.17:                               ;   in Loop: Header=BB183_6 Depth=1
	global_load_dword v2, v[24:25], off
	s_waitcnt vmcnt(0)
	ds_write_b32 v136, v2
	s_branch .LBB183_4
.LBB183_18:
	v_mov_b32_e32 v96, v97
	v_mov_b32_e32 v93, v97
	;; [unrolled: 1-line block ×3, first 2 shown]
.LBB183_19:
	s_mul_i32 s0, s11, s8
	s_waitcnt vmcnt(0)
	v_cmp_gt_i32_e32 vcc, s0, v101
	s_and_saveexec_b64 s[0:1], vcc
	s_cbranch_execz .LBB183_28
; %bb.20:
	v_and_b32_e32 v0, 0x3ff, v0
	v_add_u32_e32 v1, s16, v0
	v_mul_lo_u32 v0, v101, s10
	v_cmp_gt_u32_e32 vcc, s10, v1
	s_and_saveexec_b64 s[0:1], vcc
	s_cbranch_execz .LBB183_22
; %bb.21:
	v_add_u32_e32 v2, v0, v1
	v_mov_b32_e32 v3, 0
	v_lshlrev_b64 v[2:3], 2, v[2:3]
	v_mov_b32_e32 v4, s13
	v_add_co_u32_e32 v2, vcc, s12, v2
	v_addc_co_u32_e32 v3, vcc, v4, v3, vcc
	global_store_dword v[2:3], v92, off
.LBB183_22:
	s_or_b64 exec, exec, s[0:1]
	v_add_u32_e32 v2, 32, v1
	v_cmp_gt_u32_e32 vcc, s10, v2
	s_and_saveexec_b64 s[0:1], vcc
	s_cbranch_execz .LBB183_24
; %bb.23:
	v_add_u32_e32 v2, v0, v2
	v_mov_b32_e32 v3, 0
	v_lshlrev_b64 v[2:3], 2, v[2:3]
	v_mov_b32_e32 v4, s13
	v_add_co_u32_e32 v2, vcc, s12, v2
	v_addc_co_u32_e32 v3, vcc, v4, v3, vcc
	global_store_dword v[2:3], v93, off
.LBB183_24:
	s_or_b64 exec, exec, s[0:1]
	v_add_u32_e32 v2, 64, v1
	;; [unrolled: 14-line block ×3, first 2 shown]
	v_cmp_gt_u32_e32 vcc, s10, v1
	s_and_b64 exec, exec, vcc
	s_cbranch_execz .LBB183_28
; %bb.27:
	v_add_u32_e32 v0, v0, v1
	v_mov_b32_e32 v1, 0
	v_lshlrev_b64 v[0:1], 2, v[0:1]
	v_mov_b32_e32 v2, s13
	v_add_co_u32_e32 v0, vcc, s12, v0
	v_addc_co_u32_e32 v1, vcc, v2, v1, vcc
	global_store_dword v[0:1], v97, off
.LBB183_28:
	s_endpgm
	.section	.rodata,"a",@progbits
	.p2align	6, 0x0
	.amdhsa_kernel _ZL8moe_q5_1IfLb0EEvPKvS1_PT_PKiS5_S5_iiiiiii
		.amdhsa_group_segment_fixed_size 38656
		.amdhsa_private_segment_fixed_size 0
		.amdhsa_kernarg_size 76
		.amdhsa_user_sgpr_count 6
		.amdhsa_user_sgpr_private_segment_buffer 1
		.amdhsa_user_sgpr_dispatch_ptr 0
		.amdhsa_user_sgpr_queue_ptr 0
		.amdhsa_user_sgpr_kernarg_segment_ptr 1
		.amdhsa_user_sgpr_dispatch_id 0
		.amdhsa_user_sgpr_flat_scratch_init 0
		.amdhsa_user_sgpr_kernarg_preload_length 0
		.amdhsa_user_sgpr_kernarg_preload_offset 0
		.amdhsa_user_sgpr_private_segment_size 0
		.amdhsa_uses_dynamic_stack 0
		.amdhsa_system_sgpr_private_segment_wavefront_offset 0
		.amdhsa_system_sgpr_workgroup_id_x 1
		.amdhsa_system_sgpr_workgroup_id_y 1
		.amdhsa_system_sgpr_workgroup_id_z 0
		.amdhsa_system_sgpr_workgroup_info 0
		.amdhsa_system_vgpr_workitem_id 1
		.amdhsa_next_free_vgpr 178
		.amdhsa_next_free_sgpr 24
		.amdhsa_accum_offset 180
		.amdhsa_reserve_vcc 1
		.amdhsa_reserve_flat_scratch 0
		.amdhsa_float_round_mode_32 0
		.amdhsa_float_round_mode_16_64 0
		.amdhsa_float_denorm_mode_32 3
		.amdhsa_float_denorm_mode_16_64 3
		.amdhsa_dx10_clamp 1
		.amdhsa_ieee_mode 1
		.amdhsa_fp16_overflow 0
		.amdhsa_tg_split 0
		.amdhsa_exception_fp_ieee_invalid_op 0
		.amdhsa_exception_fp_denorm_src 0
		.amdhsa_exception_fp_ieee_div_zero 0
		.amdhsa_exception_fp_ieee_overflow 0
		.amdhsa_exception_fp_ieee_underflow 0
		.amdhsa_exception_fp_ieee_inexact 0
		.amdhsa_exception_int_div_zero 0
	.end_amdhsa_kernel
	.section	.text._ZL8moe_q5_1IfLb0EEvPKvS1_PT_PKiS5_S5_iiiiiii,"axG",@progbits,_ZL8moe_q5_1IfLb0EEvPKvS1_PT_PKiS5_S5_iiiiiii,comdat
.Lfunc_end183:
	.size	_ZL8moe_q5_1IfLb0EEvPKvS1_PT_PKiS5_S5_iiiiiii, .Lfunc_end183-_ZL8moe_q5_1IfLb0EEvPKvS1_PT_PKiS5_S5_iiiiiii
                                        ; -- End function
	.section	.AMDGPU.csdata,"",@progbits
; Kernel info:
; codeLenInByte = 10736
; NumSgprs: 28
; NumVgprs: 178
; NumAgprs: 0
; TotalNumVgprs: 178
; ScratchSize: 0
; MemoryBound: 0
; FloatMode: 240
; IeeeMode: 1
; LDSByteSize: 38656 bytes/workgroup (compile time only)
; SGPRBlocks: 3
; VGPRBlocks: 22
; NumSGPRsForWavesPerEU: 28
; NumVGPRsForWavesPerEU: 178
; AccumOffset: 180
; Occupancy: 1
; WaveLimiterHint : 1
; COMPUTE_PGM_RSRC2:SCRATCH_EN: 0
; COMPUTE_PGM_RSRC2:USER_SGPR: 6
; COMPUTE_PGM_RSRC2:TRAP_HANDLER: 0
; COMPUTE_PGM_RSRC2:TGID_X_EN: 1
; COMPUTE_PGM_RSRC2:TGID_Y_EN: 1
; COMPUTE_PGM_RSRC2:TGID_Z_EN: 0
; COMPUTE_PGM_RSRC2:TIDIG_COMP_CNT: 1
; COMPUTE_PGM_RSRC3_GFX90A:ACCUM_OFFSET: 44
; COMPUTE_PGM_RSRC3_GFX90A:TG_SPLIT: 0
	.section	.text._ZL8moe_q5_1IfLb1EEvPKvS1_PT_PKiS5_S5_iiiiiii,"axG",@progbits,_ZL8moe_q5_1IfLb1EEvPKvS1_PT_PKiS5_S5_iiiiiii,comdat
	.globl	_ZL8moe_q5_1IfLb1EEvPKvS1_PT_PKiS5_S5_iiiiiii ; -- Begin function _ZL8moe_q5_1IfLb1EEvPKvS1_PT_PKiS5_S5_iiiiiii
	.p2align	8
	.type	_ZL8moe_q5_1IfLb1EEvPKvS1_PT_PKiS5_S5_iiiiiii,@function
_ZL8moe_q5_1IfLb1EEvPKvS1_PT_PKiS5_S5_iiiiiii: ; @_ZL8moe_q5_1IfLb1EEvPKvS1_PT_PKiS5_S5_iiiiiii
; %bb.0:
	s_load_dwordx4 s[0:3], s[4:5], 0x18
	s_mov_b32 s8, s7
	s_mov_b32 s9, 0
	s_lshl_b64 s[10:11], s[8:9], 2
	s_waitcnt lgkmcnt(0)
	s_add_u32 s2, s2, s10
	s_addc_u32 s3, s3, s11
	s_load_dword s2, s[2:3], 0x0
	s_waitcnt lgkmcnt(0)
	s_cmpk_gt_u32 s2, 0xff
	s_cbranch_scc1 .LBB184_28
; %bb.1:
	s_load_dwordx2 s[10:11], s[4:5], 0x28
	s_lshl_b32 s3, s8, 3
	s_waitcnt lgkmcnt(0)
	s_load_dword s7, s[10:11], 0x0
	s_waitcnt lgkmcnt(0)
	s_cmp_gt_u32 s3, s7
	s_cbranch_scc1 .LBB184_28
; %bb.2:
	v_bfe_u32 v1, v0, 10, 10
	v_add_u32_e32 v128, s3, v1
	v_mov_b32_e32 v129, 0
	v_lshlrev_b64 v[2:3], 2, v[128:129]
	v_mov_b32_e32 v4, s1
	v_add_co_u32_e32 v2, vcc, s0, v2
	v_addc_co_u32_e32 v3, vcc, v4, v3, vcc
	global_load_dword v97, v[2:3], off
	s_load_dwordx8 s[8:15], s[4:5], 0x30
	s_load_dwordx2 s[16:17], s[4:5], 0x10
	s_waitcnt lgkmcnt(0)
	s_lshl_b32 s15, s6, 7
	s_cmp_lt_i32 s9, 32
	s_cbranch_scc1 .LBB184_18
; %bb.3:
	s_ashr_i32 s0, s9, 31
	s_lshr_b32 s0, s0, 27
	s_add_i32 s0, s9, s0
	s_ashr_i32 s18, s0, 5
	s_ashr_i32 s0, s12, 31
	s_lshr_b32 s0, s0, 27
	s_add_i32 s0, s12, s0
	s_ashr_i32 s12, s0, 5
	s_not_b32 s0, s15
	s_mul_i32 s8, s2, s8
	s_add_i32 s2, s0, s10
	v_and_b32_e32 v99, 0x3ff, v0
	v_lshlrev_b32_e32 v3, 2, v99
	v_min_i32_e32 v5, s2, v1
	v_lshlrev_b32_e32 v2, 3, v99
	s_movk_i32 s3, 0x104
	v_mul_lo_u32 v6, v5, s18
	v_mad_u64_u32 v[22:23], s[0:1], v5, s3, v[2:3]
	v_add_u32_e32 v5, 8, v1
	v_min_i32_e32 v5, s2, v5
	v_mul_lo_u32 v7, v5, s18
	v_mad_u64_u32 v[24:25], s[0:1], v5, s3, v[2:3]
	v_add_u32_e32 v5, 16, v1
	v_min_i32_e32 v5, s2, v5
	;; [unrolled: 4-line block ×15, first 2 shown]
	v_mad_u64_u32 v[52:53], s[0:1], v5, s3, v[2:3]
	v_lshlrev_b32_e32 v2, 2, v1
	v_lshrrev_b32_e32 v103, 3, v99
	v_mul_lo_u32 v21, v5, s18
	v_add_u32_e32 v5, v103, v2
	v_min_i32_e32 v23, s2, v5
	v_ashrrev_i32_e32 v25, 31, v23
	v_lshrrev_b32_e32 v25, 30, v25
	v_and_b32_e32 v95, 7, v99
	v_mul_lo_u32 v89, v23, s18
	v_add_u32_e32 v25, v23, v25
	v_lshlrev_b32_e32 v128, 5, v23
	v_add_u32_e32 v23, 32, v5
	v_and_b32_e32 v25, -4, v25
	v_lshlrev_b32_e32 v27, 2, v95
	s_mov_b32 s3, 0x8200
	v_min_i32_e32 v23, s2, v23
	v_add3_u32 v125, v25, v27, s3
	v_ashrrev_i32_e32 v25, 31, v23
	v_lshrrev_b32_e32 v25, 30, v25
	v_mul_lo_u32 v91, v23, s18
	v_add_u32_e32 v25, v23, v25
	v_lshlrev_b32_e32 v134, 5, v23
	v_add_u32_e32 v23, 64, v5
	s_load_dwordx4 s[4:7], s[4:5], 0x0
	v_and_b32_e32 v25, -4, v25
	v_min_i32_e32 v23, s2, v23
	v_add3_u32 v129, v25, v27, s3
	v_ashrrev_i32_e32 v25, 31, v23
	v_add_u32_e32 v5, 0x60, v5
	v_lshrrev_b32_e32 v25, 30, v25
	v_min_i32_e32 v5, s2, v5
	v_mul_lo_u32 v93, v23, s18
	v_add_u32_e32 v25, v23, v25
	v_lshlrev_b32_e32 v136, 5, v23
	v_ashrrev_i32_e32 v23, 31, v5
	v_and_b32_e32 v101, 12, v3
	v_lshrrev_b32_e32 v23, 30, v23
	v_and_b32_e32 v3, 28, v3
	v_mul_lo_u32 v124, v5, s18
	v_add_u32_e32 v23, v5, v23
	v_lshlrev_b32_e32 v138, 5, v5
	v_and_b32_e32 v5, 31, v99
	s_waitcnt lgkmcnt(0)
	v_add_co_u32_e32 v54, vcc, s6, v3
	v_lshlrev_b32_e32 v3, 7, v1
	v_lshl_or_b32 v5, v5, 2, v3
	v_add_u32_e32 v105, 0x9280, v5
	v_or_b32_e32 v2, v2, v99
	v_mov_b32_e32 v5, 0x9680
	v_lshl_add_u32 v107, v2, 2, v5
	v_lshl_add_u32 v111, v1, 4, v5
	v_and_b32_e32 v1, 0xfc, v99
	v_lshlrev_b32_e32 v2, 5, v99
	v_add3_u32 v115, v2, v1, s3
	v_add_u32_e32 v1, 32, v99
	v_add_u32_e32 v109, 0x9280, v3
	v_and_b32_e32 v2, 0x1fc, v1
	v_lshlrev_b32_e32 v3, 5, v1
	v_add3_u32 v117, v3, v2, s3
	v_add_u32_e32 v2, 64, v99
	v_and_b32_e32 v3, 0x1fc, v2
	v_lshlrev_b32_e32 v2, 5, v2
	s_abs_i32 s2, s14
	v_add3_u32 v119, v2, v3, s3
	v_cvt_f32_u32_e32 v3, s2
	v_add_u32_e32 v2, 0x60, v99
	v_and_b32_e32 v5, 0x1fc, v2
	v_lshlrev_b32_e32 v2, 5, v2
	v_add3_u32 v121, v2, v5, s3
	v_rcp_iflag_f32_e32 v2, v3
	v_and_b32_e32 v25, -4, v25
	v_and_b32_e32 v23, -4, v23
	v_add3_u32 v135, v25, v27, s3
	v_mul_f32_e32 v2, 0x4f7ffffe, v2
	v_cvt_u32_f32_e32 v2, v2
	v_add3_u32 v137, v23, v27, s3
	s_sub_i32 s3, 0, s2
	s_waitcnt vmcnt(0)
	v_sub_u32_e32 v3, 0, v97
	v_mul_lo_u32 v5, s3, v2
	v_mul_hi_u32 v5, v2, v5
	v_max_i32_e32 v3, v97, v3
	v_add_u32_e32 v2, v2, v5
	v_mul_hi_u32 v2, v3, v2
	v_mov_b32_e32 v23, s7
	v_mul_lo_u32 v5, v2, s2
	v_addc_co_u32_e32 v55, vcc, 0, v23, vcc
	v_sub_u32_e32 v3, v3, v5
	v_add_u32_e32 v5, 1, v2
	v_cmp_le_u32_e32 vcc, s2, v3
	v_cndmask_b32_e32 v2, v2, v5, vcc
	v_subrev_u32_e32 v5, s2, v3
	v_cndmask_b32_e32 v3, v3, v5, vcc
	v_lshrrev_b32_e32 v123, 3, v1
	v_xor_b32_e32 v1, s14, v97
	v_add_u32_e32 v5, 1, v2
	v_cmp_le_u32_e32 vcc, s2, v3
	v_ashrrev_i32_e32 v1, 31, v1
	v_cndmask_b32_e32 v2, v2, v5, vcc
	v_xor_b32_e32 v2, v2, v1
	v_sub_u32_e32 v1, v2, v1
	v_cmp_gt_i32_e64 s[2:3], s11, v1
	v_mul_lo_u32 v1, v1, s12
	v_ashrrev_i32_e32 v2, 31, v1
	v_add_co_u32_e32 v3, vcc, v1, v99
	s_mul_i32 s20, s18, s15
	v_addc_co_u32_e32 v5, vcc, 0, v2, vcc
	v_mad_u64_u32 v[2:3], s[22:23], v3, 36, s[6:7]
	s_movk_i32 s21, 0x90
	v_mad_i32_i24 v3, v5, 36, v3
	v_add_co_u32_e32 v56, vcc, s21, v2
	s_mul_hi_i32 s21, s20, 24
	s_mul_i32 s22, s20, 24
	v_lshrrev_b32_e32 v4, 2, v99
	v_addc_co_u32_e32 v57, vcc, 0, v3, vcc
	v_mov_b32_e32 v2, s22
	v_mov_b32_e32 v3, s21
	v_mad_u64_u32 v[2:3], s[22:23], v4, 24, v[2:3]
	v_mad_i64_i32 v[4:5], s[22:23], v6, 24, v[2:3]
	v_add_u32_e32 v127, v99, v1
	v_add_u32_e32 v131, v123, v1
	;; [unrolled: 1-line block ×3, first 2 shown]
	v_add_co_u32_e32 v1, vcc, v4, v101
	v_addc_co_u32_e32 v6, vcc, 0, v5, vcc
	v_mov_b32_e32 v85, s5
	v_add_co_u32_e32 v1, vcc, s4, v1
	v_addc_co_u32_e32 v6, vcc, v6, v85, vcc
	v_add_co_u32_e32 v58, vcc, 8, v1
	v_addc_co_u32_e32 v1, vcc, 0, v6, vcc
	v_mov_b32_e32 v6, s5
	v_add_co_u32_e32 v60, vcc, s4, v4
	v_addc_co_u32_e32 v23, vcc, v6, v5, vcc
	v_mad_i64_i32 v[4:5], s[22:23], v7, 24, v[2:3]
	v_add_co_u32_e32 v4, vcc, s4, v4
	v_addc_co_u32_e32 v5, vcc, v5, v85, vcc
	v_add_co_u32_e32 v6, vcc, v4, v101
	v_addc_co_u32_e32 v7, vcc, 0, v5, vcc
	v_add_co_u32_e32 v62, vcc, 8, v6
	v_addc_co_u32_e32 v25, vcc, 0, v7, vcc
	v_add_co_u32_e32 v64, vcc, 4, v4
	v_addc_co_u32_e32 v27, vcc, 0, v5, vcc
	v_mad_i64_i32 v[4:5], s[22:23], v8, 24, v[2:3]
	v_add_co_u32_e32 v4, vcc, s4, v4
	v_addc_co_u32_e32 v5, vcc, v5, v85, vcc
	v_add_co_u32_e32 v6, vcc, v4, v101
	v_addc_co_u32_e32 v7, vcc, 0, v5, vcc
	v_add_co_u32_e32 v66, vcc, 8, v6
	v_addc_co_u32_e32 v29, vcc, 0, v7, vcc
	v_add_co_u32_e32 v68, vcc, 4, v4
	v_addc_co_u32_e32 v31, vcc, 0, v5, vcc
	v_mad_i64_i32 v[4:5], s[22:23], v9, 24, v[2:3]
	v_add_co_u32_e32 v4, vcc, s4, v4
	v_addc_co_u32_e32 v5, vcc, v5, v85, vcc
	v_add_co_u32_e32 v6, vcc, v4, v101
	v_addc_co_u32_e32 v7, vcc, 0, v5, vcc
	v_add_co_u32_e32 v70, vcc, 8, v6
	v_addc_co_u32_e32 v33, vcc, 0, v7, vcc
	v_add_co_u32_e32 v72, vcc, 4, v4
	v_addc_co_u32_e32 v35, vcc, 0, v5, vcc
	v_mad_i64_i32 v[4:5], s[22:23], v10, 24, v[2:3]
	v_add_co_u32_e32 v4, vcc, s4, v4
	v_addc_co_u32_e32 v5, vcc, v5, v85, vcc
	v_add_co_u32_e32 v6, vcc, v4, v101
	v_addc_co_u32_e32 v7, vcc, 0, v5, vcc
	v_add_co_u32_e32 v74, vcc, 8, v6
	v_addc_co_u32_e32 v37, vcc, 0, v7, vcc
	v_add_co_u32_e32 v76, vcc, 4, v4
	v_addc_co_u32_e32 v39, vcc, 0, v5, vcc
	v_mad_i64_i32 v[4:5], s[22:23], v11, 24, v[2:3]
	v_add_co_u32_e32 v4, vcc, s4, v4
	v_addc_co_u32_e32 v5, vcc, v5, v85, vcc
	v_add_co_u32_e32 v6, vcc, v4, v101
	v_addc_co_u32_e32 v7, vcc, 0, v5, vcc
	v_add_co_u32_e32 v78, vcc, 8, v6
	v_addc_co_u32_e32 v41, vcc, 0, v7, vcc
	v_add_co_u32_e32 v80, vcc, 4, v4
	v_addc_co_u32_e32 v43, vcc, 0, v5, vcc
	v_mad_i64_i32 v[4:5], s[22:23], v12, 24, v[2:3]
	v_add_co_u32_e32 v4, vcc, s4, v4
	v_addc_co_u32_e32 v5, vcc, v5, v85, vcc
	v_add_co_u32_e32 v6, vcc, v4, v101
	v_addc_co_u32_e32 v7, vcc, 0, v5, vcc
	v_add_co_u32_e32 v82, vcc, 8, v6
	v_addc_co_u32_e32 v45, vcc, 0, v7, vcc
	v_add_co_u32_e32 v84, vcc, 4, v4
	v_addc_co_u32_e32 v47, vcc, 0, v5, vcc
	v_mad_i64_i32 v[4:5], s[22:23], v13, 24, v[2:3]
	v_add_co_u32_e32 v4, vcc, s4, v4
	v_addc_co_u32_e32 v5, vcc, v5, v85, vcc
	v_add_co_u32_e32 v6, vcc, v4, v101
	v_addc_co_u32_e32 v7, vcc, 0, v5, vcc
	v_add_co_u32_e32 v86, vcc, 8, v6
	v_addc_co_u32_e32 v49, vcc, 0, v7, vcc
	v_add_co_u32_e32 v88, vcc, 4, v4
	v_addc_co_u32_e32 v51, vcc, 0, v5, vcc
	v_mad_i64_i32 v[4:5], s[22:23], v14, 24, v[2:3]
	v_add_co_u32_e32 v4, vcc, s4, v4
	v_addc_co_u32_e32 v5, vcc, v5, v85, vcc
	v_add_co_u32_e32 v6, vcc, v4, v101
	v_addc_co_u32_e32 v7, vcc, 0, v5, vcc
	v_add_co_u32_e32 v90, vcc, 8, v6
	v_addc_co_u32_e32 v53, vcc, 0, v7, vcc
	v_add_co_u32_e32 v92, vcc, 4, v4
	v_addc_co_u32_e32 v59, vcc, 0, v5, vcc
	v_mad_i64_i32 v[4:5], s[22:23], v15, 24, v[2:3]
	v_add_co_u32_e32 v4, vcc, s4, v4
	v_addc_co_u32_e32 v5, vcc, v5, v85, vcc
	v_add_co_u32_e32 v6, vcc, v4, v101
	v_addc_co_u32_e32 v7, vcc, 0, v5, vcc
	v_add_co_u32_e32 v94, vcc, 8, v6
	v_addc_co_u32_e32 v61, vcc, 0, v7, vcc
	v_add_co_u32_e32 v96, vcc, 4, v4
	v_addc_co_u32_e32 v63, vcc, 0, v5, vcc
	v_mad_i64_i32 v[4:5], s[22:23], v16, 24, v[2:3]
	v_add_co_u32_e32 v4, vcc, s4, v4
	v_addc_co_u32_e32 v5, vcc, v5, v85, vcc
	v_add_co_u32_e32 v6, vcc, v4, v101
	v_addc_co_u32_e32 v7, vcc, 0, v5, vcc
	v_add_co_u32_e32 v98, vcc, 8, v6
	v_addc_co_u32_e32 v65, vcc, 0, v7, vcc
	v_add_co_u32_e32 v100, vcc, 4, v4
	v_addc_co_u32_e32 v67, vcc, 0, v5, vcc
	v_mad_i64_i32 v[4:5], s[22:23], v17, 24, v[2:3]
	v_add_co_u32_e32 v4, vcc, s4, v4
	v_addc_co_u32_e32 v5, vcc, v5, v85, vcc
	v_add_co_u32_e32 v6, vcc, v4, v101
	v_addc_co_u32_e32 v7, vcc, 0, v5, vcc
	v_add_co_u32_e32 v102, vcc, 8, v6
	v_addc_co_u32_e32 v69, vcc, 0, v7, vcc
	v_add_co_u32_e32 v104, vcc, 4, v4
	v_addc_co_u32_e32 v71, vcc, 0, v5, vcc
	v_mad_i64_i32 v[4:5], s[22:23], v18, 24, v[2:3]
	v_add_co_u32_e32 v4, vcc, s4, v4
	v_addc_co_u32_e32 v5, vcc, v5, v85, vcc
	v_add_co_u32_e32 v6, vcc, v4, v101
	v_addc_co_u32_e32 v7, vcc, 0, v5, vcc
	v_add_co_u32_e32 v106, vcc, 8, v6
	v_addc_co_u32_e32 v73, vcc, 0, v7, vcc
	v_add_co_u32_e32 v108, vcc, 4, v4
	v_addc_co_u32_e32 v75, vcc, 0, v5, vcc
	v_mad_i64_i32 v[4:5], s[22:23], v19, 24, v[2:3]
	v_add_co_u32_e32 v4, vcc, s4, v4
	v_addc_co_u32_e32 v5, vcc, v5, v85, vcc
	v_add_co_u32_e32 v6, vcc, v4, v101
	v_addc_co_u32_e32 v7, vcc, 0, v5, vcc
	v_add_co_u32_e32 v110, vcc, 8, v6
	v_addc_co_u32_e32 v77, vcc, 0, v7, vcc
	v_add_co_u32_e32 v112, vcc, 4, v4
	v_addc_co_u32_e32 v79, vcc, 0, v5, vcc
	v_mad_i64_i32 v[4:5], s[22:23], v20, 24, v[2:3]
	v_add_co_u32_e32 v4, vcc, s4, v4
	v_addc_co_u32_e32 v5, vcc, v5, v85, vcc
	v_add_co_u32_e32 v6, vcc, v4, v101
	v_addc_co_u32_e32 v7, vcc, 0, v5, vcc
	v_add_co_u32_e32 v114, vcc, 8, v6
	v_addc_co_u32_e32 v81, vcc, 0, v7, vcc
	v_add_co_u32_e32 v116, vcc, 4, v4
	v_addc_co_u32_e32 v83, vcc, 0, v5, vcc
	v_mad_i64_i32 v[2:3], s[22:23], v21, 24, v[2:3]
	v_add_co_u32_e32 v2, vcc, s4, v2
	v_addc_co_u32_e32 v3, vcc, v3, v85, vcc
	v_add_co_u32_e32 v4, vcc, v2, v101
	v_addc_co_u32_e32 v5, vcc, 0, v3, vcc
	v_add_co_u32_e32 v118, vcc, 8, v4
	v_addc_co_u32_e32 v85, vcc, 0, v5, vcc
	v_add_co_u32_e32 v120, vcc, 4, v2
	v_addc_co_u32_e32 v87, vcc, 0, v3, vcc
	v_mad_i64_i32 v[2:3], s[22:23], v89, 24, 0
	v_mad_i64_i32 v[2:3], s[22:23], s20, 24, v[2:3]
	v_mad_u64_u32 v[2:3], s[22:23], v95, 24, v[2:3]
	v_mov_b32_e32 v4, s5
	v_add_co_u32_e32 v122, vcc, s4, v2
	v_addc_co_u32_e32 v89, vcc, v4, v3, vcc
	v_mad_i64_i32 v[2:3], s[22:23], v91, 24, 0
	v_mad_i64_i32 v[2:3], s[22:23], s20, 24, v[2:3]
	v_mad_u64_u32 v[2:3], s[22:23], v95, 24, v[2:3]
	v_add_co_u32_e32 v126, vcc, s4, v2
	v_addc_co_u32_e32 v91, vcc, v4, v3, vcc
	v_mad_i64_i32 v[2:3], s[22:23], v93, 24, 0
	v_mad_i64_i32 v[2:3], s[22:23], s20, 24, v[2:3]
	v_mad_u64_u32 v[2:3], s[22:23], v95, 24, v[2:3]
	v_add_co_u32_e32 v130, vcc, s4, v2
	v_addc_co_u32_e32 v93, vcc, v4, v3, vcc
	v_mad_i64_i32 v[2:3], s[22:23], v124, 24, 0
	v_mad_i64_i32 v[2:3], s[20:21], s20, 24, v[2:3]
	v_mad_u64_u32 v[2:3], s[20:21], v95, 24, v[2:3]
	v_add_co_u32_e32 v132, vcc, s4, v2
	v_mov_b32_e32 v124, 0
	s_ashr_i32 s19, s8, 31
	s_mov_b32 s10, 0
	v_cmp_gt_u32_e64 s[0:1], 4, v99
	v_mul_u32_u24_e32 v113, 0x104, v99
	v_addc_co_u32_e32 v95, vcc, v4, v3, vcc
	s_movk_i32 s20, 0x80
	v_add_u32_e32 v148, v125, v128
	v_add_u32_e32 v149, v129, v134
	;; [unrolled: 1-line block ×4, first 2 shown]
	v_mov_b32_e32 v125, v124
	v_mov_b32_e32 v128, v124
	;; [unrolled: 1-line block ×3, first 2 shown]
	s_branch .LBB184_6
.LBB184_4:                              ;   in Loop: Header=BB184_6 Depth=1
	s_or_b64 exec, exec, s[4:5]
	s_waitcnt lgkmcnt(0)
	s_barrier
	ds_read_b128 v[14:17], v109
	ds_read_b128 v[18:21], v109 offset:16
	ds_read_b128 v[2:5], v111
	ds_read2_b32 v[134:135], v113 offset0:32 offset1:33
	ds_read_b128 v[10:13], v109 offset:32
	ds_read_b128 v[6:9], v109 offset:48
	ds_read2_b32 v[136:137], v115 offset0:4 offset1:5
	ds_read2_b32 v[138:139], v113 offset0:34 offset1:35
	v_mov_b32_e32 v142, 0
	s_waitcnt lgkmcnt(4)
	v_dot4c_i32_i8_e32 v142, v134, v14
	v_dot4c_i32_i8_e32 v142, v135, v18
	ds_read2_b32 v[134:135], v113 offset0:36 offset1:37
	ds_read2_b32 v[144:145], v113 offset0:38 offset1:39
	ds_read2_b32 v[140:141], v113 offset0:40 offset1:41
	s_waitcnt lgkmcnt(3)
	v_dot4c_i32_i8_e32 v142, v138, v15
	v_dot4c_i32_i8_e32 v142, v139, v19
	s_waitcnt lgkmcnt(2)
	v_dot4c_i32_i8_e32 v142, v134, v16
	v_dot4c_i32_i8_e32 v142, v135, v20
	;; [unrolled: 3-line block ×3, first 2 shown]
	v_add_u32_e32 v134, 0x2100, v113
	ds_read2_b32 v[144:145], v113 offset0:58 offset1:59
	ds_read2_b32 v[146:147], v113 offset0:60 offset1:61
	;; [unrolled: 1-line block ×3, first 2 shown]
	ds_read2_b32 v[138:139], v134 offset1:1
	v_mov_b32_e32 v168, 0
	v_pk_mul_f16 v143, v2, v136
	v_add_u32_e32 v136, 0x2108, v113
	ds_read2_b32 v[154:155], v117 offset0:4 offset1:5
	ds_read2_b32 v[134:135], v121 offset0:6 offset1:7
	s_waitcnt lgkmcnt(2)
	v_dot4c_i32_i8_e32 v168, v138, v14
	v_dot4c_i32_i8_e32 v168, v139, v18
	ds_read2_b32 v[138:139], v136 offset1:1
	v_add_u32_e32 v156, 0x2110, v113
	v_add_u32_e32 v158, 0x2118, v113
	;; [unrolled: 1-line block ×3, first 2 shown]
	ds_read2_b32 v[156:157], v156 offset1:1
	ds_read2_b32 v[158:159], v158 offset1:1
	;; [unrolled: 1-line block ×3, first 2 shown]
	s_waitcnt lgkmcnt(3)
	v_dot4c_i32_i8_e32 v168, v138, v15
	v_dot4c_i32_i8_e32 v168, v139, v19
	s_waitcnt lgkmcnt(2)
	v_dot4c_i32_i8_e32 v168, v156, v16
	v_dot4c_i32_i8_e32 v168, v157, v20
	v_mov_b32_e32 v169, 0
	s_waitcnt lgkmcnt(1)
	v_dot4c_i32_i8_e32 v168, v158, v17
	s_waitcnt lgkmcnt(0)
	v_dot4c_i32_i8_e32 v169, v160, v14
	v_add_u32_e32 v136, 0x4188, v113
	v_add_u32_e32 v162, 0x4190, v113
	;; [unrolled: 1-line block ×3, first 2 shown]
	v_dot4c_i32_i8_e32 v168, v159, v21
	ds_read2_b32 v[156:157], v119 offset0:4 offset1:5
	ds_read2_b32 v[138:139], v117 offset0:6 offset1:7
	;; [unrolled: 1-line block ×3, first 2 shown]
	v_dot4c_i32_i8_e32 v169, v161, v18
	ds_read2_b32 v[160:161], v136 offset1:1
	v_add_u32_e32 v136, 0x6200, v113
	ds_read2_b32 v[162:163], v162 offset1:1
	ds_read2_b32 v[164:165], v164 offset1:1
	;; [unrolled: 1-line block ×3, first 2 shown]
	v_mov_b32_e32 v170, 0
	v_add_u32_e32 v136, 0x6218, v113
	s_waitcnt lgkmcnt(3)
	v_dot4c_i32_i8_e32 v169, v160, v15
	v_dot4c_i32_i8_e32 v169, v161, v19
	s_waitcnt lgkmcnt(0)
	v_dot4c_i32_i8_e32 v170, v166, v14
	v_add_u32_e32 v14, 0x6208, v113
	ds_read2_b32 v[160:161], v14 offset1:1
	v_dot4c_i32_i8_e32 v169, v162, v16
	v_dot4c_i32_i8_e32 v169, v163, v20
	;; [unrolled: 1-line block ×4, first 2 shown]
	v_add_u32_e32 v18, 0x6210, v113
	v_dot4c_i32_i8_e32 v169, v165, v21
	v_add_u32_e32 v14, 0x2120, v113
	ds_read2_b32 v[162:163], v18 offset1:1
	ds_read2_b32 v[164:165], v136 offset1:1
	;; [unrolled: 1-line block ×3, first 2 shown]
	s_waitcnt lgkmcnt(3)
	v_dot4c_i32_i8_e32 v170, v160, v15
	v_dot4c_i32_i8_e32 v170, v161, v19
	s_waitcnt lgkmcnt(2)
	v_dot4c_i32_i8_e32 v170, v162, v16
	v_dot4c_i32_i8_e32 v170, v163, v20
	ds_read2_b32 v[18:19], v121 offset0:4 offset1:5
	ds_read2_b32 v[14:15], v119 offset0:6 offset1:7
	s_waitcnt lgkmcnt(3)
	v_dot4c_i32_i8_e32 v170, v164, v17
	ds_read2_b32 v[16:17], v113 offset0:42 offset1:43
	v_mov_b32_e32 v163, 0
	v_dot4c_i32_i8_e32 v163, v140, v10
	v_dot4c_i32_i8_e32 v170, v165, v21
	;; [unrolled: 1-line block ×3, first 2 shown]
	ds_read2_b32 v[20:21], v113 offset0:44 offset1:45
	ds_read2_b32 v[140:141], v113 offset0:46 offset1:47
	;; [unrolled: 1-line block ×3, first 2 shown]
	v_pk_mul_f16 v154, v2, v154
	v_pk_mul_f16 v156, v2, v156
	s_waitcnt lgkmcnt(5)
	v_pk_mul_f16 v162, v2, v18
	s_waitcnt lgkmcnt(3)
	v_dot4c_i32_i8_e32 v163, v16, v11
	v_add_u32_e32 v2, 0x2128, v113
	v_dot4c_i32_i8_e32 v163, v17, v7
	ds_read2_b32 v[16:17], v2 offset1:1
	s_waitcnt lgkmcnt(3)
	v_dot4c_i32_i8_e32 v163, v20, v12
	v_dot4c_i32_i8_e32 v163, v21, v8
	v_mov_b32_e32 v165, 0
	s_waitcnt lgkmcnt(2)
	v_dot4c_i32_i8_e32 v163, v140, v13
	v_dot4c_i32_i8_e32 v165, v166, v10
	v_add_u32_e32 v18, 0x2130, v113
	v_add_u32_e32 v136, 0x2138, v113
	v_dot4c_i32_i8_e32 v163, v141, v9
	v_pk_mul_f16 v164, v3, v137
	v_dot4c_i32_i8_e32 v165, v167, v6
	v_add_u32_e32 v2, 0x41a0, v113
	ds_read2_b32 v[20:21], v18 offset1:1
	ds_read2_b32 v[136:137], v136 offset1:1
	ds_read2_b32 v[140:141], v2 offset1:1
	s_waitcnt lgkmcnt(3)
	v_dot4c_i32_i8_e32 v165, v16, v11
	v_dot4c_i32_i8_e32 v165, v17, v7
	v_add_u32_e32 v2, 0x41a8, v113
	s_waitcnt lgkmcnt(2)
	v_dot4c_i32_i8_e32 v165, v20, v12
	ds_read2_b32 v[16:17], v2 offset1:1
	v_dot4c_i32_i8_e32 v165, v21, v8
	v_mov_b32_e32 v166, 0
	s_waitcnt lgkmcnt(2)
	v_dot4c_i32_i8_e32 v165, v136, v13
	s_waitcnt lgkmcnt(1)
	v_dot4c_i32_i8_e32 v166, v140, v10
	v_add_u32_e32 v18, 0x41b0, v113
	v_add_u32_e32 v136, 0x41b8, v113
	v_dot4c_i32_i8_e32 v165, v137, v9
	v_dot4c_i32_i8_e32 v166, v141, v6
	v_add_u32_e32 v2, 0x6220, v113
	ds_read2_b32 v[20:21], v18 offset1:1
	ds_read2_b32 v[136:137], v136 offset1:1
	;; [unrolled: 1-line block ×3, first 2 shown]
	s_waitcnt lgkmcnt(3)
	v_dot4c_i32_i8_e32 v166, v16, v11
	v_add_u32_e32 v2, 0x6228, v113
	v_dot4c_i32_i8_e32 v166, v17, v7
	ds_read2_b32 v[16:17], v2 offset1:1
	s_waitcnt lgkmcnt(3)
	v_dot4c_i32_i8_e32 v166, v20, v12
	v_mov_b32_e32 v167, 0
	v_dot4c_i32_i8_e32 v166, v21, v8
	s_waitcnt lgkmcnt(1)
	v_dot4c_i32_i8_e32 v167, v140, v10
	v_dot4c_i32_i8_e32 v166, v136, v13
	;; [unrolled: 1-line block ×3, first 2 shown]
	v_add_u32_e32 v6, 0x6230, v113
	v_dot4c_i32_i8_e32 v166, v137, v9
	v_add_u32_e32 v10, 0x6238, v113
	v_add_u32_e32 v2, 0x2140, v113
	ds_read2_b32 v[20:21], v6 offset1:1
	ds_read2_b32 v[136:137], v10 offset1:1
	;; [unrolled: 1-line block ×3, first 2 shown]
	s_waitcnt lgkmcnt(3)
	v_dot4c_i32_i8_e32 v167, v16, v11
	v_dot4c_i32_i8_e32 v167, v17, v7
	s_waitcnt lgkmcnt(2)
	v_dot4c_i32_i8_e32 v167, v20, v12
	v_dot4c_i32_i8_e32 v167, v21, v8
	s_waitcnt lgkmcnt(1)
	v_dot4c_i32_i8_e32 v167, v136, v13
	ds_read_b128 v[10:13], v109 offset:64
	v_dot4c_i32_i8_e32 v167, v137, v9
	ds_read_b128 v[6:9], v109 offset:80
	v_pk_mul_f16 v155, v3, v155
	v_pk_mul_f16 v157, v3, v157
	;; [unrolled: 1-line block ×3, first 2 shown]
	ds_read2_b32 v[2:3], v113 offset0:50 offset1:51
	v_mov_b32_e32 v172, 0
	s_waitcnt lgkmcnt(2)
	v_dot4c_i32_i8_e32 v172, v160, v10
	s_waitcnt lgkmcnt(1)
	v_dot4c_i32_i8_e32 v172, v161, v6
	ds_read2_b32 v[16:17], v113 offset0:52 offset1:53
	ds_read2_b32 v[18:19], v113 offset0:54 offset1:55
	;; [unrolled: 1-line block ×3, first 2 shown]
	s_waitcnt lgkmcnt(3)
	v_dot4c_i32_i8_e32 v172, v2, v11
	v_add_u32_e32 v2, 0x2148, v113
	v_dot4c_i32_i8_e32 v172, v3, v7
	ds_read2_b32 v[2:3], v2 offset1:1
	s_waitcnt lgkmcnt(3)
	v_dot4c_i32_i8_e32 v172, v16, v12
	v_dot4c_i32_i8_e32 v172, v17, v8
	v_mov_b32_e32 v160, 0
	s_waitcnt lgkmcnt(2)
	v_dot4c_i32_i8_e32 v172, v18, v13
	v_dot4c_i32_i8_e32 v160, v140, v10
	v_add_u32_e32 v16, 0x2150, v113
	v_add_u32_e32 v18, 0x2158, v113
	;; [unrolled: 1-line block ×3, first 2 shown]
	v_dot4c_i32_i8_e32 v172, v19, v9
	v_dot4c_i32_i8_e32 v160, v141, v6
	ds_read2_b32 v[16:17], v16 offset1:1
	ds_read2_b32 v[18:19], v18 offset1:1
	;; [unrolled: 1-line block ×3, first 2 shown]
	s_waitcnt lgkmcnt(3)
	v_dot4c_i32_i8_e32 v160, v2, v11
	v_dot4c_i32_i8_e32 v160, v3, v7
	v_add_u32_e32 v2, 0x41c8, v113
	s_waitcnt lgkmcnt(2)
	v_dot4c_i32_i8_e32 v160, v16, v12
	ds_read2_b32 v[2:3], v2 offset1:1
	v_dot4c_i32_i8_e32 v160, v17, v8
	v_mov_b32_e32 v161, 0
	s_waitcnt lgkmcnt(2)
	v_dot4c_i32_i8_e32 v160, v18, v13
	s_waitcnt lgkmcnt(1)
	v_dot4c_i32_i8_e32 v161, v136, v10
	v_add_u32_e32 v16, 0x41d0, v113
	v_add_u32_e32 v18, 0x41d8, v113
	;; [unrolled: 1-line block ×3, first 2 shown]
	v_dot4c_i32_i8_e32 v160, v19, v9
	v_dot4c_i32_i8_e32 v161, v137, v6
	ds_read2_b32 v[16:17], v16 offset1:1
	ds_read2_b32 v[18:19], v18 offset1:1
	;; [unrolled: 1-line block ×3, first 2 shown]
	s_waitcnt lgkmcnt(3)
	v_dot4c_i32_i8_e32 v161, v2, v11
	v_add_u32_e32 v2, 0x6248, v113
	v_dot4c_i32_i8_e32 v161, v3, v7
	ds_read2_b32 v[2:3], v2 offset1:1
	v_mov_b32_e32 v174, 0
	s_waitcnt lgkmcnt(1)
	v_dot4c_i32_i8_e32 v174, v136, v10
	v_dot4c_i32_i8_e32 v161, v16, v12
	;; [unrolled: 1-line block ×3, first 2 shown]
	v_add_u32_e32 v6, 0x6250, v113
	v_dot4c_i32_i8_e32 v161, v17, v8
	v_pk_mul_f16 v173, v4, v14
	v_add_u32_e32 v10, 0x6258, v113
	v_add_u32_e32 v14, 0x2160, v113
	ds_read2_b32 v[16:17], v6 offset1:1
	ds_read2_b32 v[136:137], v10 offset1:1
	;; [unrolled: 1-line block ×3, first 2 shown]
	s_waitcnt lgkmcnt(3)
	v_dot4c_i32_i8_e32 v174, v2, v11
	v_dot4c_i32_i8_e32 v174, v3, v7
	s_waitcnt lgkmcnt(2)
	v_dot4c_i32_i8_e32 v174, v16, v12
	v_dot4c_i32_i8_e32 v161, v18, v13
	;; [unrolled: 1-line block ×4, first 2 shown]
	s_waitcnt lgkmcnt(1)
	v_dot4c_i32_i8_e32 v174, v136, v13
	ds_read_b128 v[10:13], v109 offset:96
	ds_read_b128 v[16:19], v109 offset:112
	v_pk_mul_f16 v158, v4, v158
	v_pk_mul_f16 v138, v4, v138
	;; [unrolled: 1-line block ×3, first 2 shown]
	v_mov_b32_e32 v4, 0
	v_add_u32_e32 v2, 0x2168, v113
	s_waitcnt lgkmcnt(1)
	v_dot4c_i32_i8_e32 v4, v20, v10
	ds_read2_b32 v[2:3], v2 offset1:1
	s_waitcnt lgkmcnt(1)
	v_dot4c_i32_i8_e32 v4, v21, v16
	v_dot4c_i32_i8_e32 v4, v144, v11
	v_mov_b32_e32 v144, 0
	v_dot4c_i32_i8_e32 v144, v140, v10
	v_add_u32_e32 v6, 0x2170, v113
	v_add_u32_e32 v8, 0x2178, v113
	;; [unrolled: 1-line block ×3, first 2 shown]
	v_dot4c_i32_i8_e32 v174, v137, v9
	v_dot4c_i32_i8_e32 v144, v141, v16
	ds_read2_b32 v[6:7], v6 offset1:1
	ds_read2_b32 v[8:9], v8 offset1:1
	;; [unrolled: 1-line block ×3, first 2 shown]
	s_waitcnt lgkmcnt(3)
	v_dot4c_i32_i8_e32 v144, v2, v11
	v_dot4c_i32_i8_e32 v144, v3, v17
	s_waitcnt lgkmcnt(2)
	v_dot4c_i32_i8_e32 v144, v6, v12
	v_dot4c_i32_i8_e32 v144, v7, v18
	;; [unrolled: 3-line block ×3, first 2 shown]
	v_cvt_f32_f16_e32 v3, v154
	v_cvt_f32_f16_e32 v2, v143
	v_cvt_f32_f16_sdwa v7, v154 dst_sel:DWORD dst_unused:UNUSED_PAD src0_sel:WORD_1
	v_cvt_f32_f16_sdwa v6, v143 dst_sel:DWORD dst_unused:UNUSED_PAD src0_sel:WORD_1
	v_cvt_f32_i32_e32 v9, v168
	v_cvt_f32_i32_e32 v8, v142
	v_dot4c_i32_i8_e32 v4, v145, v17
	v_cvt_f32_f16_e32 v137, v155
	v_cvt_f32_f16_e32 v136, v164
	v_cvt_f32_f16_sdwa v141, v155 dst_sel:DWORD dst_unused:UNUSED_PAD src0_sel:WORD_1
	v_cvt_f32_f16_sdwa v140, v164 dst_sel:DWORD dst_unused:UNUSED_PAD src0_sel:WORD_1
	v_cvt_f32_i32_e32 v143, v165
	v_cvt_f32_i32_e32 v142, v163
	v_dot4c_i32_i8_e32 v4, v146, v12
	v_dot4c_i32_i8_e32 v4, v147, v18
	;; [unrolled: 1-line block ×3, first 2 shown]
	v_pk_fma_f32 v[2:3], v[2:3], v[8:9], v[6:7]
	v_dot4c_i32_i8_e32 v4, v153, v19
	v_pk_mul_f16 v14, v5, v159
	v_pk_mul_f16 v145, v5, v139
	v_pk_add_f32 v[2:3], v[124:125], v[2:3]
	v_pk_fma_f32 v[6:7], v[136:137], v[142:143], v[140:141]
	v_cvt_f32_f16_e32 v9, v138
	v_cvt_f32_f16_e32 v8, v158
	v_cvt_f32_f16_sdwa v125, v138 dst_sel:DWORD dst_unused:UNUSED_PAD src0_sel:WORD_1
	v_cvt_f32_f16_sdwa v124, v158 dst_sel:DWORD dst_unused:UNUSED_PAD src0_sel:WORD_1
	v_cvt_f32_i32_e32 v137, v160
	v_cvt_f32_i32_e32 v136, v172
	v_cvt_f32_f16_e32 v139, v145
	v_cvt_f32_f16_e32 v138, v14
	v_cvt_f32_f16_sdwa v141, v145 dst_sel:DWORD dst_unused:UNUSED_PAD src0_sel:WORD_1
	v_cvt_f32_f16_sdwa v140, v14 dst_sel:DWORD dst_unused:UNUSED_PAD src0_sel:WORD_1
	v_cvt_f32_i32_e32 v143, v144
	v_cvt_f32_i32_e32 v142, v4
	v_pk_add_f32 v[2:3], v[2:3], v[6:7]
	v_pk_fma_f32 v[6:7], v[8:9], v[136:137], v[124:125]
	v_pk_add_f32 v[2:3], v[2:3], v[6:7]
	v_pk_fma_f32 v[6:7], v[138:139], v[142:143], v[140:141]
	v_pk_add_f32 v[124:125], v[2:3], v[6:7]
	v_add_u32_e32 v2, 0x41e8, v113
	ds_read2_b32 v[2:3], v2 offset1:1
	v_mov_b32_e32 v136, 0
	s_waitcnt lgkmcnt(1)
	v_dot4c_i32_i8_e32 v136, v20, v10
	v_add_u32_e32 v4, 0x41f0, v113
	v_add_u32_e32 v8, 0x41f8, v113
	v_dot4c_i32_i8_e32 v136, v21, v16
	v_add_u32_e32 v14, 0x6260, v113
	ds_read2_b32 v[6:7], v4 offset1:1
	ds_read2_b32 v[8:9], v8 offset1:1
	;; [unrolled: 1-line block ×3, first 2 shown]
	s_waitcnt lgkmcnt(3)
	v_dot4c_i32_i8_e32 v136, v2, v11
	v_add_u32_e32 v2, 0x6268, v113
	v_dot4c_i32_i8_e32 v136, v3, v17
	ds_read2_b32 v[2:3], v2 offset1:1
	s_waitcnt lgkmcnt(3)
	v_dot4c_i32_i8_e32 v136, v6, v12
	v_add_u32_e32 v4, 0x6270, v113
	v_dot4c_i32_i8_e32 v136, v7, v18
	ds_read2_b32 v[6:7], v4 offset1:1
	v_mov_b32_e32 v138, 0
	s_waitcnt lgkmcnt(3)
	v_dot4c_i32_i8_e32 v136, v8, v13
	s_waitcnt lgkmcnt(2)
	v_dot4c_i32_i8_e32 v138, v20, v10
	v_add_u32_e32 v4, 0x6278, v113
	v_dot4c_i32_i8_e32 v136, v9, v19
	v_dot4c_i32_i8_e32 v138, v21, v16
	ds_read2_b32 v[8:9], v4 offset1:1
	s_waitcnt lgkmcnt(2)
	v_dot4c_i32_i8_e32 v138, v2, v11
	v_dot4c_i32_i8_e32 v138, v3, v17
	s_waitcnt lgkmcnt(1)
	v_dot4c_i32_i8_e32 v138, v6, v12
	v_dot4c_i32_i8_e32 v138, v7, v18
	s_waitcnt lgkmcnt(0)
	v_dot4c_i32_i8_e32 v138, v8, v13
	v_pk_mul_f16 v137, v5, v15
	v_dot4c_i32_i8_e32 v138, v9, v19
	v_cvt_f32_f16_e32 v3, v162
	v_cvt_f32_f16_e32 v2, v156
	v_cvt_f32_f16_sdwa v7, v162 dst_sel:DWORD dst_unused:UNUSED_PAD src0_sel:WORD_1
	v_cvt_f32_f16_sdwa v6, v156 dst_sel:DWORD dst_unused:UNUSED_PAD src0_sel:WORD_1
	v_cvt_f32_i32_e32 v9, v170
	v_cvt_f32_i32_e32 v8, v169
	v_cvt_f32_f16_e32 v11, v171
	v_cvt_f32_f16_e32 v10, v157
	v_cvt_f32_f16_sdwa v13, v171 dst_sel:DWORD dst_unused:UNUSED_PAD src0_sel:WORD_1
	v_cvt_f32_f16_sdwa v12, v157 dst_sel:DWORD dst_unused:UNUSED_PAD src0_sel:WORD_1
	v_cvt_f32_i32_e32 v15, v167
	v_cvt_f32_i32_e32 v14, v166
	v_pk_mul_f16 v16, v5, v135
	v_pk_fma_f32 v[2:3], v[2:3], v[8:9], v[6:7]
	v_cvt_f32_f16_e32 v7, v134
	v_pk_fma_f32 v[4:5], v[10:11], v[14:15], v[12:13]
	v_cvt_f32_f16_e32 v6, v173
	v_cvt_f32_f16_sdwa v9, v134 dst_sel:DWORD dst_unused:UNUSED_PAD src0_sel:WORD_1
	v_cvt_f32_f16_sdwa v8, v173 dst_sel:DWORD dst_unused:UNUSED_PAD src0_sel:WORD_1
	v_cvt_f32_i32_e32 v11, v174
	v_cvt_f32_i32_e32 v10, v161
	v_cvt_f32_f16_e32 v13, v16
	v_cvt_f32_f16_e32 v12, v137
	v_cvt_f32_f16_sdwa v15, v16 dst_sel:DWORD dst_unused:UNUSED_PAD src0_sel:WORD_1
	v_cvt_f32_f16_sdwa v14, v137 dst_sel:DWORD dst_unused:UNUSED_PAD src0_sel:WORD_1
	v_cvt_f32_i32_e32 v17, v138
	v_cvt_f32_i32_e32 v16, v136
	v_pk_add_f32 v[2:3], v[128:129], v[2:3]
	v_pk_add_f32 v[2:3], v[2:3], v[4:5]
	v_pk_fma_f32 v[4:5], v[6:7], v[10:11], v[8:9]
	v_pk_add_f32 v[2:3], v[2:3], v[4:5]
	v_pk_fma_f32 v[4:5], v[12:13], v[16:17], v[14:15]
	v_pk_add_f32 v[128:129], v[2:3], v[4:5]
	s_barrier
.LBB184_5:                              ;   in Loop: Header=BB184_6 Depth=1
	v_add_co_u32_e32 v56, vcc, 0x120, v56
	v_addc_co_u32_e32 v57, vcc, 0, v57, vcc
	v_add_co_u32_e32 v58, vcc, 0xc0, v58
	v_addc_co_u32_e32 v1, vcc, 0, v1, vcc
	;; [unrolled: 2-line block ×36, first 2 shown]
	s_add_i32 s10, s10, 8
	s_addk_i32 s20, 0x100
	v_add_co_u32_e32 v132, vcc, 0xc0, v132
	s_cmp_ge_i32 s10, s18
	v_addc_co_u32_e32 v95, vcc, 0, v95, vcc
	s_cbranch_scc1 .LBB184_19
.LBB184_6:                              ; =>This Inner Loop Header: Depth=1
	v_mov_b32_e32 v2, s19
	v_add_co_u32_e32 v4, vcc, s8, v58
	v_addc_co_u32_e32 v5, vcc, v1, v2, vcc
	global_load_dword v3, v[4:5], off
	v_add_co_u32_e32 v4, vcc, s8, v60
	v_addc_co_u32_e32 v5, vcc, v23, v2, vcc
	global_load_dword v8, v[4:5], off offset:4
	v_add_co_u32_e32 v4, vcc, s8, v62
	v_addc_co_u32_e32 v5, vcc, v25, v2, vcc
	v_add_co_u32_e32 v6, vcc, s8, v64
	v_addc_co_u32_e32 v7, vcc, v27, v2, vcc
	global_load_dword v9, v[6:7], off
	global_load_dword v10, v[4:5], off
	v_add_co_u32_e32 v4, vcc, s8, v68
	v_addc_co_u32_e32 v5, vcc, v31, v2, vcc
	global_load_dword v11, v[4:5], off
	v_add_co_u32_e32 v4, vcc, s8, v66
	v_addc_co_u32_e32 v5, vcc, v29, v2, vcc
	global_load_dword v12, v[4:5], off
	v_add_co_u32_e32 v4, vcc, s8, v70
	v_addc_co_u32_e32 v5, vcc, v33, v2, vcc
	v_add_co_u32_e32 v6, vcc, s8, v72
	v_addc_co_u32_e32 v7, vcc, v35, v2, vcc
	global_load_dword v13, v[4:5], off
	s_nop 0
	global_load_dword v6, v[6:7], off
	s_add_i32 s4, s20, 0xffffff80
	s_cmp_lt_i32 s4, s9
	s_waitcnt vmcnt(7)
	v_lshrrev_b32_e32 v5, 4, v3
	v_and_b32_e32 v3, 0xf0f0f0f, v3
	v_and_b32_e32 v5, 0xf0f0f0f, v5
	s_waitcnt vmcnt(6)
	v_ashrrev_i32_e32 v4, v101, v8
	v_lshlrev_b32_e32 v14, 11, v4
	v_lshrrev_b32_e32 v15, 12, v4
	v_lshrrev_b32_e32 v16, 5, v4
	v_lshlrev_b32_e32 v17, 2, v4
	v_lshlrev_b32_e32 v18, 18, v4
	;; [unrolled: 1-line block ×3, first 2 shown]
	v_and_b32_e32 v15, 16, v15
	s_waitcnt vmcnt(5)
	v_ashrrev_i32_e32 v7, v101, v9
	s_waitcnt vmcnt(4)
	v_lshrrev_b32_e32 v8, 4, v10
	v_and_b32_e32 v9, 0xf0f0f0f, v10
	v_lshlrev_b32_e32 v10, 4, v4
	v_lshlrev_b32_e32 v4, 25, v4
	v_and_b32_e32 v10, 16, v10
	v_and_b32_e32 v16, 0x1000, v16
	;; [unrolled: 1-line block ×7, first 2 shown]
	v_or3_b32 v3, v10, v3, v14
	v_or3_b32 v5, v15, v5, v16
	;; [unrolled: 1-line block ×4, first 2 shown]
	v_add_co_u32_e32 v4, vcc, s8, v76
	ds_write2_b32 v22, v3, v5 offset1:1
	v_addc_co_u32_e32 v5, vcc, v39, v2, vcc
	global_load_dword v3, v[4:5], off
	v_add_co_u32_e32 v4, vcc, s8, v74
	v_lshlrev_b32_e32 v20, 4, v7
	v_lshlrev_b32_e32 v21, 11, v7
	v_lshrrev_b32_e32 v134, 12, v7
	v_lshrrev_b32_e32 v135, 5, v7
	v_addc_co_u32_e32 v5, vcc, v37, v2, vcc
	v_and_b32_e32 v8, 0xf0f0f0f, v8
	v_lshlrev_b32_e32 v136, 2, v7
	v_lshlrev_b32_e32 v137, 18, v7
	;; [unrolled: 1-line block ×3, first 2 shown]
	v_and_b32_e32 v134, 16, v134
	v_and_b32_e32 v20, 16, v20
	;; [unrolled: 1-line block ×4, first 2 shown]
	global_load_dword v10, v[4:5], off
	v_lshlrev_b32_e32 v4, 25, v7
	v_and_b32_e32 v137, 0x100000, v137
	v_and_b32_e32 v136, 0x100000, v136
	v_or3_b32 v9, v20, v9, v21
	v_or3_b32 v8, v134, v8, v135
	v_and_b32_e32 v4, 0x10000000, v4
	v_and_b32_e32 v5, 0x10000000, v138
	v_or3_b32 v5, v8, v136, v5
	v_or3_b32 v4, v9, v137, v4
	s_waitcnt vmcnt(5)
	v_ashrrev_i32_e32 v7, v101, v11
	ds_write2_b32 v24, v4, v5 offset1:1
	v_lshlrev_b32_e32 v4, 4, v7
	v_lshlrev_b32_e32 v5, 11, v7
	s_waitcnt vmcnt(4)
	v_lshrrev_b32_e32 v8, 4, v12
	v_lshrrev_b32_e32 v9, 12, v7
	;; [unrolled: 1-line block ×3, first 2 shown]
	v_and_b32_e32 v12, 0xf0f0f0f, v12
	v_and_b32_e32 v4, 16, v4
	;; [unrolled: 1-line block ×6, first 2 shown]
	v_or3_b32 v12, v4, v12, v5
	v_lshlrev_b32_e32 v4, 2, v7
	v_or3_b32 v8, v9, v8, v11
	v_lshlrev_b32_e32 v5, 18, v7
	v_and_b32_e32 v11, 0x100000, v4
	v_add_co_u32_e32 v4, vcc, s8, v80
	v_and_b32_e32 v9, 0x100000, v5
	v_addc_co_u32_e32 v5, vcc, v43, v2, vcc
	global_load_dword v15, v[4:5], off
	v_add_co_u32_e32 v4, vcc, s8, v78
	v_addc_co_u32_e32 v5, vcc, v41, v2, vcc
	v_lshlrev_b32_e32 v14, 9, v7
	global_load_dword v16, v[4:5], off
	v_lshlrev_b32_e32 v4, 25, v7
	v_and_b32_e32 v4, 0x10000000, v4
	v_and_b32_e32 v5, 0x10000000, v14
	v_or3_b32 v5, v8, v11, v5
	v_or3_b32 v4, v12, v9, v4
	s_waitcnt vmcnt(4)
	v_ashrrev_i32_e32 v6, v101, v6
	ds_write2_b32 v26, v4, v5 offset1:1
	v_lshlrev_b32_e32 v4, 4, v6
	v_lshlrev_b32_e32 v5, 11, v6
	v_lshrrev_b32_e32 v7, 4, v13
	v_lshrrev_b32_e32 v8, 12, v6
	;; [unrolled: 1-line block ×3, first 2 shown]
	v_and_b32_e32 v11, 0xf0f0f0f, v13
	v_and_b32_e32 v4, 16, v4
	v_and_b32_e32 v5, 0x1000, v5
	v_and_b32_e32 v7, 0xf0f0f0f, v7
	v_and_b32_e32 v8, 16, v8
	v_and_b32_e32 v9, 0x1000, v9
	v_or3_b32 v11, v4, v11, v5
	v_lshlrev_b32_e32 v4, 2, v6
	v_or3_b32 v7, v8, v7, v9
	v_lshlrev_b32_e32 v5, 18, v6
	v_and_b32_e32 v9, 0x100000, v4
	v_add_co_u32_e32 v4, vcc, s8, v84
	v_and_b32_e32 v8, 0x100000, v5
	v_addc_co_u32_e32 v5, vcc, v47, v2, vcc
	global_load_dword v13, v[4:5], off
	v_add_co_u32_e32 v4, vcc, s8, v82
	v_addc_co_u32_e32 v5, vcc, v45, v2, vcc
	global_load_dword v14, v[4:5], off
	v_lshlrev_b32_e32 v12, 9, v6
	v_lshlrev_b32_e32 v4, 25, v6
	v_and_b32_e32 v4, 0x10000000, v4
	v_and_b32_e32 v5, 0x10000000, v12
	v_or3_b32 v5, v7, v9, v5
	v_or3_b32 v4, v11, v8, v4
	s_waitcnt vmcnt(5)
	v_ashrrev_i32_e32 v3, v101, v3
	ds_write2_b32 v28, v4, v5 offset1:1
	v_lshlrev_b32_e32 v4, 4, v3
	v_lshlrev_b32_e32 v5, 11, v3
	s_waitcnt vmcnt(4)
	v_lshrrev_b32_e32 v6, 4, v10
	v_lshrrev_b32_e32 v7, 12, v3
	;; [unrolled: 1-line block ×3, first 2 shown]
	v_and_b32_e32 v9, 0xf0f0f0f, v10
	v_and_b32_e32 v4, 16, v4
	;; [unrolled: 1-line block ×6, first 2 shown]
	v_or3_b32 v9, v4, v9, v5
	v_lshlrev_b32_e32 v4, 2, v3
	v_or3_b32 v6, v7, v6, v8
	v_lshlrev_b32_e32 v5, 18, v3
	v_and_b32_e32 v8, 0x100000, v4
	v_add_co_u32_e32 v4, vcc, s8, v88
	v_and_b32_e32 v7, 0x100000, v5
	v_addc_co_u32_e32 v5, vcc, v51, v2, vcc
	global_load_dword v11, v[4:5], off
	v_add_co_u32_e32 v4, vcc, s8, v86
	v_lshlrev_b32_e32 v10, 9, v3
	v_addc_co_u32_e32 v5, vcc, v49, v2, vcc
	v_lshlrev_b32_e32 v3, 25, v3
	global_load_dword v12, v[4:5], off
	v_and_b32_e32 v3, 0x10000000, v3
	v_and_b32_e32 v4, 0x10000000, v10
	v_or3_b32 v4, v6, v8, v4
	v_or3_b32 v3, v9, v7, v3
	ds_write2_b32 v30, v3, v4 offset1:1
	s_waitcnt vmcnt(5)
	v_ashrrev_i32_e32 v3, v101, v15
	v_lshlrev_b32_e32 v4, 4, v3
	v_lshlrev_b32_e32 v5, 11, v3
	s_waitcnt vmcnt(4)
	v_lshrrev_b32_e32 v6, 4, v16
	v_lshrrev_b32_e32 v7, 12, v3
	;; [unrolled: 1-line block ×3, first 2 shown]
	v_and_b32_e32 v9, 0xf0f0f0f, v16
	v_and_b32_e32 v4, 16, v4
	;; [unrolled: 1-line block ×6, first 2 shown]
	v_or3_b32 v9, v4, v9, v5
	v_lshlrev_b32_e32 v4, 2, v3
	v_or3_b32 v6, v7, v6, v8
	v_lshlrev_b32_e32 v5, 18, v3
	v_and_b32_e32 v8, 0x100000, v4
	v_add_co_u32_e32 v4, vcc, s8, v92
	v_and_b32_e32 v7, 0x100000, v5
	v_addc_co_u32_e32 v5, vcc, v59, v2, vcc
	global_load_dword v15, v[4:5], off
	v_add_co_u32_e32 v4, vcc, s8, v90
	v_lshlrev_b32_e32 v10, 9, v3
	v_addc_co_u32_e32 v5, vcc, v53, v2, vcc
	v_lshlrev_b32_e32 v3, 25, v3
	global_load_dword v16, v[4:5], off
	v_and_b32_e32 v3, 0x10000000, v3
	v_and_b32_e32 v4, 0x10000000, v10
	v_or3_b32 v4, v6, v8, v4
	v_or3_b32 v3, v9, v7, v3
	ds_write2_b32 v32, v3, v4 offset1:1
	s_waitcnt vmcnt(5)
	v_ashrrev_i32_e32 v3, v101, v13
	v_lshlrev_b32_e32 v4, 4, v3
	v_lshlrev_b32_e32 v5, 11, v3
	s_waitcnt vmcnt(4)
	v_lshrrev_b32_e32 v6, 4, v14
	v_lshrrev_b32_e32 v7, 12, v3
	;; [unrolled: 1-line block ×3, first 2 shown]
	v_and_b32_e32 v9, 0xf0f0f0f, v14
	v_and_b32_e32 v4, 16, v4
	v_and_b32_e32 v5, 0x1000, v5
	v_and_b32_e32 v6, 0xf0f0f0f, v6
	v_and_b32_e32 v7, 16, v7
	v_and_b32_e32 v8, 0x1000, v8
	v_or3_b32 v9, v4, v9, v5
	v_lshlrev_b32_e32 v4, 2, v3
	v_or3_b32 v6, v7, v6, v8
	v_lshlrev_b32_e32 v5, 18, v3
	v_and_b32_e32 v8, 0x100000, v4
	v_add_co_u32_e32 v4, vcc, s8, v96
	v_and_b32_e32 v7, 0x100000, v5
	v_addc_co_u32_e32 v5, vcc, v63, v2, vcc
	global_load_dword v13, v[4:5], off
	v_add_co_u32_e32 v4, vcc, s8, v94
	v_addc_co_u32_e32 v5, vcc, v61, v2, vcc
	global_load_dword v14, v[4:5], off
	v_lshlrev_b32_e32 v10, 9, v3
	v_lshlrev_b32_e32 v3, 25, v3
	v_and_b32_e32 v3, 0x10000000, v3
	v_and_b32_e32 v4, 0x10000000, v10
	v_or3_b32 v4, v6, v8, v4
	v_or3_b32 v3, v9, v7, v3
	ds_write2_b32 v34, v3, v4 offset1:1
	s_waitcnt vmcnt(5)
	v_ashrrev_i32_e32 v3, v101, v11
	v_lshlrev_b32_e32 v4, 4, v3
	v_lshlrev_b32_e32 v5, 11, v3
	v_lshrrev_b32_e32 v7, 12, v3
	s_waitcnt vmcnt(4)
	v_lshrrev_b32_e32 v6, 4, v12
	v_lshrrev_b32_e32 v8, 5, v3
	v_and_b32_e32 v9, 0xf0f0f0f, v12
	v_and_b32_e32 v4, 16, v4
	;; [unrolled: 1-line block ×6, first 2 shown]
	v_or3_b32 v9, v4, v9, v5
	v_lshlrev_b32_e32 v4, 2, v3
	v_or3_b32 v6, v7, v6, v8
	v_lshlrev_b32_e32 v5, 18, v3
	v_and_b32_e32 v8, 0x100000, v4
	v_add_co_u32_e32 v4, vcc, s8, v100
	v_and_b32_e32 v7, 0x100000, v5
	v_addc_co_u32_e32 v5, vcc, v67, v2, vcc
	global_load_dword v11, v[4:5], off
	v_add_co_u32_e32 v4, vcc, s8, v98
	v_lshlrev_b32_e32 v10, 9, v3
	v_addc_co_u32_e32 v5, vcc, v65, v2, vcc
	v_lshlrev_b32_e32 v3, 25, v3
	global_load_dword v12, v[4:5], off
	v_and_b32_e32 v3, 0x10000000, v3
	v_and_b32_e32 v4, 0x10000000, v10
	v_or3_b32 v4, v6, v8, v4
	v_or3_b32 v3, v9, v7, v3
	ds_write2_b32 v36, v3, v4 offset1:1
	s_waitcnt vmcnt(5)
	v_ashrrev_i32_e32 v3, v101, v15
	v_lshlrev_b32_e32 v4, 4, v3
	v_lshlrev_b32_e32 v5, 11, v3
	v_and_b32_e32 v4, 16, v4
	s_waitcnt vmcnt(4)
	v_and_b32_e32 v9, 0xf0f0f0f, v16
	v_and_b32_e32 v5, 0x1000, v5
	v_lshrrev_b32_e32 v6, 4, v16
	v_lshrrev_b32_e32 v7, 12, v3
	;; [unrolled: 1-line block ×3, first 2 shown]
	v_or3_b32 v9, v4, v9, v5
	v_add_co_u32_e32 v4, vcc, s8, v104
	v_and_b32_e32 v6, 0xf0f0f0f, v6
	v_and_b32_e32 v7, 16, v7
	;; [unrolled: 1-line block ×3, first 2 shown]
	v_addc_co_u32_e32 v5, vcc, v71, v2, vcc
	v_or3_b32 v6, v7, v6, v8
	global_load_dword v7, v[4:5], off
	v_add_co_u32_e32 v4, vcc, s8, v102
	v_addc_co_u32_e32 v5, vcc, v69, v2, vcc
	global_load_dword v8, v[4:5], off
	v_lshlrev_b32_e32 v4, 2, v3
	v_lshlrev_b32_e32 v5, 18, v3
	;; [unrolled: 1-line block ×4, first 2 shown]
	v_and_b32_e32 v5, 0x100000, v5
	v_and_b32_e32 v4, 0x100000, v4
	;; [unrolled: 1-line block ×4, first 2 shown]
	v_or3_b32 v4, v6, v4, v10
	v_or3_b32 v3, v9, v5, v3
	ds_write2_b32 v38, v3, v4 offset1:1
	s_waitcnt vmcnt(5)
	v_ashrrev_i32_e32 v3, v101, v13
	v_lshrrev_b32_e32 v5, 12, v3
	s_waitcnt vmcnt(4)
	v_lshrrev_b32_e32 v4, 4, v14
	v_and_b32_e32 v13, 0xf0f0f0f, v4
	v_add_co_u32_e32 v4, vcc, s8, v108
	v_and_b32_e32 v15, 16, v5
	v_addc_co_u32_e32 v5, vcc, v75, v2, vcc
	global_load_dword v16, v[4:5], off
	v_add_co_u32_e32 v4, vcc, s8, v106
	v_addc_co_u32_e32 v5, vcc, v73, v2, vcc
	global_load_dword v17, v[4:5], off
	v_lshlrev_b32_e32 v6, 4, v3
	v_lshlrev_b32_e32 v9, 11, v3
	v_lshrrev_b32_e32 v10, 5, v3
	v_and_b32_e32 v14, 0xf0f0f0f, v14
	v_and_b32_e32 v4, 16, v6
	;; [unrolled: 1-line block ×4, first 2 shown]
	v_or3_b32 v4, v4, v14, v6
	v_lshlrev_b32_e32 v6, 2, v3
	v_lshlrev_b32_e32 v9, 18, v3
	;; [unrolled: 1-line block ×4, first 2 shown]
	v_or3_b32 v5, v15, v13, v5
	v_and_b32_e32 v9, 0x100000, v9
	v_and_b32_e32 v6, 0x100000, v6
	;; [unrolled: 1-line block ×4, first 2 shown]
	v_or3_b32 v5, v5, v6, v10
	v_or3_b32 v3, v4, v9, v3
	ds_write2_b32 v40, v3, v5 offset1:1
	s_waitcnt vmcnt(5)
	v_ashrrev_i32_e32 v3, v101, v11
	v_lshlrev_b32_e32 v4, 4, v3
	v_lshlrev_b32_e32 v5, 11, v3
	v_lshrrev_b32_e32 v9, 12, v3
	s_waitcnt vmcnt(4)
	v_lshrrev_b32_e32 v6, 4, v12
	v_lshrrev_b32_e32 v10, 5, v3
	v_and_b32_e32 v11, 0xf0f0f0f, v12
	v_and_b32_e32 v4, 16, v4
	;; [unrolled: 1-line block ×6, first 2 shown]
	v_or3_b32 v11, v4, v11, v5
	v_lshlrev_b32_e32 v4, 2, v3
	v_or3_b32 v6, v9, v6, v10
	v_lshlrev_b32_e32 v5, 18, v3
	v_and_b32_e32 v10, 0x100000, v4
	v_add_co_u32_e32 v4, vcc, s8, v112
	v_and_b32_e32 v9, 0x100000, v5
	v_lshlrev_b32_e32 v12, 9, v3
	v_lshlrev_b32_e32 v3, 25, v3
	v_addc_co_u32_e32 v5, vcc, v79, v2, vcc
	v_and_b32_e32 v3, 0x10000000, v3
	global_load_dword v13, v[4:5], off
	v_and_b32_e32 v4, 0x10000000, v12
	v_or3_b32 v4, v6, v10, v4
	v_or3_b32 v3, v11, v9, v3
	ds_write2_b32 v42, v3, v4 offset1:1
	s_waitcnt vmcnt(4)
	v_ashrrev_i32_e32 v3, v101, v7
	v_lshlrev_b32_e32 v4, 4, v3
	v_lshlrev_b32_e32 v5, 11, v3
	s_waitcnt vmcnt(3)
	v_lshrrev_b32_e32 v6, 4, v8
	v_and_b32_e32 v8, 0xf0f0f0f, v8
	v_and_b32_e32 v4, 16, v4
	;; [unrolled: 1-line block ×3, first 2 shown]
	v_lshrrev_b32_e32 v7, 12, v3
	v_lshrrev_b32_e32 v9, 5, v3
	v_or3_b32 v8, v4, v8, v5
	v_add_co_u32_e32 v4, vcc, s8, v110
	v_and_b32_e32 v6, 0xf0f0f0f, v6
	v_and_b32_e32 v7, 16, v7
	;; [unrolled: 1-line block ×3, first 2 shown]
	v_addc_co_u32_e32 v5, vcc, v77, v2, vcc
	v_or3_b32 v6, v7, v6, v9
	global_load_dword v7, v[4:5], off
	v_lshlrev_b32_e32 v4, 2, v3
	v_lshlrev_b32_e32 v5, 18, v3
	;; [unrolled: 1-line block ×4, first 2 shown]
	v_and_b32_e32 v5, 0x100000, v5
	v_and_b32_e32 v4, 0x100000, v4
	;; [unrolled: 1-line block ×4, first 2 shown]
	v_or3_b32 v4, v6, v4, v9
	v_or3_b32 v3, v8, v5, v3
	ds_write2_b32 v44, v3, v4 offset1:1
	v_add_co_u32_e32 v4, vcc, s8, v116
	v_addc_co_u32_e32 v5, vcc, v83, v2, vcc
	global_load_dword v10, v[4:5], off
	v_add_co_u32_e32 v4, vcc, s8, v114
	s_waitcnt vmcnt(4)
	v_ashrrev_i32_e32 v3, v101, v16
	v_addc_co_u32_e32 v5, vcc, v81, v2, vcc
	v_lshlrev_b32_e32 v6, 4, v3
	v_lshlrev_b32_e32 v8, 11, v3
	s_waitcnt vmcnt(3)
	v_lshrrev_b32_e32 v9, 4, v17
	global_load_dword v11, v[4:5], off
	v_lshrrev_b32_e32 v4, 12, v3
	v_lshrrev_b32_e32 v5, 5, v3
	v_and_b32_e32 v9, 0xf0f0f0f, v9
	v_and_b32_e32 v12, 0xf0f0f0f, v17
	;; [unrolled: 1-line block ×6, first 2 shown]
	v_or3_b32 v6, v6, v12, v8
	v_or3_b32 v8, v4, v9, v5
	v_lshlrev_b32_e32 v4, 2, v3
	v_lshlrev_b32_e32 v5, 18, v3
	v_and_b32_e32 v12, 0x100000, v4
	v_add_co_u32_e32 v4, vcc, s8, v120
	v_and_b32_e32 v9, 0x100000, v5
	v_addc_co_u32_e32 v5, vcc, v87, v2, vcc
	global_load_dword v15, v[4:5], off
	v_add_co_u32_e32 v4, vcc, s8, v118
	v_lshlrev_b32_e32 v14, 9, v3
	v_addc_co_u32_e32 v5, vcc, v85, v2, vcc
	v_lshlrev_b32_e32 v3, 25, v3
	global_load_dword v16, v[4:5], off
	v_and_b32_e32 v3, 0x10000000, v3
	v_and_b32_e32 v4, 0x10000000, v14
	v_or3_b32 v4, v8, v12, v4
	v_or3_b32 v3, v6, v9, v3
	ds_write2_b32 v46, v3, v4 offset1:1
	v_add_co_u32_e32 v4, vcc, s8, v122
	v_addc_co_u32_e32 v5, vcc, v89, v2, vcc
	global_load_dword v6, v[4:5], off
	v_add_co_u32_e32 v4, vcc, s8, v126
	v_addc_co_u32_e32 v5, vcc, v91, v2, vcc
	global_load_dword v8, v[4:5], off
	;; [unrolled: 3-line block ×4, first 2 shown]
	s_waitcnt vmcnt(9)
	v_ashrrev_i32_e32 v3, v101, v13
	v_lshlrev_b32_e32 v4, 4, v3
	v_lshlrev_b32_e32 v5, 11, v3
	s_waitcnt vmcnt(8)
	v_lshrrev_b32_e32 v12, 4, v7
	v_lshrrev_b32_e32 v13, 12, v3
	;; [unrolled: 1-line block ×3, first 2 shown]
	v_and_b32_e32 v12, 0xf0f0f0f, v12
	v_and_b32_e32 v7, 0xf0f0f0f, v7
	;; [unrolled: 1-line block ×6, first 2 shown]
	v_or3_b32 v4, v4, v7, v5
	v_or3_b32 v5, v13, v12, v14
	v_lshlrev_b32_e32 v7, 2, v3
	v_lshlrev_b32_e32 v12, 18, v3
	;; [unrolled: 1-line block ×4, first 2 shown]
	v_and_b32_e32 v12, 0x100000, v12
	v_and_b32_e32 v7, 0x100000, v7
	;; [unrolled: 1-line block ×4, first 2 shown]
	v_or3_b32 v5, v5, v7, v13
	v_or3_b32 v3, v4, v12, v3
	ds_write2_b32 v48, v3, v5 offset1:1
	s_waitcnt vmcnt(7)
	v_ashrrev_i32_e32 v3, v101, v10
	v_lshlrev_b32_e32 v4, 4, v3
	v_lshlrev_b32_e32 v5, 11, v3
	s_waitcnt vmcnt(6)
	v_lshrrev_b32_e32 v7, 4, v11
	v_lshrrev_b32_e32 v10, 12, v3
	;; [unrolled: 1-line block ×3, first 2 shown]
	v_and_b32_e32 v7, 0xf0f0f0f, v7
	v_and_b32_e32 v11, 0xf0f0f0f, v11
	;; [unrolled: 1-line block ×6, first 2 shown]
	v_or3_b32 v4, v4, v11, v5
	v_or3_b32 v5, v10, v7, v12
	v_lshlrev_b32_e32 v7, 2, v3
	v_lshlrev_b32_e32 v10, 18, v3
	;; [unrolled: 1-line block ×4, first 2 shown]
	v_and_b32_e32 v10, 0x100000, v10
	v_and_b32_e32 v7, 0x100000, v7
	;; [unrolled: 1-line block ×4, first 2 shown]
	v_or3_b32 v5, v5, v7, v11
	v_or3_b32 v3, v4, v10, v3
	ds_write2_b32 v50, v3, v5 offset1:1
	s_waitcnt vmcnt(5)
	v_ashrrev_i32_e32 v3, v101, v15
	v_lshlrev_b32_e32 v4, 4, v3
	v_lshlrev_b32_e32 v5, 11, v3
	v_lshrrev_b32_e32 v10, 12, v3
	s_waitcnt vmcnt(4)
	v_lshrrev_b32_e32 v7, 4, v16
	v_lshrrev_b32_e32 v11, 5, v3
	v_and_b32_e32 v7, 0xf0f0f0f, v7
	v_and_b32_e32 v12, 0xf0f0f0f, v16
	v_and_b32_e32 v10, 16, v10
	v_and_b32_e32 v4, 16, v4
	v_and_b32_e32 v11, 0x1000, v11
	v_and_b32_e32 v5, 0x1000, v5
	v_or3_b32 v4, v4, v12, v5
	v_or3_b32 v5, v10, v7, v11
	v_lshlrev_b32_e32 v7, 2, v3
	v_lshlrev_b32_e32 v10, 18, v3
	;; [unrolled: 1-line block ×4, first 2 shown]
	v_and_b32_e32 v10, 0x100000, v10
	v_and_b32_e32 v7, 0x100000, v7
	;; [unrolled: 1-line block ×4, first 2 shown]
	v_or3_b32 v5, v5, v7, v11
	v_or3_b32 v3, v4, v10, v3
	ds_write2_b32 v52, v3, v5 offset1:1
	s_waitcnt vmcnt(3)
	ds_write_b32 v148, v6
	s_waitcnt vmcnt(2)
	ds_write_b32 v149, v8
	;; [unrolled: 2-line block ×4, first 2 shown]
	s_cbranch_scc0 .LBB184_5
; %bb.7:                                ;   in Loop: Header=BB184_6 Depth=1
	v_add_u32_e32 v2, s10, v103
	v_cmp_gt_i32_e32 vcc, s12, v2
	s_and_b64 s[22:23], s[2:3], vcc
	s_and_saveexec_b64 s[4:5], s[22:23]
	s_cbranch_execz .LBB184_9
; %bb.8:                                ;   in Loop: Header=BB184_6 Depth=1
	v_add_u32_e32 v2, s10, v133
	v_mad_i64_i32 v[2:3], s[22:23], v2, 36, v[54:55]
	global_load_dword v2, v[2:3], off offset:4
	s_waitcnt vmcnt(0)
	ds_write_b32 v105, v2
.LBB184_9:                              ;   in Loop: Header=BB184_6 Depth=1
	s_or_b64 exec, exec, s[4:5]
	s_and_saveexec_b64 s[4:5], s[0:1]
	s_cbranch_execz .LBB184_12
; %bb.10:                               ;   in Loop: Header=BB184_6 Depth=1
	v_add_u32_e32 v2, s10, v99
	v_cmp_gt_i32_e32 vcc, s12, v2
	s_and_b64 s[22:23], s[2:3], vcc
	s_and_b64 exec, exec, s[22:23]
	s_cbranch_execz .LBB184_12
; %bb.11:                               ;   in Loop: Header=BB184_6 Depth=1
	v_add_u32_e32 v2, s10, v127
	v_mad_i64_i32 v[2:3], s[22:23], v2, 36, s[6:7]
	global_load_dword v2, v[2:3], off
	s_waitcnt vmcnt(0)
	ds_write_b32 v107, v2
.LBB184_12:                             ;   in Loop: Header=BB184_6 Depth=1
	s_or_b64 exec, exec, s[4:5]
	s_waitcnt lgkmcnt(0)
	s_barrier
	ds_read_b128 v[14:17], v109
	ds_read_b128 v[18:21], v109 offset:16
	ds_read_b128 v[2:5], v111
	ds_read2_b32 v[136:137], v113 offset1:1
	ds_read_b128 v[10:13], v109 offset:32
	ds_read_b128 v[6:9], v109 offset:48
	ds_read2_b32 v[134:135], v115 offset1:1
	ds_read2_b32 v[138:139], v113 offset0:2 offset1:3
	v_mov_b32_e32 v166, 0
	s_waitcnt lgkmcnt(4)
	v_dot4c_i32_i8_e32 v166, v136, v14
	v_dot4c_i32_i8_e32 v166, v137, v18
	s_waitcnt lgkmcnt(1)
	v_pk_mul_f16 v172, v2, v134
	s_waitcnt lgkmcnt(0)
	v_dot4c_i32_i8_e32 v166, v138, v15
	v_add_u32_e32 v134, 0x2080, v113
	ds_read2_b32 v[136:137], v113 offset0:4 offset1:5
	ds_read2_b32 v[140:141], v113 offset0:6 offset1:7
	;; [unrolled: 1-line block ×3, first 2 shown]
	v_dot4c_i32_i8_e32 v166, v139, v19
	ds_read2_b32 v[152:153], v113 offset0:26 offset1:27
	ds_read2_b32 v[154:155], v113 offset0:28 offset1:29
	;; [unrolled: 1-line block ×3, first 2 shown]
	ds_read2_b32 v[138:139], v134 offset1:1
	s_waitcnt lgkmcnt(6)
	v_dot4c_i32_i8_e32 v166, v136, v16
	v_dot4c_i32_i8_e32 v166, v137, v20
	ds_read2_b32 v[136:137], v121 offset0:2 offset1:3
	ds_read2_b32 v[158:159], v117 offset1:1
	v_mov_b32_e32 v134, 0
	s_waitcnt lgkmcnt(2)
	v_dot4c_i32_i8_e32 v134, v138, v14
	v_add_u32_e32 v138, 0x2088, v113
	v_dot4c_i32_i8_e32 v134, v139, v18
	ds_read2_b32 v[138:139], v138 offset1:1
	v_dot4c_i32_i8_e32 v166, v140, v17
	v_dot4c_i32_i8_e32 v166, v141, v21
	v_add_u32_e32 v141, 0x2090, v113
	v_add_u32_e32 v146, 0x2098, v113
	;; [unrolled: 1-line block ×3, first 2 shown]
	ds_read2_b32 v[144:145], v141 offset1:1
	ds_read2_b32 v[146:147], v146 offset1:1
	;; [unrolled: 1-line block ×3, first 2 shown]
	s_waitcnt lgkmcnt(3)
	v_dot4c_i32_i8_e32 v134, v138, v15
	v_dot4c_i32_i8_e32 v134, v139, v19
	s_waitcnt lgkmcnt(2)
	v_dot4c_i32_i8_e32 v134, v144, v16
	v_dot4c_i32_i8_e32 v134, v145, v20
	;; [unrolled: 3-line block ×3, first 2 shown]
	v_add_u32_e32 v138, 0x4108, v113
	ds_read2_b32 v[162:163], v119 offset1:1
	ds_read2_b32 v[144:145], v117 offset0:2 offset1:3
	ds_read2_b32 v[164:165], v115 offset0:2 offset1:3
	v_cvt_f32_i32_e32 v147, v134
	v_mov_b32_e32 v134, 0
	ds_read2_b32 v[138:139], v138 offset1:1
	v_pk_mul_f16 v173, v2, v158
	v_cvt_f32_i32_e32 v146, v166
	s_waitcnt lgkmcnt(4)
	v_dot4c_i32_i8_e32 v134, v160, v14
	v_add_u32_e32 v158, 0x4110, v113
	v_add_u32_e32 v166, 0x4118, v113
	;; [unrolled: 1-line block ×3, first 2 shown]
	v_dot4c_i32_i8_e32 v134, v161, v18
	ds_read2_b32 v[160:161], v158 offset1:1
	ds_read2_b32 v[166:167], v166 offset1:1
	;; [unrolled: 1-line block ×3, first 2 shown]
	s_waitcnt lgkmcnt(3)
	v_dot4c_i32_i8_e32 v134, v138, v15
	v_dot4c_i32_i8_e32 v134, v139, v19
	v_mov_b32_e32 v158, 0
	s_waitcnt lgkmcnt(2)
	v_dot4c_i32_i8_e32 v134, v160, v16
	s_waitcnt lgkmcnt(0)
	v_dot4c_i32_i8_e32 v158, v168, v14
	v_add_u32_e32 v14, 0x6188, v113
	v_dot4c_i32_i8_e32 v134, v161, v20
	ds_read2_b32 v[160:161], v14 offset1:1
	v_dot4c_i32_i8_e32 v134, v166, v17
	v_dot4c_i32_i8_e32 v158, v169, v18
	v_add_u32_e32 v18, 0x6190, v113
	v_dot4c_i32_i8_e32 v134, v167, v21
	v_add_u32_e32 v139, 0x6198, v113
	v_add_u32_e32 v14, 0x20a0, v113
	ds_read2_b32 v[166:167], v18 offset1:1
	ds_read2_b32 v[168:169], v139 offset1:1
	;; [unrolled: 1-line block ×3, first 2 shown]
	s_waitcnt lgkmcnt(3)
	v_dot4c_i32_i8_e32 v158, v160, v15
	v_dot4c_i32_i8_e32 v158, v161, v19
	s_waitcnt lgkmcnt(2)
	v_dot4c_i32_i8_e32 v158, v166, v16
	v_dot4c_i32_i8_e32 v158, v167, v20
	s_waitcnt lgkmcnt(1)
	v_dot4c_i32_i8_e32 v158, v168, v17
	ds_read2_b32 v[18:19], v121 offset1:1
	ds_read2_b32 v[16:17], v119 offset0:2 offset1:3
	v_dot4c_i32_i8_e32 v158, v169, v21
	ds_read2_b32 v[20:21], v113 offset0:10 offset1:11
	v_mov_b32_e32 v169, 0
	v_dot4c_i32_i8_e32 v169, v142, v10
	v_dot4c_i32_i8_e32 v169, v143, v6
	ds_read2_b32 v[142:143], v113 offset0:12 offset1:13
	ds_read2_b32 v[160:161], v113 offset0:14 offset1:15
	;; [unrolled: 1-line block ×3, first 2 shown]
	v_pk_mul_f16 v162, v2, v162
	s_waitcnt lgkmcnt(5)
	v_pk_mul_f16 v168, v2, v18
	s_waitcnt lgkmcnt(3)
	v_dot4c_i32_i8_e32 v169, v20, v11
	v_add_u32_e32 v2, 0x20a8, v113
	v_dot4c_i32_i8_e32 v169, v21, v7
	ds_read2_b32 v[20:21], v2 offset1:1
	s_waitcnt lgkmcnt(3)
	v_dot4c_i32_i8_e32 v169, v142, v12
	v_dot4c_i32_i8_e32 v169, v143, v8
	v_mov_b32_e32 v175, 0
	s_waitcnt lgkmcnt(2)
	v_dot4c_i32_i8_e32 v169, v160, v13
	v_dot4c_i32_i8_e32 v175, v170, v10
	v_add_u32_e32 v18, 0x20b0, v113
	v_add_u32_e32 v142, 0x20b8, v113
	v_cvt_f32_i32_e32 v14, v134
	v_dot4c_i32_i8_e32 v169, v161, v9
	v_pk_mul_f16 v174, v3, v135
	v_dot4c_i32_i8_e32 v175, v171, v6
	v_add_u32_e32 v2, 0x4120, v113
	ds_read2_b32 v[134:135], v18 offset1:1
	ds_read2_b32 v[142:143], v142 offset1:1
	;; [unrolled: 1-line block ×3, first 2 shown]
	s_waitcnt lgkmcnt(3)
	v_dot4c_i32_i8_e32 v175, v20, v11
	v_dot4c_i32_i8_e32 v175, v21, v7
	v_add_u32_e32 v2, 0x4128, v113
	s_waitcnt lgkmcnt(2)
	v_dot4c_i32_i8_e32 v175, v134, v12
	ds_read2_b32 v[20:21], v2 offset1:1
	v_dot4c_i32_i8_e32 v175, v135, v8
	s_waitcnt lgkmcnt(2)
	v_dot4c_i32_i8_e32 v175, v142, v13
	v_mov_b32_e32 v171, 0
	v_add_u32_e32 v18, 0x4130, v113
	v_add_u32_e32 v142, 0x4138, v113
	v_cvt_f32_i32_e32 v15, v158
	v_dot4c_i32_i8_e32 v175, v143, v9
	v_pk_mul_f16 v170, v3, v159
	s_waitcnt lgkmcnt(1)
	v_dot4c_i32_i8_e32 v171, v160, v10
	v_add_u32_e32 v2, 0x61a0, v113
	ds_read2_b32 v[134:135], v18 offset1:1
	ds_read2_b32 v[142:143], v142 offset1:1
	;; [unrolled: 1-line block ×3, first 2 shown]
	v_dot4c_i32_i8_e32 v171, v161, v6
	s_waitcnt lgkmcnt(3)
	v_dot4c_i32_i8_e32 v171, v20, v11
	v_add_u32_e32 v2, 0x61a8, v113
	v_dot4c_i32_i8_e32 v171, v21, v7
	ds_read2_b32 v[20:21], v2 offset1:1
	s_waitcnt lgkmcnt(3)
	v_dot4c_i32_i8_e32 v171, v134, v12
	v_mov_b32_e32 v161, 0
	v_dot4c_i32_i8_e32 v171, v135, v8
	s_waitcnt lgkmcnt(1)
	v_dot4c_i32_i8_e32 v161, v158, v10
	v_dot4c_i32_i8_e32 v171, v142, v13
	;; [unrolled: 1-line block ×3, first 2 shown]
	v_add_u32_e32 v6, 0x61b0, v113
	v_dot4c_i32_i8_e32 v171, v143, v9
	v_add_u32_e32 v10, 0x61b8, v113
	v_add_u32_e32 v2, 0x20c0, v113
	ds_read2_b32 v[134:135], v6 offset1:1
	ds_read2_b32 v[142:143], v10 offset1:1
	ds_read2_b32 v[158:159], v2 offset1:1
	s_waitcnt lgkmcnt(3)
	v_dot4c_i32_i8_e32 v161, v20, v11
	v_dot4c_i32_i8_e32 v161, v21, v7
	s_waitcnt lgkmcnt(2)
	v_dot4c_i32_i8_e32 v161, v134, v12
	v_dot4c_i32_i8_e32 v161, v135, v8
	s_waitcnt lgkmcnt(1)
	v_dot4c_i32_i8_e32 v161, v142, v13
	ds_read_b128 v[10:13], v109 offset:64
	v_dot4c_i32_i8_e32 v161, v143, v9
	ds_read_b128 v[6:9], v109 offset:80
	v_pk_mul_f16 v160, v3, v163
	v_pk_mul_f16 v163, v3, v19
	ds_read2_b32 v[2:3], v113 offset0:18 offset1:19
	v_mov_b32_e32 v176, 0
	s_waitcnt lgkmcnt(2)
	v_dot4c_i32_i8_e32 v176, v166, v10
	s_waitcnt lgkmcnt(1)
	v_dot4c_i32_i8_e32 v176, v167, v6
	ds_read2_b32 v[18:19], v113 offset0:20 offset1:21
	ds_read2_b32 v[20:21], v113 offset0:22 offset1:23
	ds_read2_b32 v[134:135], v113 offset0:24 offset1:25
	s_waitcnt lgkmcnt(3)
	v_dot4c_i32_i8_e32 v176, v2, v11
	v_add_u32_e32 v2, 0x20c8, v113
	v_dot4c_i32_i8_e32 v176, v3, v7
	ds_read2_b32 v[2:3], v2 offset1:1
	s_waitcnt lgkmcnt(3)
	v_dot4c_i32_i8_e32 v176, v18, v12
	v_dot4c_i32_i8_e32 v176, v19, v8
	v_mov_b32_e32 v166, 0
	s_waitcnt lgkmcnt(2)
	v_dot4c_i32_i8_e32 v176, v20, v13
	v_dot4c_i32_i8_e32 v166, v158, v10
	v_add_u32_e32 v18, 0x20d0, v113
	v_add_u32_e32 v20, 0x20d8, v113
	;; [unrolled: 1-line block ×3, first 2 shown]
	v_dot4c_i32_i8_e32 v176, v21, v9
	v_dot4c_i32_i8_e32 v166, v159, v6
	ds_read2_b32 v[18:19], v18 offset1:1
	ds_read2_b32 v[20:21], v20 offset1:1
	;; [unrolled: 1-line block ×3, first 2 shown]
	s_waitcnt lgkmcnt(3)
	v_dot4c_i32_i8_e32 v166, v2, v11
	v_dot4c_i32_i8_e32 v166, v3, v7
	v_add_u32_e32 v2, 0x4148, v113
	s_waitcnt lgkmcnt(2)
	v_dot4c_i32_i8_e32 v166, v18, v12
	ds_read2_b32 v[2:3], v2 offset1:1
	v_dot4c_i32_i8_e32 v166, v19, v8
	v_mov_b32_e32 v167, 0
	s_waitcnt lgkmcnt(2)
	v_dot4c_i32_i8_e32 v166, v20, v13
	s_waitcnt lgkmcnt(1)
	v_dot4c_i32_i8_e32 v167, v142, v10
	v_add_u32_e32 v18, 0x4150, v113
	v_add_u32_e32 v20, 0x4158, v113
	;; [unrolled: 1-line block ×3, first 2 shown]
	v_dot4c_i32_i8_e32 v166, v21, v9
	v_dot4c_i32_i8_e32 v167, v143, v6
	ds_read2_b32 v[18:19], v18 offset1:1
	ds_read2_b32 v[20:21], v20 offset1:1
	;; [unrolled: 1-line block ×3, first 2 shown]
	s_waitcnt lgkmcnt(3)
	v_dot4c_i32_i8_e32 v167, v2, v11
	v_add_u32_e32 v2, 0x61c8, v113
	v_dot4c_i32_i8_e32 v167, v3, v7
	ds_read2_b32 v[2:3], v2 offset1:1
	v_mov_b32_e32 v177, 0
	s_waitcnt lgkmcnt(3)
	v_dot4c_i32_i8_e32 v167, v18, v12
	s_waitcnt lgkmcnt(1)
	v_dot4c_i32_i8_e32 v177, v142, v10
	v_dot4c_i32_i8_e32 v167, v19, v8
	;; [unrolled: 1-line block ×3, first 2 shown]
	v_add_u32_e32 v6, 0x61d0, v113
	v_dot4c_i32_i8_e32 v167, v20, v13
	v_add_u32_e32 v10, 0x61d8, v113
	v_add_u32_e32 v20, 0x20e0, v113
	ds_read2_b32 v[18:19], v6 offset1:1
	ds_read2_b32 v[142:143], v10 offset1:1
	;; [unrolled: 1-line block ×3, first 2 shown]
	s_waitcnt lgkmcnt(3)
	v_dot4c_i32_i8_e32 v177, v2, v11
	v_dot4c_i32_i8_e32 v177, v3, v7
	s_waitcnt lgkmcnt(2)
	v_dot4c_i32_i8_e32 v177, v18, v12
	v_dot4c_i32_i8_e32 v177, v19, v8
	v_dot4c_i32_i8_e32 v167, v21, v9
	s_waitcnt lgkmcnt(1)
	v_dot4c_i32_i8_e32 v177, v142, v13
	ds_read_b128 v[10:13], v109 offset:96
	ds_read_b128 v[18:21], v109 offset:112
	v_pk_mul_f16 v164, v4, v164
	v_pk_mul_f16 v144, v4, v144
	;; [unrolled: 1-line block ×4, first 2 shown]
	v_mov_b32_e32 v4, 0
	s_waitcnt lgkmcnt(1)
	v_dot4c_i32_i8_e32 v4, v134, v10
	v_add_u32_e32 v2, 0x20e8, v113
	s_waitcnt lgkmcnt(0)
	v_dot4c_i32_i8_e32 v4, v135, v18
	ds_read2_b32 v[2:3], v2 offset1:1
	v_dot4c_i32_i8_e32 v4, v152, v11
	v_dot4c_i32_i8_e32 v4, v153, v19
	v_mov_b32_e32 v153, 0
	v_dot4c_i32_i8_e32 v153, v158, v10
	v_add_u32_e32 v6, 0x20f0, v113
	v_add_u32_e32 v8, 0x20f8, v113
	;; [unrolled: 1-line block ×3, first 2 shown]
	v_dot4c_i32_i8_e32 v177, v143, v9
	v_dot4c_i32_i8_e32 v153, v159, v18
	ds_read2_b32 v[6:7], v6 offset1:1
	ds_read2_b32 v[8:9], v8 offset1:1
	;; [unrolled: 1-line block ×3, first 2 shown]
	s_waitcnt lgkmcnt(3)
	v_dot4c_i32_i8_e32 v153, v2, v11
	v_dot4c_i32_i8_e32 v153, v3, v19
	s_waitcnt lgkmcnt(2)
	v_dot4c_i32_i8_e32 v153, v6, v12
	v_dot4c_i32_i8_e32 v153, v7, v20
	v_cvt_f32_f16_e32 v140, v172
	v_cvt_f32_f16_e32 v141, v173
	s_waitcnt lgkmcnt(1)
	v_dot4c_i32_i8_e32 v153, v8, v13
	v_cvt_f32_f16_sdwa v3, v173 dst_sel:DWORD dst_unused:UNUSED_PAD src0_sel:WORD_1
	v_cvt_f32_f16_sdwa v2, v172 dst_sel:DWORD dst_unused:UNUSED_PAD src0_sel:WORD_1
	v_dot4c_i32_i8_e32 v153, v9, v21
	v_cvt_f32_f16_e32 v7, v170
	v_cvt_f32_f16_e32 v6, v174
	v_cvt_f32_f16_sdwa v9, v170 dst_sel:DWORD dst_unused:UNUSED_PAD src0_sel:WORD_1
	v_cvt_f32_f16_sdwa v8, v174 dst_sel:DWORD dst_unused:UNUSED_PAD src0_sel:WORD_1
	v_cvt_f32_i32_e32 v143, v175
	v_cvt_f32_i32_e32 v142, v169
	v_dot4c_i32_i8_e32 v4, v154, v12
	v_dot4c_i32_i8_e32 v4, v155, v20
	v_dot4c_i32_i8_e32 v4, v156, v13
	v_pk_fma_f32 v[2:3], v[140:141], v[146:147], v[2:3]
	v_dot4c_i32_i8_e32 v4, v157, v21
	v_pk_mul_f16 v152, v5, v165
	v_pk_mul_f16 v145, v5, v145
	v_pk_add_f32 v[2:3], v[124:125], v[2:3]
	v_pk_fma_f32 v[6:7], v[6:7], v[142:143], v[8:9]
	v_cvt_f32_f16_e32 v9, v144
	v_cvt_f32_f16_e32 v8, v164
	v_cvt_f32_f16_sdwa v125, v144 dst_sel:DWORD dst_unused:UNUSED_PAD src0_sel:WORD_1
	v_cvt_f32_f16_sdwa v124, v164 dst_sel:DWORD dst_unused:UNUSED_PAD src0_sel:WORD_1
	v_cvt_f32_i32_e32 v141, v166
	v_cvt_f32_i32_e32 v140, v176
	v_cvt_f32_f16_e32 v143, v145
	v_cvt_f32_f16_e32 v142, v152
	v_cvt_f32_f16_sdwa v145, v145 dst_sel:DWORD dst_unused:UNUSED_PAD src0_sel:WORD_1
	v_cvt_f32_f16_sdwa v144, v152 dst_sel:DWORD dst_unused:UNUSED_PAD src0_sel:WORD_1
	v_cvt_f32_i32_e32 v147, v153
	v_cvt_f32_i32_e32 v146, v4
	v_pk_add_f32 v[2:3], v[2:3], v[6:7]
	v_pk_fma_f32 v[6:7], v[8:9], v[140:141], v[124:125]
	v_pk_add_f32 v[2:3], v[2:3], v[6:7]
	v_pk_fma_f32 v[6:7], v[142:143], v[146:147], v[144:145]
	v_pk_add_f32 v[124:125], v[2:3], v[6:7]
	v_add_u32_e32 v2, 0x4168, v113
	ds_read2_b32 v[2:3], v2 offset1:1
	v_mov_b32_e32 v140, 0
	s_waitcnt lgkmcnt(1)
	v_dot4c_i32_i8_e32 v140, v134, v10
	v_add_u32_e32 v4, 0x4170, v113
	v_add_u32_e32 v8, 0x4178, v113
	v_add_u32_e32 v134, 0x61e0, v113
	v_dot4c_i32_i8_e32 v140, v135, v18
	ds_read2_b32 v[6:7], v4 offset1:1
	ds_read2_b32 v[8:9], v8 offset1:1
	ds_read2_b32 v[134:135], v134 offset1:1
	s_waitcnt lgkmcnt(3)
	v_dot4c_i32_i8_e32 v140, v2, v11
	v_add_u32_e32 v2, 0x61e8, v113
	v_dot4c_i32_i8_e32 v140, v3, v19
	ds_read2_b32 v[2:3], v2 offset1:1
	s_waitcnt lgkmcnt(3)
	v_dot4c_i32_i8_e32 v140, v6, v12
	v_add_u32_e32 v4, 0x61f0, v113
	v_dot4c_i32_i8_e32 v140, v7, v20
	ds_read2_b32 v[6:7], v4 offset1:1
	v_mov_b32_e32 v141, 0
	s_waitcnt lgkmcnt(3)
	v_dot4c_i32_i8_e32 v140, v8, v13
	s_waitcnt lgkmcnt(2)
	v_dot4c_i32_i8_e32 v141, v134, v10
	v_add_u32_e32 v4, 0x61f8, v113
	v_dot4c_i32_i8_e32 v140, v9, v21
	v_dot4c_i32_i8_e32 v141, v135, v18
	ds_read2_b32 v[8:9], v4 offset1:1
	s_waitcnt lgkmcnt(2)
	v_dot4c_i32_i8_e32 v141, v2, v11
	v_dot4c_i32_i8_e32 v141, v3, v19
	s_waitcnt lgkmcnt(1)
	v_dot4c_i32_i8_e32 v141, v6, v12
	v_dot4c_i32_i8_e32 v141, v7, v20
	;; [unrolled: 3-line block ×3, first 2 shown]
	v_cvt_f32_f16_e32 v7, v163
	v_cvt_f32_f16_e32 v6, v160
	v_cvt_f32_f16_sdwa v9, v163 dst_sel:DWORD dst_unused:UNUSED_PAD src0_sel:WORD_1
	v_cvt_f32_f16_sdwa v8, v160 dst_sel:DWORD dst_unused:UNUSED_PAD src0_sel:WORD_1
	v_cvt_f32_i32_e32 v11, v161
	v_cvt_f32_i32_e32 v10, v171
	v_cvt_f32_f16_e32 v138, v162
	v_cvt_f32_f16_e32 v139, v168
	v_cvt_f32_f16_sdwa v3, v168 dst_sel:DWORD dst_unused:UNUSED_PAD src0_sel:WORD_1
	v_cvt_f32_f16_sdwa v2, v162 dst_sel:DWORD dst_unused:UNUSED_PAD src0_sel:WORD_1
	v_pk_mul_f16 v17, v5, v17
	v_pk_mul_f16 v18, v5, v137
	v_pk_fma_f32 v[4:5], v[6:7], v[10:11], v[8:9]
	v_cvt_f32_f16_e32 v7, v136
	v_cvt_f32_f16_e32 v6, v16
	v_cvt_f32_f16_sdwa v9, v136 dst_sel:DWORD dst_unused:UNUSED_PAD src0_sel:WORD_1
	v_cvt_f32_f16_sdwa v8, v16 dst_sel:DWORD dst_unused:UNUSED_PAD src0_sel:WORD_1
	v_cvt_f32_i32_e32 v11, v177
	v_cvt_f32_i32_e32 v10, v167
	v_pk_fma_f32 v[2:3], v[138:139], v[14:15], v[2:3]
	v_cvt_f32_f16_e32 v13, v18
	v_cvt_f32_f16_e32 v12, v17
	v_cvt_f32_f16_sdwa v15, v18 dst_sel:DWORD dst_unused:UNUSED_PAD src0_sel:WORD_1
	v_cvt_f32_f16_sdwa v14, v17 dst_sel:DWORD dst_unused:UNUSED_PAD src0_sel:WORD_1
	v_cvt_f32_i32_e32 v17, v141
	v_cvt_f32_i32_e32 v16, v140
	v_pk_add_f32 v[2:3], v[128:129], v[2:3]
	v_pk_add_f32 v[2:3], v[2:3], v[4:5]
	v_pk_fma_f32 v[4:5], v[6:7], v[10:11], v[8:9]
	v_pk_add_f32 v[2:3], v[2:3], v[4:5]
	v_pk_fma_f32 v[4:5], v[12:13], v[16:17], v[14:15]
	v_pk_add_f32 v[128:129], v[2:3], v[4:5]
	s_cmp_ge_i32 s20, s9
	s_barrier
	s_cbranch_scc1 .LBB184_5
; %bb.13:                               ;   in Loop: Header=BB184_6 Depth=1
	v_add_u32_e32 v2, s10, v123
	v_cmp_gt_i32_e32 vcc, s12, v2
	s_and_b64 s[22:23], s[2:3], vcc
	s_and_saveexec_b64 s[4:5], s[22:23]
	s_cbranch_execz .LBB184_15
; %bb.14:                               ;   in Loop: Header=BB184_6 Depth=1
	v_add_u32_e32 v2, s10, v131
	v_mad_i64_i32 v[2:3], s[22:23], v2, 36, v[54:55]
	global_load_dword v2, v[2:3], off offset:4
	s_waitcnt vmcnt(0)
	ds_write_b32 v105, v2
.LBB184_15:                             ;   in Loop: Header=BB184_6 Depth=1
	s_or_b64 exec, exec, s[4:5]
	s_and_saveexec_b64 s[4:5], s[0:1]
	s_cbranch_execz .LBB184_4
; %bb.16:                               ;   in Loop: Header=BB184_6 Depth=1
	v_add3_u32 v2, v99, s10, 4
	v_cmp_gt_i32_e32 vcc, s12, v2
	s_and_b64 s[22:23], s[2:3], vcc
	s_and_b64 exec, exec, s[22:23]
	s_cbranch_execz .LBB184_4
; %bb.17:                               ;   in Loop: Header=BB184_6 Depth=1
	global_load_dword v2, v[56:57], off
	s_waitcnt vmcnt(0)
	ds_write_b32 v107, v2
	s_branch .LBB184_4
.LBB184_18:
	v_mov_b32_e32 v128, v129
	v_mov_b32_e32 v125, v129
	;; [unrolled: 1-line block ×3, first 2 shown]
.LBB184_19:
	s_mul_i32 s0, s14, s11
	s_waitcnt vmcnt(0)
	v_cmp_gt_i32_e32 vcc, s0, v97
	s_and_saveexec_b64 s[0:1], vcc
	s_cbranch_execz .LBB184_28
; %bb.20:
	v_and_b32_e32 v0, 0x3ff, v0
	v_add_u32_e32 v1, s15, v0
	v_mul_lo_u32 v0, v97, s13
	v_cmp_gt_u32_e32 vcc, s13, v1
	s_and_saveexec_b64 s[0:1], vcc
	s_cbranch_execz .LBB184_22
; %bb.21:
	v_add_u32_e32 v2, v0, v1
	v_mov_b32_e32 v3, 0
	v_lshlrev_b64 v[2:3], 2, v[2:3]
	v_mov_b32_e32 v4, s17
	v_add_co_u32_e32 v2, vcc, s16, v2
	v_addc_co_u32_e32 v3, vcc, v4, v3, vcc
	global_store_dword v[2:3], v124, off
.LBB184_22:
	s_or_b64 exec, exec, s[0:1]
	v_add_u32_e32 v2, 32, v1
	v_cmp_gt_u32_e32 vcc, s13, v2
	s_and_saveexec_b64 s[0:1], vcc
	s_cbranch_execz .LBB184_24
; %bb.23:
	v_add_u32_e32 v2, v0, v2
	v_mov_b32_e32 v3, 0
	v_lshlrev_b64 v[2:3], 2, v[2:3]
	v_mov_b32_e32 v4, s17
	v_add_co_u32_e32 v2, vcc, s16, v2
	v_addc_co_u32_e32 v3, vcc, v4, v3, vcc
	global_store_dword v[2:3], v125, off
.LBB184_24:
	s_or_b64 exec, exec, s[0:1]
	v_add_u32_e32 v2, 64, v1
	;; [unrolled: 14-line block ×3, first 2 shown]
	v_cmp_gt_u32_e32 vcc, s13, v1
	s_and_b64 exec, exec, vcc
	s_cbranch_execz .LBB184_28
; %bb.27:
	v_add_u32_e32 v0, v0, v1
	v_mov_b32_e32 v1, 0
	v_lshlrev_b64 v[0:1], 2, v[0:1]
	v_mov_b32_e32 v2, s17
	v_add_co_u32_e32 v0, vcc, s16, v0
	v_addc_co_u32_e32 v1, vcc, v2, v1, vcc
	global_store_dword v[0:1], v129, off
.LBB184_28:
	s_endpgm
	.section	.rodata,"a",@progbits
	.p2align	6, 0x0
	.amdhsa_kernel _ZL8moe_q5_1IfLb1EEvPKvS1_PT_PKiS5_S5_iiiiiii
		.amdhsa_group_segment_fixed_size 38656
		.amdhsa_private_segment_fixed_size 0
		.amdhsa_kernarg_size 76
		.amdhsa_user_sgpr_count 6
		.amdhsa_user_sgpr_private_segment_buffer 1
		.amdhsa_user_sgpr_dispatch_ptr 0
		.amdhsa_user_sgpr_queue_ptr 0
		.amdhsa_user_sgpr_kernarg_segment_ptr 1
		.amdhsa_user_sgpr_dispatch_id 0
		.amdhsa_user_sgpr_flat_scratch_init 0
		.amdhsa_user_sgpr_kernarg_preload_length 0
		.amdhsa_user_sgpr_kernarg_preload_offset 0
		.amdhsa_user_sgpr_private_segment_size 0
		.amdhsa_uses_dynamic_stack 0
		.amdhsa_system_sgpr_private_segment_wavefront_offset 0
		.amdhsa_system_sgpr_workgroup_id_x 1
		.amdhsa_system_sgpr_workgroup_id_y 1
		.amdhsa_system_sgpr_workgroup_id_z 0
		.amdhsa_system_sgpr_workgroup_info 0
		.amdhsa_system_vgpr_workitem_id 1
		.amdhsa_next_free_vgpr 178
		.amdhsa_next_free_sgpr 24
		.amdhsa_accum_offset 180
		.amdhsa_reserve_vcc 1
		.amdhsa_reserve_flat_scratch 0
		.amdhsa_float_round_mode_32 0
		.amdhsa_float_round_mode_16_64 0
		.amdhsa_float_denorm_mode_32 3
		.amdhsa_float_denorm_mode_16_64 3
		.amdhsa_dx10_clamp 1
		.amdhsa_ieee_mode 1
		.amdhsa_fp16_overflow 0
		.amdhsa_tg_split 0
		.amdhsa_exception_fp_ieee_invalid_op 0
		.amdhsa_exception_fp_denorm_src 0
		.amdhsa_exception_fp_ieee_div_zero 0
		.amdhsa_exception_fp_ieee_overflow 0
		.amdhsa_exception_fp_ieee_underflow 0
		.amdhsa_exception_fp_ieee_inexact 0
		.amdhsa_exception_int_div_zero 0
	.end_amdhsa_kernel
	.section	.text._ZL8moe_q5_1IfLb1EEvPKvS1_PT_PKiS5_S5_iiiiiii,"axG",@progbits,_ZL8moe_q5_1IfLb1EEvPKvS1_PT_PKiS5_S5_iiiiiii,comdat
.Lfunc_end184:
	.size	_ZL8moe_q5_1IfLb1EEvPKvS1_PT_PKiS5_S5_iiiiiii, .Lfunc_end184-_ZL8moe_q5_1IfLb1EEvPKvS1_PT_PKiS5_S5_iiiiiii
                                        ; -- End function
	.section	.AMDGPU.csdata,"",@progbits
; Kernel info:
; codeLenInByte = 11000
; NumSgprs: 28
; NumVgprs: 178
; NumAgprs: 0
; TotalNumVgprs: 178
; ScratchSize: 0
; MemoryBound: 0
; FloatMode: 240
; IeeeMode: 1
; LDSByteSize: 38656 bytes/workgroup (compile time only)
; SGPRBlocks: 3
; VGPRBlocks: 22
; NumSGPRsForWavesPerEU: 28
; NumVGPRsForWavesPerEU: 178
; AccumOffset: 180
; Occupancy: 1
; WaveLimiterHint : 1
; COMPUTE_PGM_RSRC2:SCRATCH_EN: 0
; COMPUTE_PGM_RSRC2:USER_SGPR: 6
; COMPUTE_PGM_RSRC2:TRAP_HANDLER: 0
; COMPUTE_PGM_RSRC2:TGID_X_EN: 1
; COMPUTE_PGM_RSRC2:TGID_Y_EN: 1
; COMPUTE_PGM_RSRC2:TGID_Z_EN: 0
; COMPUTE_PGM_RSRC2:TIDIG_COMP_CNT: 1
; COMPUTE_PGM_RSRC3_GFX90A:ACCUM_OFFSET: 44
; COMPUTE_PGM_RSRC3_GFX90A:TG_SPLIT: 0
	.section	.text._ZL8moe_q8_0IfLb0EEvPKvS1_PT_PKiS5_S5_iiiiiii,"axG",@progbits,_ZL8moe_q8_0IfLb0EEvPKvS1_PT_PKiS5_S5_iiiiiii,comdat
	.globl	_ZL8moe_q8_0IfLb0EEvPKvS1_PT_PKiS5_S5_iiiiiii ; -- Begin function _ZL8moe_q8_0IfLb0EEvPKvS1_PT_PKiS5_S5_iiiiiii
	.p2align	8
	.type	_ZL8moe_q8_0IfLb0EEvPKvS1_PT_PKiS5_S5_iiiiiii,@function
_ZL8moe_q8_0IfLb0EEvPKvS1_PT_PKiS5_S5_iiiiiii: ; @_ZL8moe_q8_0IfLb0EEvPKvS1_PT_PKiS5_S5_iiiiiii
; %bb.0:
	s_load_dwordx4 s[0:3], s[4:5], 0x18
	s_mov_b32 s8, s7
	s_mov_b32 s9, 0
	s_lshl_b64 s[10:11], s[8:9], 2
	s_waitcnt lgkmcnt(0)
	s_add_u32 s2, s2, s10
	s_addc_u32 s3, s3, s11
	s_load_dword s2, s[2:3], 0x0
	s_waitcnt lgkmcnt(0)
	s_cmpk_gt_u32 s2, 0xff
	s_cbranch_scc1 .LBB185_21
; %bb.1:
	s_load_dwordx2 s[10:11], s[4:5], 0x28
	s_lshl_b32 s3, s8, 3
	s_waitcnt lgkmcnt(0)
	s_load_dword s7, s[10:11], 0x0
	s_waitcnt lgkmcnt(0)
	s_cmp_gt_u32 s3, s7
	s_cbranch_scc1 .LBB185_21
; %bb.2:
	v_bfe_u32 v1, v0, 10, 10
	v_add_u32_e32 v42, s3, v1
	v_mov_b32_e32 v43, 0
	v_lshlrev_b64 v[2:3], 2, v[42:43]
	v_mov_b32_e32 v4, s1
	v_add_co_u32_e32 v2, vcc, s0, v2
	v_addc_co_u32_e32 v3, vcc, v4, v3, vcc
	global_load_dword v63, v[2:3], off
	s_load_dwordx2 s[14:15], s[4:5], 0x30
	s_load_dwordx2 s[12:13], s[4:5], 0x10
	s_load_dwordx4 s[8:11], s[4:5], 0x3c
	s_lshl_b32 s16, s6, 7
	s_mov_b32 s17, 0
	s_waitcnt lgkmcnt(0)
	s_cmp_lt_i32 s15, 32
	s_cbranch_scc1 .LBB185_11
; %bb.3:
	s_ashr_i32 s0, s15, 31
	s_lshr_b32 s0, s0, 27
	s_add_i32 s0, s15, s0
	s_ashr_i32 s18, s0, 5
	s_ashr_i32 s0, s9, 31
	s_lshr_b32 s0, s0, 27
	s_add_i32 s0, s9, s0
	v_and_b32_e32 v66, 0x3ff, v0
	s_ashr_i32 s9, s0, 5
	v_lshlrev_b32_e32 v2, 2, v66
	s_movk_i32 s0, 0x84
	v_and_b32_e32 v6, 28, v2
	v_mad_u32_u24 v68, v1, s0, v2
	v_lshlrev_b32_e32 v2, 3, v1
	v_lshrrev_b32_e32 v3, 2, v66
	v_add_u32_e32 v5, v3, v2
	v_add_u16_e32 v2, v3, v2
	s_load_dwordx4 s[4:7], s[4:5], 0x0
	v_and_b32_e32 v42, 3, v66
	v_lshrrev_b16_e32 v2, 1, v2
	s_mul_i32 s14, s2, s14
	v_and_b32_e32 v2, 0x1ffc, v2
	v_lshlrev_b32_e32 v3, 2, v42
	s_movk_i32 s2, 0x4200
	v_add3_u32 v51, v2, v3, s2
	v_add_u32_e32 v2, 64, v5
	v_mul_lo_u32 v43, s18, v5
	v_lshlrev_b32_e32 v64, 4, v5
	v_lshrrev_b32_e32 v5, 1, v2
	v_and_b32_e32 v5, 0x3ffc, v5
	v_lshlrev_b32_e32 v95, 4, v2
	v_and_b32_e32 v2, 31, v66
	v_lshlrev_b32_e32 v84, 7, v1
	v_add3_u32 v65, v5, v3, s2
	s_waitcnt lgkmcnt(0)
	v_mov_b32_e32 v3, s7
	v_add_co_u32_e32 v22, vcc, s6, v6
	v_lshl_or_b32 v2, v2, 2, v84
	v_lshrrev_b32_e32 v67, 3, v66
	v_addc_co_u32_e32 v23, vcc, 0, v3, vcc
	v_add_u32_e32 v85, 0x4a40, v2
	v_lshl_add_u32 v2, v1, 2, v66
	v_mov_b32_e32 v3, 0x4e40
	v_mul_lo_u32 v4, s18, v1
	v_lshl_add_u32 v86, v2, 2, v3
	v_lshlrev_b32_e32 v87, 4, v1
	v_lshlrev_b32_e32 v1, 2, v67
	;; [unrolled: 1-line block ×3, first 2 shown]
	v_add3_u32 v89, v2, v1, s2
	v_add_u32_e32 v1, 32, v66
	v_lshrrev_b32_e32 v2, 1, v1
	v_and_b32_e32 v2, 0xfc, v2
	v_lshlrev_b32_e32 v1, 4, v1
	v_add3_u32 v90, v1, v2, s2
	v_add_u32_e32 v1, 64, v66
	v_lshrrev_b32_e32 v2, 1, v1
	v_and_b32_e32 v2, 0xfc, v2
	v_lshlrev_b32_e32 v1, 4, v1
	s_abs_i32 s3, s11
	v_add3_u32 v91, v1, v2, s2
	v_cvt_f32_u32_e32 v2, s3
	v_add_u32_e32 v1, 0x60, v66
	v_lshrrev_b32_e32 v3, 1, v1
	v_and_b32_e32 v3, 0xfc, v3
	v_rcp_iflag_f32_e32 v2, v2
	v_lshlrev_b32_e32 v1, 4, v1
	v_add3_u32 v92, v1, v3, s2
	s_sub_i32 s2, 0, s3
	v_mul_f32_e32 v2, 0x4f7ffffe, v2
	v_cvt_u32_f32_e32 v2, v2
	s_waitcnt vmcnt(0)
	v_sub_u32_e32 v3, 0, v63
	v_max_i32_e32 v3, v63, v3
	v_xor_b32_e32 v1, s11, v63
	v_mul_lo_u32 v5, s2, v2
	v_mul_hi_u32 v5, v2, v5
	v_add_u32_e32 v2, v2, v5
	v_mul_hi_u32 v2, v3, v2
	v_mul_lo_u32 v5, v2, s3
	v_sub_u32_e32 v3, v3, v5
	v_add_u32_e32 v5, 1, v2
	v_cmp_le_u32_e32 vcc, s3, v3
	v_cndmask_b32_e32 v2, v2, v5, vcc
	v_subrev_u32_e32 v5, s3, v3
	v_cndmask_b32_e32 v3, v3, v5, vcc
	v_add_u32_e32 v5, 1, v2
	v_cmp_le_u32_e32 vcc, s3, v3
	s_mul_i32 s20, s18, s16
	v_ashrrev_i32_e32 v1, 31, v1
	v_cndmask_b32_e32 v2, v2, v5, vcc
	v_xor_b32_e32 v2, v2, v1
	s_mul_hi_i32 s21, s20, 34
	s_mul_i32 s22, s20, 34
	v_sub_u32_e32 v1, v2, v1
	v_mov_b32_e32 v2, s22
	v_mov_b32_e32 v3, s21
	s_lshl_b32 s0, s18, 3
	v_mad_u64_u32 v[2:3], s[22:23], v67, 34, v[2:3]
	v_add_u32_e32 v7, s0, v4
	v_mad_u64_u32 v[4:5], s[22:23], v4, 34, v[2:3]
	v_cmp_gt_i32_e64 s[2:3], s8, v1
	v_mul_lo_u32 v93, v1, s9
	v_add_co_u32_e32 v1, vcc, v4, v6
	v_addc_co_u32_e32 v4, vcc, 0, v5, vcc
	v_mov_b32_e32 v57, s5
	v_add_co_u32_e32 v1, vcc, s4, v1
	v_addc_co_u32_e32 v4, vcc, v4, v57, vcc
	v_add_co_u32_e32 v24, vcc, 2, v1
	v_addc_co_u32_e32 v1, vcc, 0, v4, vcc
	v_mad_u64_u32 v[4:5], s[22:23], v7, 34, v[2:3]
	v_add_co_u32_e32 v4, vcc, v4, v6
	v_addc_co_u32_e32 v5, vcc, 0, v5, vcc
	v_add_co_u32_e32 v4, vcc, s4, v4
	v_addc_co_u32_e32 v5, vcc, v5, v57, vcc
	v_add_u32_e32 v8, s0, v7
	v_add_co_u32_e32 v26, vcc, 2, v4
	v_addc_co_u32_e32 v25, vcc, 0, v5, vcc
	v_mad_u64_u32 v[4:5], s[22:23], v8, 34, v[2:3]
	v_add_co_u32_e32 v4, vcc, v4, v6
	v_addc_co_u32_e32 v5, vcc, 0, v5, vcc
	v_add_co_u32_e32 v4, vcc, s4, v4
	v_addc_co_u32_e32 v5, vcc, v5, v57, vcc
	v_add_u32_e32 v9, s0, v8
	;; [unrolled: 8-line block ×14, first 2 shown]
	v_add_co_u32_e32 v56, vcc, 2, v4
	v_addc_co_u32_e32 v55, vcc, 0, v5, vcc
	v_mad_u64_u32 v[2:3], s[22:23], v21, 34, v[2:3]
	v_add_co_u32_e32 v2, vcc, v2, v6
	v_addc_co_u32_e32 v3, vcc, 0, v3, vcc
	v_add_co_u32_e32 v2, vcc, s4, v2
	v_addc_co_u32_e32 v3, vcc, v3, v57, vcc
	;; [unrolled: 2-line block ×3, first 2 shown]
	v_mad_u64_u32 v[2:3], s[22:23], v43, 34, 0
	v_mad_i64_i32 v[2:3], s[22:23], s20, 34, v[2:3]
	v_mad_u64_u32 v[2:3], s[22:23], v42, 34, v[2:3]
	v_lshl_add_u32 v50, s18, 6, v43
	v_mov_b32_e32 v4, s5
	v_add_co_u32_e32 v60, vcc, s4, v2
	v_addc_co_u32_e32 v59, vcc, v4, v3, vcc
	v_mad_u64_u32 v[2:3], s[22:23], v50, 34, 0
	v_mad_i64_i32 v[2:3], s[20:21], s20, 34, v[2:3]
	v_mad_u64_u32 v[2:3], s[20:21], v42, 34, v[2:3]
	v_add_co_u32_e32 v62, vcc, s4, v2
	v_mov_b32_e32 v50, 0
	s_ashr_i32 s19, s14, 31
	v_add_u32_e32 v69, 0x420, v68
	v_add_u32_e32 v70, 0x840, v68
	;; [unrolled: 1-line block ×15, first 2 shown]
	v_cmp_gt_u32_e64 s[0:1], 4, v66
	v_mul_u32_u24_e32 v88, 0x84, v66
	v_addc_co_u32_e32 v61, vcc, v4, v3, vcc
	v_add_u32_e32 v94, v51, v64
	v_add_u32_e32 v95, v65, v95
	s_mov_b32 s20, 0
	v_mov_b32_e32 v51, v50
	v_mov_b32_e32 v42, v50
	;; [unrolled: 1-line block ×3, first 2 shown]
	s_branch .LBB185_6
.LBB185_4:                              ;   in Loop: Header=BB185_6 Depth=1
	s_or_b64 exec, exec, s[4:5]
	s_waitcnt lgkmcnt(0)
	s_barrier
	ds_read_b128 v[2:5], v87 offset:20032
	ds_read2_b32 v[64:65], v88 offset1:1
	ds_read_b128 v[18:21], v84 offset:19008
	ds_read_b128 v[14:17], v84 offset:19024
	;; [unrolled: 1-line block ×4, first 2 shown]
	ds_read2_b32 v[98:99], v88 offset0:2 offset1:3
	v_mov_b32_e32 v96, 0
	s_waitcnt lgkmcnt(4)
	v_dot4c_i32_i8_e32 v96, v64, v18
	v_dot4c_i32_i8_e32 v96, v65, v19
	ds_read2_b32 v[64:65], v88 offset0:4 offset1:5
	ds_read2_b32 v[100:101], v88 offset0:6 offset1:7
	;; [unrolled: 1-line block ×3, first 2 shown]
	s_waitcnt lgkmcnt(3)
	v_dot4c_i32_i8_e32 v96, v98, v20
	v_dot4c_i32_i8_e32 v96, v99, v21
	s_waitcnt lgkmcnt(2)
	v_dot4c_i32_i8_e32 v96, v64, v14
	v_add_u32_e32 v64, 0x1080, v88
	ds_read2_b32 v[98:99], v64 offset1:1
	v_mov_b32_e32 v97, 0
	v_dot4c_i32_i8_e32 v96, v65, v15
	ds_read2_b32 v[64:65], v92 offset0:2 offset1:3
	s_waitcnt lgkmcnt(3)
	v_dot4c_i32_i8_e32 v96, v100, v16
	s_waitcnt lgkmcnt(1)
	v_dot4c_i32_i8_e32 v97, v98, v18
	v_add_u32_e32 v98, 0x1088, v88
	v_dot4c_i32_i8_e32 v97, v99, v19
	ds_read2_b32 v[98:99], v98 offset1:1
	v_add_u32_e32 v100, 0x1090, v88
	v_add_u32_e32 v104, 0x1098, v88
	;; [unrolled: 1-line block ×3, first 2 shown]
	v_dot4c_i32_i8_e32 v96, v101, v17
	ds_read2_b32 v[100:101], v100 offset1:1
	ds_read2_b32 v[104:105], v104 offset1:1
	;; [unrolled: 1-line block ×3, first 2 shown]
	s_waitcnt lgkmcnt(3)
	v_dot4c_i32_i8_e32 v97, v98, v20
	v_dot4c_i32_i8_e32 v97, v99, v21
	s_waitcnt lgkmcnt(2)
	v_dot4c_i32_i8_e32 v97, v100, v14
	v_dot4c_i32_i8_e32 v97, v101, v15
	v_mov_b32_e32 v112, 0
	s_waitcnt lgkmcnt(1)
	v_dot4c_i32_i8_e32 v97, v104, v16
	s_waitcnt lgkmcnt(0)
	v_dot4c_i32_i8_e32 v112, v106, v18
	v_add_u32_e32 v98, 0x2108, v88
	v_add_u32_e32 v100, 0x2110, v88
	;; [unrolled: 1-line block ×4, first 2 shown]
	v_dot4c_i32_i8_e32 v97, v105, v17
	v_dot4c_i32_i8_e32 v112, v107, v19
	ds_read2_b32 v[98:99], v98 offset1:1
	ds_read2_b32 v[100:101], v100 offset1:1
	;; [unrolled: 1-line block ×4, first 2 shown]
	v_mov_b32_e32 v113, 0
	v_mov_b32_e32 v114, 0
	v_dot4c_i32_i8_e32 v114, v102, v10
	s_waitcnt lgkmcnt(3)
	v_dot4c_i32_i8_e32 v112, v98, v20
	s_waitcnt lgkmcnt(0)
	v_dot4c_i32_i8_e32 v113, v106, v18
	v_add_u32_e32 v18, 0x3188, v88
	v_dot4c_i32_i8_e32 v112, v99, v21
	v_dot4c_i32_i8_e32 v113, v107, v19
	ds_read2_b32 v[18:19], v18 offset1:1
	v_dot4c_i32_i8_e32 v112, v100, v14
	v_dot4c_i32_i8_e32 v112, v101, v15
	v_dot4c_i32_i8_e32 v112, v104, v16
	v_add_u32_e32 v98, 0x3190, v88
	v_add_u32_e32 v100, 0x3198, v88
	;; [unrolled: 1-line block ×3, first 2 shown]
	v_dot4c_i32_i8_e32 v112, v105, v17
	ds_read2_b32 v[98:99], v98 offset1:1
	ds_read2_b32 v[100:101], v100 offset1:1
	;; [unrolled: 1-line block ×3, first 2 shown]
	s_waitcnt lgkmcnt(3)
	v_dot4c_i32_i8_e32 v113, v18, v20
	v_dot4c_i32_i8_e32 v113, v19, v21
	s_waitcnt lgkmcnt(2)
	v_dot4c_i32_i8_e32 v113, v98, v14
	v_dot4c_i32_i8_e32 v113, v99, v15
	ds_read2_b32 v[14:15], v88 offset0:10 offset1:11
	s_waitcnt lgkmcnt(2)
	v_dot4c_i32_i8_e32 v113, v100, v16
	v_dot4c_i32_i8_e32 v113, v101, v17
	v_dot4c_i32_i8_e32 v114, v103, v11
	ds_read2_b32 v[16:17], v88 offset0:12 offset1:13
	ds_read2_b32 v[18:19], v88 offset0:14 offset1:15
	;; [unrolled: 1-line block ×3, first 2 shown]
	s_waitcnt lgkmcnt(3)
	v_dot4c_i32_i8_e32 v114, v14, v12
	v_add_u32_e32 v14, 0x10a8, v88
	v_dot4c_i32_i8_e32 v114, v15, v13
	ds_read2_b32 v[14:15], v14 offset1:1
	s_waitcnt lgkmcnt(3)
	v_dot4c_i32_i8_e32 v114, v16, v6
	v_dot4c_i32_i8_e32 v114, v17, v7
	v_mov_b32_e32 v115, 0
	s_waitcnt lgkmcnt(2)
	v_dot4c_i32_i8_e32 v114, v18, v8
	v_dot4c_i32_i8_e32 v115, v104, v10
	v_add_u32_e32 v16, 0x10b0, v88
	v_add_u32_e32 v18, 0x10b8, v88
	;; [unrolled: 1-line block ×3, first 2 shown]
	v_dot4c_i32_i8_e32 v114, v19, v9
	v_dot4c_i32_i8_e32 v115, v105, v11
	ds_read2_b32 v[16:17], v16 offset1:1
	ds_read2_b32 v[18:19], v18 offset1:1
	;; [unrolled: 1-line block ×3, first 2 shown]
	s_waitcnt lgkmcnt(3)
	v_dot4c_i32_i8_e32 v115, v14, v12
	v_dot4c_i32_i8_e32 v115, v15, v13
	s_waitcnt lgkmcnt(2)
	v_dot4c_i32_i8_e32 v115, v16, v6
	v_dot4c_i32_i8_e32 v115, v17, v7
	v_mov_b32_e32 v116, 0
	s_waitcnt lgkmcnt(1)
	v_dot4c_i32_i8_e32 v115, v18, v8
	s_waitcnt lgkmcnt(0)
	v_dot4c_i32_i8_e32 v116, v98, v10
	v_add_u32_e32 v14, 0x2128, v88
	v_add_u32_e32 v16, 0x2130, v88
	;; [unrolled: 1-line block ×4, first 2 shown]
	v_dot4c_i32_i8_e32 v115, v19, v9
	v_dot4c_i32_i8_e32 v116, v99, v11
	ds_read2_b32 v[14:15], v14 offset1:1
	ds_read2_b32 v[16:17], v16 offset1:1
	;; [unrolled: 1-line block ×4, first 2 shown]
	v_mov_b32_e32 v117, 0
	v_mov_b32_e32 v118, 0
	;; [unrolled: 1-line block ×3, first 2 shown]
	s_waitcnt lgkmcnt(3)
	v_dot4c_i32_i8_e32 v116, v14, v12
	s_waitcnt lgkmcnt(0)
	v_dot4c_i32_i8_e32 v117, v98, v10
	v_add_u32_e32 v10, 0x31a8, v88
	v_dot4c_i32_i8_e32 v116, v15, v13
	v_dot4c_i32_i8_e32 v117, v99, v11
	ds_read2_b32 v[10:11], v10 offset1:1
	v_dot4c_i32_i8_e32 v116, v16, v6
	v_dot4c_i32_i8_e32 v116, v17, v7
	;; [unrolled: 1-line block ×3, first 2 shown]
	v_add_u32_e32 v14, 0x31b0, v88
	v_add_u32_e32 v16, 0x31b8, v88
	;; [unrolled: 1-line block ×3, first 2 shown]
	v_dot4c_i32_i8_e32 v116, v19, v9
	ds_read2_b32 v[14:15], v14 offset1:1
	ds_read2_b32 v[16:17], v16 offset1:1
	;; [unrolled: 1-line block ×3, first 2 shown]
	s_waitcnt lgkmcnt(3)
	v_dot4c_i32_i8_e32 v117, v10, v12
	v_dot4c_i32_i8_e32 v117, v11, v13
	s_waitcnt lgkmcnt(2)
	v_dot4c_i32_i8_e32 v117, v14, v6
	v_dot4c_i32_i8_e32 v117, v15, v7
	;; [unrolled: 3-line block ×3, first 2 shown]
	ds_read_b128 v[8:11], v84 offset:19072
	ds_read_b128 v[12:15], v84 offset:19088
	ds_read2_b32 v[6:7], v91 offset1:1
	ds_read2_b32 v[16:17], v90 offset0:2 offset1:3
	ds_read2_b32 v[98:99], v90 offset1:1
	ds_read2_b32 v[100:101], v89 offset0:2 offset1:3
	ds_read2_b32 v[102:103], v88 offset0:18 offset1:19
	s_waitcnt lgkmcnt(6)
	v_dot4c_i32_i8_e32 v118, v20, v8
	v_dot4c_i32_i8_e32 v118, v21, v9
	ds_read2_b32 v[20:21], v88 offset0:20 offset1:21
	ds_read2_b32 v[104:105], v88 offset0:22 offset1:23
	;; [unrolled: 1-line block ×3, first 2 shown]
	v_dot4c_i32_i8_e32 v119, v18, v8
	s_waitcnt lgkmcnt(3)
	v_dot4c_i32_i8_e32 v118, v102, v10
	v_add_u32_e32 v18, 0x10c8, v88
	v_dot4c_i32_i8_e32 v118, v103, v11
	v_dot4c_i32_i8_e32 v119, v19, v9
	ds_read2_b32 v[18:19], v18 offset1:1
	s_waitcnt lgkmcnt(3)
	v_dot4c_i32_i8_e32 v118, v20, v12
	v_dot4c_i32_i8_e32 v118, v21, v13
	s_waitcnt lgkmcnt(2)
	v_dot4c_i32_i8_e32 v118, v104, v14
	v_add_u32_e32 v20, 0x10d0, v88
	v_add_u32_e32 v102, 0x10d8, v88
	;; [unrolled: 1-line block ×3, first 2 shown]
	v_dot4c_i32_i8_e32 v118, v105, v15
	ds_read2_b32 v[20:21], v20 offset1:1
	ds_read2_b32 v[102:103], v102 offset1:1
	;; [unrolled: 1-line block ×3, first 2 shown]
	s_waitcnt lgkmcnt(3)
	v_dot4c_i32_i8_e32 v119, v18, v10
	v_dot4c_i32_i8_e32 v119, v19, v11
	s_waitcnt lgkmcnt(2)
	v_dot4c_i32_i8_e32 v119, v20, v12
	v_dot4c_i32_i8_e32 v119, v21, v13
	v_mov_b32_e32 v120, 0
	s_waitcnt lgkmcnt(1)
	v_dot4c_i32_i8_e32 v119, v102, v14
	s_waitcnt lgkmcnt(0)
	v_dot4c_i32_i8_e32 v120, v104, v8
	v_add_u32_e32 v102, 0x2148, v88
	v_add_u32_e32 v104, 0x2150, v88
	;; [unrolled: 1-line block ×4, first 2 shown]
	v_dot4c_i32_i8_e32 v119, v103, v15
	ds_read2_b32 v[18:19], v92 offset1:1
	ds_read2_b32 v[20:21], v91 offset0:2 offset1:3
	v_dot4c_i32_i8_e32 v120, v105, v9
	ds_read2_b32 v[102:103], v102 offset1:1
	ds_read2_b32 v[104:105], v104 offset1:1
	;; [unrolled: 1-line block ×4, first 2 shown]
	v_mov_b32_e32 v121, 0
	v_mov_b32_e32 v122, 0
	;; [unrolled: 1-line block ×3, first 2 shown]
	s_waitcnt lgkmcnt(3)
	v_dot4c_i32_i8_e32 v120, v102, v10
	s_waitcnt lgkmcnt(0)
	v_dot4c_i32_i8_e32 v121, v110, v8
	v_add_u32_e32 v8, 0x31c8, v88
	v_dot4c_i32_i8_e32 v120, v103, v11
	v_dot4c_i32_i8_e32 v121, v111, v9
	ds_read2_b32 v[8:9], v8 offset1:1
	v_dot4c_i32_i8_e32 v120, v104, v12
	v_dot4c_i32_i8_e32 v120, v105, v13
	;; [unrolled: 1-line block ×3, first 2 shown]
	v_add_u32_e32 v102, 0x31d0, v88
	v_add_u32_e32 v104, 0x31d8, v88
	;; [unrolled: 1-line block ×3, first 2 shown]
	v_dot4c_i32_i8_e32 v120, v109, v15
	ds_read2_b32 v[102:103], v102 offset1:1
	ds_read2_b32 v[104:105], v104 offset1:1
	;; [unrolled: 1-line block ×3, first 2 shown]
	s_waitcnt lgkmcnt(3)
	v_dot4c_i32_i8_e32 v121, v8, v10
	v_dot4c_i32_i8_e32 v121, v9, v11
	ds_read_b128 v[8:11], v84 offset:19104
	s_waitcnt lgkmcnt(3)
	v_dot4c_i32_i8_e32 v121, v102, v12
	v_dot4c_i32_i8_e32 v121, v103, v13
	ds_read2_b32 v[102:103], v88 offset0:26 offset1:27
	s_waitcnt lgkmcnt(3)
	v_dot4c_i32_i8_e32 v121, v104, v14
	v_dot4c_i32_i8_e32 v121, v105, v15
	ds_read_b128 v[12:15], v84 offset:19120
	s_waitcnt lgkmcnt(2)
	v_dot4c_i32_i8_e32 v122, v106, v8
	v_dot4c_i32_i8_e32 v122, v107, v9
	ds_read2_b32 v[104:105], v88 offset0:28 offset1:29
	ds_read2_b32 v[106:107], v89 offset1:1
	ds_read2_b32 v[110:111], v88 offset0:30 offset1:31
	s_waitcnt lgkmcnt(4)
	v_dot4c_i32_i8_e32 v122, v102, v10
	v_add_u32_e32 v102, 0x10e8, v88
	v_dot4c_i32_i8_e32 v122, v103, v11
	ds_read2_b32 v[102:103], v102 offset1:1
	s_waitcnt lgkmcnt(3)
	v_dot4c_i32_i8_e32 v122, v104, v12
	v_dot4c_i32_i8_e32 v122, v105, v13
	s_waitcnt lgkmcnt(1)
	v_dot4c_i32_i8_e32 v122, v110, v14
	v_dot4c_i32_i8_e32 v123, v108, v8
	v_add_u32_e32 v104, 0x10f0, v88
	v_add_u32_e32 v108, 0x10f8, v88
	;; [unrolled: 1-line block ×3, first 2 shown]
	v_dot4c_i32_i8_e32 v122, v111, v15
	v_dot4c_i32_i8_e32 v123, v109, v9
	ds_read2_b32 v[104:105], v104 offset1:1
	ds_read2_b32 v[108:109], v108 offset1:1
	;; [unrolled: 1-line block ×3, first 2 shown]
	s_waitcnt lgkmcnt(3)
	v_dot4c_i32_i8_e32 v123, v102, v10
	v_dot4c_i32_i8_e32 v123, v103, v11
	s_waitcnt lgkmcnt(2)
	v_dot4c_i32_i8_e32 v123, v104, v12
	v_cvt_f32_i32_e32 v97, v97
	v_cvt_f32_i32_e32 v96, v96
	v_dot4c_i32_i8_e32 v123, v105, v13
	v_cvt_f32_i32_e32 v105, v115
	v_cvt_f32_i32_e32 v104, v114
	v_mov_b32_e32 v102, v106
	v_mov_b32_e32 v103, v98
	v_pk_mul_f32 v[102:103], v[2:3], v[102:103] op_sel_hi:[0,1]
	v_mov_b32_e32 v98, v107
	v_pk_fma_f32 v[50:51], v[102:103], v[96:97], v[50:51]
	v_pk_mul_f32 v[96:97], v[2:3], v[98:99] op_sel:[1,0]
	v_pk_fma_f32 v[50:51], v[96:97], v[104:105], v[50:51]
	v_cvt_f32_i32_e32 v97, v119
	v_cvt_f32_i32_e32 v96, v118
	s_waitcnt lgkmcnt(1)
	v_dot4c_i32_i8_e32 v123, v108, v14
	v_mov_b32_e32 v98, v100
	v_mov_b32_e32 v99, v16
	v_dot4c_i32_i8_e32 v123, v109, v15
	v_pk_mul_f32 v[98:99], v[4:5], v[98:99] op_sel_hi:[0,1]
	v_pk_fma_f32 v[50:51], v[98:99], v[96:97], v[50:51]
	v_cvt_f32_i32_e32 v96, v122
	v_cvt_f32_i32_e32 v97, v123
	v_mov_b32_e32 v98, v5
	v_mov_b32_e32 v16, v101
	v_pk_mul_f32 v[16:17], v[98:99], v[16:17] op_sel_hi:[0,1]
	v_add_u32_e32 v5, 0x2168, v88
	v_pk_fma_f32 v[50:51], v[16:17], v[96:97], v[50:51]
	ds_read2_b32 v[16:17], v5 offset1:1
	v_mov_b32_e32 v99, 0
	s_waitcnt lgkmcnt(1)
	v_dot4c_i32_i8_e32 v99, v110, v8
	v_add_u32_e32 v96, 0x2170, v88
	v_add_u32_e32 v100, 0x2178, v88
	v_dot4c_i32_i8_e32 v99, v111, v9
	v_add_u32_e32 v5, 0x31e0, v88
	ds_read2_b32 v[96:97], v96 offset1:1
	ds_read2_b32 v[100:101], v100 offset1:1
	;; [unrolled: 1-line block ×3, first 2 shown]
	s_waitcnt lgkmcnt(3)
	v_dot4c_i32_i8_e32 v99, v16, v10
	v_dot4c_i32_i8_e32 v99, v17, v11
	s_waitcnt lgkmcnt(2)
	v_dot4c_i32_i8_e32 v99, v96, v12
	v_dot4c_i32_i8_e32 v99, v97, v13
	s_waitcnt lgkmcnt(1)
	v_dot4c_i32_i8_e32 v99, v100, v14
	v_mov_b32_e32 v100, 0
	s_waitcnt lgkmcnt(0)
	v_dot4c_i32_i8_e32 v100, v102, v8
	v_add_u32_e32 v5, 0x31e8, v88
	v_dot4c_i32_i8_e32 v100, v103, v9
	ds_read2_b32 v[8:9], v5 offset1:1
	v_add_u32_e32 v5, 0x31f0, v88
	ds_read2_b32 v[16:17], v5 offset1:1
	v_add_u32_e32 v5, 0x31f8, v88
	ds_read2_b32 v[96:97], v5 offset1:1
	s_waitcnt lgkmcnt(2)
	v_dot4c_i32_i8_e32 v100, v8, v10
	v_dot4c_i32_i8_e32 v100, v9, v11
	s_waitcnt lgkmcnt(1)
	v_dot4c_i32_i8_e32 v100, v16, v12
	v_cvt_f32_i32_e32 v11, v113
	v_cvt_f32_i32_e32 v10, v112
	v_dot4c_i32_i8_e32 v100, v17, v13
	v_cvt_f32_i32_e32 v13, v117
	v_cvt_f32_i32_e32 v12, v116
	v_mov_b32_e32 v8, v6
	v_mov_b32_e32 v9, v18
	v_pk_mul_f32 v[8:9], v[2:3], v[8:9] op_sel_hi:[0,1]
	v_mov_b32_e32 v18, v7
	s_waitcnt lgkmcnt(0)
	v_dot4c_i32_i8_e32 v100, v96, v14
	v_pk_fma_f32 v[8:9], v[8:9], v[10:11], v[42:43]
	v_pk_mul_f32 v[2:3], v[2:3], v[18:19] op_sel:[1,0]
	v_dot4c_i32_i8_e32 v99, v101, v15
	v_dot4c_i32_i8_e32 v100, v97, v15
	v_pk_fma_f32 v[2:3], v[2:3], v[12:13], v[8:9]
	v_mov_b32_e32 v6, v20
	v_mov_b32_e32 v7, v64
	v_cvt_f32_i32_e32 v9, v121
	v_cvt_f32_i32_e32 v8, v120
	v_pk_mul_f32 v[4:5], v[4:5], v[6:7] op_sel_hi:[0,1]
	v_cvt_f32_i32_e32 v7, v100
	v_cvt_f32_i32_e32 v6, v99
	v_mov_b32_e32 v64, v21
	v_pk_fma_f32 v[2:3], v[4:5], v[8:9], v[2:3]
	v_pk_mul_f32 v[4:5], v[98:99], v[64:65] op_sel_hi:[0,1]
	v_pk_fma_f32 v[42:43], v[4:5], v[6:7], v[2:3]
	s_barrier
.LBB185_5:                              ;   in Loop: Header=BB185_6 Depth=1
	v_add_co_u32_e32 v24, vcc, 0x88, v24
	v_addc_co_u32_e32 v1, vcc, 0, v1, vcc
	v_add_co_u32_e32 v26, vcc, 0x88, v26
	v_addc_co_u32_e32 v25, vcc, 0, v25, vcc
	;; [unrolled: 2-line block ×17, first 2 shown]
	s_add_i32 s20, s20, 4
	s_addk_i32 s17, 0x80
	v_add_co_u32_e32 v62, vcc, 0x88, v62
	v_add_u32_e32 v66, 4, v66
	v_add_u32_e32 v67, 4, v67
	s_cmp_ge_i32 s20, s18
	v_addc_co_u32_e32 v61, vcc, 0, v61, vcc
	s_cbranch_scc1 .LBB185_12
.LBB185_6:                              ; =>This Inner Loop Header: Depth=1
	v_mov_b32_e32 v6, s19
	v_add_co_u32_e32 v2, vcc, s14, v24
	v_addc_co_u32_e32 v3, vcc, v1, v6, vcc
	global_load_dword v7, v[2:3], off
	v_add_co_u32_e32 v2, vcc, s14, v26
	v_addc_co_u32_e32 v3, vcc, v25, v6, vcc
	global_load_dword v8, v[2:3], off
	;; [unrolled: 3-line block ×15, first 2 shown]
	v_add_co_u32_e32 v2, vcc, s14, v58
	v_addc_co_u32_e32 v3, vcc, v57, v6, vcc
	v_add_co_u32_e32 v4, vcc, s14, v60
	v_addc_co_u32_e32 v5, vcc, v59, v6, vcc
	global_load_ushort v64, v[4:5], off
	v_add_co_u32_e32 v4, vcc, s14, v62
	v_addc_co_u32_e32 v5, vcc, v61, v6, vcc
	global_load_ushort v6, v[4:5], off
	global_load_dword v65, v[2:3], off
	s_cmp_lt_i32 s17, s15
	s_waitcnt vmcnt(17)
	ds_write_b32 v68, v7
	s_waitcnt vmcnt(16)
	ds_write_b32 v69, v8
	;; [unrolled: 2-line block ×15, first 2 shown]
	s_waitcnt vmcnt(2)
	v_cvt_f32_f16_e32 v2, v64
	s_waitcnt vmcnt(0)
	ds_write_b32 v83, v65
	ds_write_b32 v94, v2
	v_cvt_f32_f16_e32 v3, v6
	ds_write_b32 v95, v3
	s_cbranch_scc0 .LBB185_5
; %bb.7:                                ;   in Loop: Header=BB185_6 Depth=1
	v_cmp_gt_i32_e32 vcc, s9, v67
	s_and_b64 s[22:23], s[2:3], vcc
	s_and_saveexec_b64 s[4:5], s[22:23]
	s_cbranch_execz .LBB185_9
; %bb.8:                                ;   in Loop: Header=BB185_6 Depth=1
	v_add_u32_e32 v2, v93, v67
	v_mad_i64_i32 v[2:3], s[22:23], v2, 36, v[22:23]
	global_load_dword v2, v[2:3], off offset:4
	s_waitcnt vmcnt(0)
	ds_write_b32 v85, v2
.LBB185_9:                              ;   in Loop: Header=BB185_6 Depth=1
	s_or_b64 exec, exec, s[4:5]
	v_cmp_gt_i32_e32 vcc, s9, v66
	s_and_b64 s[4:5], s[2:3], vcc
	s_and_b64 s[22:23], s[0:1], s[4:5]
	s_and_saveexec_b64 s[4:5], s[22:23]
	s_cbranch_execz .LBB185_4
; %bb.10:                               ;   in Loop: Header=BB185_6 Depth=1
	v_add_u32_e32 v2, v93, v66
	v_mad_i64_i32 v[2:3], s[22:23], v2, 36, s[6:7]
	global_load_dword v2, v[2:3], off
	s_waitcnt vmcnt(0)
	v_cvt_f32_f16_e32 v2, v2
	ds_write_b32 v86, v2
	s_branch .LBB185_4
.LBB185_11:
	v_mov_b32_e32 v42, v43
	v_mov_b32_e32 v51, v43
	;; [unrolled: 1-line block ×3, first 2 shown]
.LBB185_12:
	s_mul_i32 s0, s11, s8
	s_waitcnt vmcnt(0)
	v_cmp_gt_i32_e32 vcc, s0, v63
	s_and_saveexec_b64 s[0:1], vcc
	s_cbranch_execz .LBB185_21
; %bb.13:
	v_and_b32_e32 v0, 0x3ff, v0
	v_add_u32_e32 v1, s16, v0
	v_mul_lo_u32 v0, v63, s10
	v_cmp_gt_u32_e32 vcc, s10, v1
	s_and_saveexec_b64 s[0:1], vcc
	s_cbranch_execz .LBB185_15
; %bb.14:
	v_add_u32_e32 v2, v0, v1
	v_mov_b32_e32 v3, 0
	v_lshlrev_b64 v[2:3], 2, v[2:3]
	v_mov_b32_e32 v4, s13
	v_add_co_u32_e32 v2, vcc, s12, v2
	v_addc_co_u32_e32 v3, vcc, v4, v3, vcc
	global_store_dword v[2:3], v50, off
.LBB185_15:
	s_or_b64 exec, exec, s[0:1]
	v_add_u32_e32 v2, 32, v1
	v_cmp_gt_u32_e32 vcc, s10, v2
	s_and_saveexec_b64 s[0:1], vcc
	s_cbranch_execz .LBB185_17
; %bb.16:
	v_add_u32_e32 v2, v0, v2
	v_mov_b32_e32 v3, 0
	v_lshlrev_b64 v[2:3], 2, v[2:3]
	v_mov_b32_e32 v4, s13
	v_add_co_u32_e32 v2, vcc, s12, v2
	v_addc_co_u32_e32 v3, vcc, v4, v3, vcc
	global_store_dword v[2:3], v51, off
.LBB185_17:
	s_or_b64 exec, exec, s[0:1]
	v_add_u32_e32 v2, 64, v1
	;; [unrolled: 14-line block ×3, first 2 shown]
	v_cmp_gt_u32_e32 vcc, s10, v1
	s_and_b64 exec, exec, vcc
	s_cbranch_execz .LBB185_21
; %bb.20:
	v_add_u32_e32 v0, v0, v1
	v_mov_b32_e32 v1, 0
	v_lshlrev_b64 v[0:1], 2, v[0:1]
	v_mov_b32_e32 v2, s13
	v_add_co_u32_e32 v0, vcc, s12, v0
	v_addc_co_u32_e32 v1, vcc, v2, v1, vcc
	global_store_dword v[0:1], v43, off
.LBB185_21:
	s_endpgm
	.section	.rodata,"a",@progbits
	.p2align	6, 0x0
	.amdhsa_kernel _ZL8moe_q8_0IfLb0EEvPKvS1_PT_PKiS5_S5_iiiiiii
		.amdhsa_group_segment_fixed_size 20160
		.amdhsa_private_segment_fixed_size 0
		.amdhsa_kernarg_size 76
		.amdhsa_user_sgpr_count 6
		.amdhsa_user_sgpr_private_segment_buffer 1
		.amdhsa_user_sgpr_dispatch_ptr 0
		.amdhsa_user_sgpr_queue_ptr 0
		.amdhsa_user_sgpr_kernarg_segment_ptr 1
		.amdhsa_user_sgpr_dispatch_id 0
		.amdhsa_user_sgpr_flat_scratch_init 0
		.amdhsa_user_sgpr_kernarg_preload_length 0
		.amdhsa_user_sgpr_kernarg_preload_offset 0
		.amdhsa_user_sgpr_private_segment_size 0
		.amdhsa_uses_dynamic_stack 0
		.amdhsa_system_sgpr_private_segment_wavefront_offset 0
		.amdhsa_system_sgpr_workgroup_id_x 1
		.amdhsa_system_sgpr_workgroup_id_y 1
		.amdhsa_system_sgpr_workgroup_id_z 0
		.amdhsa_system_sgpr_workgroup_info 0
		.amdhsa_system_vgpr_workitem_id 1
		.amdhsa_next_free_vgpr 124
		.amdhsa_next_free_sgpr 24
		.amdhsa_accum_offset 124
		.amdhsa_reserve_vcc 1
		.amdhsa_reserve_flat_scratch 0
		.amdhsa_float_round_mode_32 0
		.amdhsa_float_round_mode_16_64 0
		.amdhsa_float_denorm_mode_32 3
		.amdhsa_float_denorm_mode_16_64 3
		.amdhsa_dx10_clamp 1
		.amdhsa_ieee_mode 1
		.amdhsa_fp16_overflow 0
		.amdhsa_tg_split 0
		.amdhsa_exception_fp_ieee_invalid_op 0
		.amdhsa_exception_fp_denorm_src 0
		.amdhsa_exception_fp_ieee_div_zero 0
		.amdhsa_exception_fp_ieee_overflow 0
		.amdhsa_exception_fp_ieee_underflow 0
		.amdhsa_exception_fp_ieee_inexact 0
		.amdhsa_exception_int_div_zero 0
	.end_amdhsa_kernel
	.section	.text._ZL8moe_q8_0IfLb0EEvPKvS1_PT_PKiS5_S5_iiiiiii,"axG",@progbits,_ZL8moe_q8_0IfLb0EEvPKvS1_PT_PKiS5_S5_iiiiiii,comdat
.Lfunc_end185:
	.size	_ZL8moe_q8_0IfLb0EEvPKvS1_PT_PKiS5_S5_iiiiiii, .Lfunc_end185-_ZL8moe_q8_0IfLb0EEvPKvS1_PT_PKiS5_S5_iiiiiii
                                        ; -- End function
	.section	.AMDGPU.csdata,"",@progbits
; Kernel info:
; codeLenInByte = 4752
; NumSgprs: 28
; NumVgprs: 124
; NumAgprs: 0
; TotalNumVgprs: 124
; ScratchSize: 0
; MemoryBound: 0
; FloatMode: 240
; IeeeMode: 1
; LDSByteSize: 20160 bytes/workgroup (compile time only)
; SGPRBlocks: 3
; VGPRBlocks: 15
; NumSGPRsForWavesPerEU: 28
; NumVGPRsForWavesPerEU: 124
; AccumOffset: 124
; Occupancy: 3
; WaveLimiterHint : 1
; COMPUTE_PGM_RSRC2:SCRATCH_EN: 0
; COMPUTE_PGM_RSRC2:USER_SGPR: 6
; COMPUTE_PGM_RSRC2:TRAP_HANDLER: 0
; COMPUTE_PGM_RSRC2:TGID_X_EN: 1
; COMPUTE_PGM_RSRC2:TGID_Y_EN: 1
; COMPUTE_PGM_RSRC2:TGID_Z_EN: 0
; COMPUTE_PGM_RSRC2:TIDIG_COMP_CNT: 1
; COMPUTE_PGM_RSRC3_GFX90A:ACCUM_OFFSET: 30
; COMPUTE_PGM_RSRC3_GFX90A:TG_SPLIT: 0
	.section	.text._ZL8moe_q8_0IfLb1EEvPKvS1_PT_PKiS5_S5_iiiiiii,"axG",@progbits,_ZL8moe_q8_0IfLb1EEvPKvS1_PT_PKiS5_S5_iiiiiii,comdat
	.globl	_ZL8moe_q8_0IfLb1EEvPKvS1_PT_PKiS5_S5_iiiiiii ; -- Begin function _ZL8moe_q8_0IfLb1EEvPKvS1_PT_PKiS5_S5_iiiiiii
	.p2align	8
	.type	_ZL8moe_q8_0IfLb1EEvPKvS1_PT_PKiS5_S5_iiiiiii,@function
_ZL8moe_q8_0IfLb1EEvPKvS1_PT_PKiS5_S5_iiiiiii: ; @_ZL8moe_q8_0IfLb1EEvPKvS1_PT_PKiS5_S5_iiiiiii
; %bb.0:
	s_load_dwordx4 s[0:3], s[4:5], 0x18
	s_mov_b32 s8, s7
	s_mov_b32 s9, 0
	s_lshl_b64 s[10:11], s[8:9], 2
	s_waitcnt lgkmcnt(0)
	s_add_u32 s2, s2, s10
	s_addc_u32 s3, s3, s11
	s_load_dword s2, s[2:3], 0x0
	s_waitcnt lgkmcnt(0)
	s_cmpk_gt_u32 s2, 0xff
	s_cbranch_scc1 .LBB186_21
; %bb.1:
	s_load_dwordx2 s[10:11], s[4:5], 0x28
	s_lshl_b32 s3, s8, 3
	s_waitcnt lgkmcnt(0)
	s_load_dword s7, s[10:11], 0x0
	s_waitcnt lgkmcnt(0)
	s_cmp_gt_u32 s3, s7
	s_cbranch_scc1 .LBB186_21
; %bb.2:
	v_bfe_u32 v1, v0, 10, 10
	v_add_u32_e32 v74, s3, v1
	v_mov_b32_e32 v75, 0
	v_lshlrev_b64 v[2:3], 2, v[74:75]
	v_mov_b32_e32 v4, s1
	v_add_co_u32_e32 v2, vcc, s0, v2
	v_addc_co_u32_e32 v3, vcc, v4, v3, vcc
	global_load_dword v59, v[2:3], off
	s_load_dwordx8 s[8:15], s[4:5], 0x30
	s_load_dwordx2 s[16:17], s[4:5], 0x10
	s_waitcnt lgkmcnt(0)
	s_lshl_b32 s15, s6, 7
	s_mov_b32 s18, 0
	s_cmp_lt_i32 s9, 32
	s_cbranch_scc1 .LBB186_11
; %bb.3:
	s_ashr_i32 s0, s9, 31
	s_lshr_b32 s0, s0, 27
	s_add_i32 s0, s9, s0
	s_ashr_i32 s19, s0, 5
	s_ashr_i32 s0, s12, 31
	s_lshr_b32 s0, s0, 27
	s_add_i32 s0, s12, s0
	s_ashr_i32 s12, s0, 5
	s_not_b32 s0, s15
	s_mul_i32 s8, s2, s8
	s_add_i32 s2, s0, s10
	v_and_b32_e32 v61, 0x3ff, v0
	v_lshlrev_b32_e32 v2, 2, v61
	v_min_i32_e32 v3, s2, v1
	s_movk_i32 s3, 0x84
	v_mul_lo_u32 v4, v3, s19
	v_mad_u64_u32 v[22:23], s[0:1], v3, s3, v[2:3]
	v_add_u32_e32 v3, 8, v1
	v_min_i32_e32 v3, s2, v3
	v_mul_lo_u32 v7, v3, s19
	v_mad_u64_u32 v[24:25], s[0:1], v3, s3, v[2:3]
	v_add_u32_e32 v3, 16, v1
	v_min_i32_e32 v3, s2, v3
	;; [unrolled: 4-line block ×15, first 2 shown]
	v_and_b32_e32 v6, 28, v2
	v_mad_u64_u32 v[52:53], s[0:1], v3, s3, v[2:3]
	v_lshrrev_b32_e32 v2, 2, v61
	v_lshl_add_u32 v2, v1, 3, v2
	v_mul_lo_u32 v21, v3, s19
	v_min_i32_e32 v3, s2, v2
	v_ashrrev_i32_e32 v5, 31, v3
	v_add_u32_e32 v2, 64, v2
	v_lshrrev_b32_e32 v5, 29, v5
	v_min_i32_e32 v2, s2, v2
	s_load_dwordx4 s[4:7], s[4:5], 0x0
	v_mul_lo_u32 v53, v3, s19
	v_add_u32_e32 v5, v3, v5
	v_lshlrev_b32_e32 v75, 4, v3
	v_ashrrev_i32_e32 v3, 31, v2
	v_lshrrev_b32_e32 v3, 29, v3
	v_add_u32_e32 v3, v2, v3
	v_and_b32_e32 v57, 3, v61
	v_ashrrev_i32_e32 v3, 3, v3
	v_lshlrev_b32_e32 v23, 2, v57
	s_movk_i32 s3, 0x4200
	v_mul_lo_u32 v82, v2, s19
	v_lshlrev_b32_e32 v3, 2, v3
	v_lshlrev_b32_e32 v91, 4, v2
	v_and_b32_e32 v2, 31, v61
	v_lshlrev_b32_e32 v65, 7, v1
	v_add3_u32 v83, v3, v23, s3
	s_waitcnt lgkmcnt(0)
	v_mov_b32_e32 v3, s7
	v_add_co_u32_e32 v54, vcc, s6, v6
	v_lshl_or_b32 v2, v2, 2, v65
	v_lshrrev_b32_e32 v63, 3, v61
	v_addc_co_u32_e32 v55, vcc, 0, v3, vcc
	v_add_u32_e32 v67, 0x4a40, v2
	v_lshl_add_u32 v2, v1, 2, v61
	v_mov_b32_e32 v3, 0x4e40
	v_lshl_add_u32 v69, v2, 2, v3
	v_lshlrev_b32_e32 v71, 4, v1
	v_lshlrev_b32_e32 v1, 2, v63
	;; [unrolled: 1-line block ×3, first 2 shown]
	v_add3_u32 v77, v2, v1, s3
	v_add_u32_e32 v1, 32, v61
	v_lshrrev_b32_e32 v2, 1, v1
	v_and_b32_e32 v2, 0xfc, v2
	v_lshlrev_b32_e32 v1, 4, v1
	v_add3_u32 v79, v1, v2, s3
	v_add_u32_e32 v1, 64, v61
	v_lshrrev_b32_e32 v2, 1, v1
	v_and_b32_e32 v2, 0xfc, v2
	v_lshlrev_b32_e32 v1, 4, v1
	s_abs_i32 s2, s14
	v_add3_u32 v81, v1, v2, s3
	v_cvt_f32_u32_e32 v2, s2
	v_add_u32_e32 v1, 0x60, v61
	v_ashrrev_i32_e32 v5, 3, v5
	v_lshrrev_b32_e32 v3, 1, v1
	v_rcp_iflag_f32_e32 v2, v2
	v_lshlrev_b32_e32 v5, 2, v5
	v_and_b32_e32 v3, 0xfc, v3
	v_lshlrev_b32_e32 v1, 4, v1
	v_mul_f32_e32 v2, 0x4f7ffffe, v2
	v_cvt_u32_f32_e32 v2, v2
	v_add3_u32 v74, v5, v23, s3
	v_add3_u32 v85, v1, v3, s3
	s_sub_i32 s3, 0, s2
	v_mul_lo_u32 v5, s3, v2
	s_waitcnt vmcnt(0)
	v_sub_u32_e32 v3, 0, v59
	v_mul_hi_u32 v5, v2, v5
	v_max_i32_e32 v3, v59, v3
	v_add_u32_e32 v2, v2, v5
	v_mul_hi_u32 v2, v3, v2
	v_mul_lo_u32 v5, v2, s2
	v_sub_u32_e32 v3, v3, v5
	v_add_u32_e32 v5, 1, v2
	v_cmp_le_u32_e32 vcc, s2, v3
	v_cndmask_b32_e32 v2, v2, v5, vcc
	v_subrev_u32_e32 v5, s2, v3
	v_cndmask_b32_e32 v3, v3, v5, vcc
	v_xor_b32_e32 v1, s14, v59
	v_add_u32_e32 v5, 1, v2
	v_cmp_le_u32_e32 vcc, s2, v3
	s_mul_i32 s21, s19, s15
	v_ashrrev_i32_e32 v1, 31, v1
	v_cndmask_b32_e32 v2, v2, v5, vcc
	v_xor_b32_e32 v2, v2, v1
	s_mul_hi_i32 s10, s21, 34
	s_mul_i32 s22, s21, 34
	v_sub_u32_e32 v1, v2, v1
	v_mov_b32_e32 v2, s22
	v_mov_b32_e32 v3, s10
	v_mad_u64_u32 v[2:3], s[22:23], v63, 34, v[2:3]
	v_mad_i64_i32 v[4:5], s[22:23], v4, 34, v[2:3]
	v_cmp_gt_i32_e64 s[2:3], s11, v1
	v_mul_lo_u32 v87, v1, s12
	v_add_co_u32_e32 v1, vcc, v4, v6
	v_addc_co_u32_e32 v4, vcc, 0, v5, vcc
	v_mov_b32_e32 v51, s5
	v_add_co_u32_e32 v1, vcc, s4, v1
	v_addc_co_u32_e32 v4, vcc, v4, v51, vcc
	v_add_co_u32_e32 v56, vcc, 2, v1
	v_addc_co_u32_e32 v1, vcc, 0, v4, vcc
	v_mad_i64_i32 v[4:5], s[22:23], v7, 34, v[2:3]
	v_add_co_u32_e32 v4, vcc, v4, v6
	v_addc_co_u32_e32 v5, vcc, 0, v5, vcc
	v_add_co_u32_e32 v4, vcc, s4, v4
	v_addc_co_u32_e32 v5, vcc, v5, v51, vcc
	v_add_co_u32_e32 v58, vcc, 2, v4
	v_addc_co_u32_e32 v23, vcc, 0, v5, vcc
	v_mad_i64_i32 v[4:5], s[22:23], v8, 34, v[2:3]
	v_add_co_u32_e32 v4, vcc, v4, v6
	v_addc_co_u32_e32 v5, vcc, 0, v5, vcc
	;; [unrolled: 7-line block ×15, first 2 shown]
	v_add_co_u32_e32 v2, vcc, s4, v2
	v_addc_co_u32_e32 v3, vcc, v3, v51, vcc
	v_add_co_u32_e32 v90, vcc, 2, v2
	v_addc_co_u32_e32 v51, vcc, 0, v3, vcc
	v_mad_i64_i32 v[2:3], s[22:23], v53, 34, 0
	v_mad_i64_i32 v[2:3], s[22:23], s21, 34, v[2:3]
	v_mad_u64_u32 v[2:3], s[22:23], v57, 34, v[2:3]
	v_mov_b32_e32 v4, s5
	v_add_co_u32_e32 v92, vcc, s4, v2
	v_addc_co_u32_e32 v53, vcc, v4, v3, vcc
	v_mad_i64_i32 v[2:3], s[22:23], v82, 34, 0
	v_mad_i64_i32 v[2:3], s[22:23], s21, 34, v[2:3]
	v_mad_u64_u32 v[2:3], s[22:23], v57, 34, v[2:3]
	v_add_co_u32_e32 v94, vcc, s4, v2
	v_mov_b32_e32 v82, 0
	s_ashr_i32 s20, s8, 31
	v_cmp_gt_u32_e64 s[0:1], 4, v61
	v_mul_u32_u24_e32 v73, 0x84, v61
	v_addc_co_u32_e32 v57, vcc, v4, v3, vcc
	v_add_u32_e32 v89, v74, v75
	v_add_u32_e32 v91, v83, v91
	s_mov_b32 s10, 0
	v_mov_b32_e32 v83, v82
	v_mov_b32_e32 v74, v82
	;; [unrolled: 1-line block ×3, first 2 shown]
	s_branch .LBB186_6
.LBB186_4:                              ;   in Loop: Header=BB186_6 Depth=1
	s_or_b64 exec, exec, s[4:5]
	s_waitcnt lgkmcnt(0)
	s_barrier
	ds_read_b128 v[2:5], v71 offset:20032
	ds_read2_b32 v[96:97], v73 offset1:1
	ds_read_b128 v[18:21], v65 offset:19008
	ds_read_b128 v[14:17], v65 offset:19024
	;; [unrolled: 1-line block ×4, first 2 shown]
	ds_read2_b32 v[98:99], v73 offset0:2 offset1:3
	v_mov_b32_e32 v93, 0
	s_waitcnt lgkmcnt(4)
	v_dot4c_i32_i8_e32 v93, v96, v18
	v_dot4c_i32_i8_e32 v93, v97, v19
	v_add_u32_e32 v95, 0x1080, v73
	s_waitcnt lgkmcnt(0)
	v_dot4c_i32_i8_e32 v93, v98, v20
	ds_read2_b32 v[96:97], v73 offset0:4 offset1:5
	ds_read2_b32 v[100:101], v73 offset0:6 offset1:7
	;; [unrolled: 1-line block ×3, first 2 shown]
	v_dot4c_i32_i8_e32 v93, v99, v21
	ds_read2_b32 v[98:99], v95 offset1:1
	s_waitcnt lgkmcnt(3)
	v_dot4c_i32_i8_e32 v93, v96, v14
	v_dot4c_i32_i8_e32 v93, v97, v15
	ds_read2_b32 v[96:97], v85 offset0:2 offset1:3
	v_mov_b32_e32 v95, 0
	s_waitcnt lgkmcnt(1)
	v_dot4c_i32_i8_e32 v95, v98, v18
	v_add_u32_e32 v98, 0x1088, v73
	v_dot4c_i32_i8_e32 v95, v99, v19
	ds_read2_b32 v[98:99], v98 offset1:1
	v_dot4c_i32_i8_e32 v93, v100, v16
	v_add_u32_e32 v100, 0x1090, v73
	v_add_u32_e32 v104, 0x1098, v73
	;; [unrolled: 1-line block ×3, first 2 shown]
	v_dot4c_i32_i8_e32 v93, v101, v17
	ds_read2_b32 v[100:101], v100 offset1:1
	ds_read2_b32 v[104:105], v104 offset1:1
	;; [unrolled: 1-line block ×3, first 2 shown]
	s_waitcnt lgkmcnt(3)
	v_dot4c_i32_i8_e32 v95, v98, v20
	v_dot4c_i32_i8_e32 v95, v99, v21
	s_waitcnt lgkmcnt(2)
	v_dot4c_i32_i8_e32 v95, v100, v14
	v_dot4c_i32_i8_e32 v95, v101, v15
	v_mov_b32_e32 v112, 0
	s_waitcnt lgkmcnt(1)
	v_dot4c_i32_i8_e32 v95, v104, v16
	s_waitcnt lgkmcnt(0)
	v_dot4c_i32_i8_e32 v112, v106, v18
	v_add_u32_e32 v98, 0x2108, v73
	v_add_u32_e32 v100, 0x2110, v73
	;; [unrolled: 1-line block ×4, first 2 shown]
	v_dot4c_i32_i8_e32 v95, v105, v17
	v_dot4c_i32_i8_e32 v112, v107, v19
	ds_read2_b32 v[98:99], v98 offset1:1
	ds_read2_b32 v[100:101], v100 offset1:1
	;; [unrolled: 1-line block ×4, first 2 shown]
	v_mov_b32_e32 v113, 0
	v_mov_b32_e32 v114, 0
	v_dot4c_i32_i8_e32 v114, v102, v10
	s_waitcnt lgkmcnt(3)
	v_dot4c_i32_i8_e32 v112, v98, v20
	s_waitcnt lgkmcnt(0)
	v_dot4c_i32_i8_e32 v113, v106, v18
	v_add_u32_e32 v18, 0x3188, v73
	v_dot4c_i32_i8_e32 v112, v99, v21
	v_dot4c_i32_i8_e32 v113, v107, v19
	ds_read2_b32 v[18:19], v18 offset1:1
	v_dot4c_i32_i8_e32 v112, v100, v14
	v_dot4c_i32_i8_e32 v112, v101, v15
	;; [unrolled: 1-line block ×3, first 2 shown]
	v_add_u32_e32 v98, 0x3190, v73
	v_add_u32_e32 v100, 0x3198, v73
	;; [unrolled: 1-line block ×3, first 2 shown]
	v_dot4c_i32_i8_e32 v112, v105, v17
	ds_read2_b32 v[98:99], v98 offset1:1
	ds_read2_b32 v[100:101], v100 offset1:1
	ds_read2_b32 v[104:105], v104 offset1:1
	s_waitcnt lgkmcnt(3)
	v_dot4c_i32_i8_e32 v113, v18, v20
	v_dot4c_i32_i8_e32 v113, v19, v21
	s_waitcnt lgkmcnt(2)
	v_dot4c_i32_i8_e32 v113, v98, v14
	v_dot4c_i32_i8_e32 v113, v99, v15
	ds_read2_b32 v[14:15], v73 offset0:10 offset1:11
	s_waitcnt lgkmcnt(2)
	v_dot4c_i32_i8_e32 v113, v100, v16
	v_dot4c_i32_i8_e32 v113, v101, v17
	;; [unrolled: 1-line block ×3, first 2 shown]
	ds_read2_b32 v[16:17], v73 offset0:12 offset1:13
	ds_read2_b32 v[18:19], v73 offset0:14 offset1:15
	ds_read2_b32 v[20:21], v73 offset0:16 offset1:17
	s_waitcnt lgkmcnt(3)
	v_dot4c_i32_i8_e32 v114, v14, v12
	v_add_u32_e32 v14, 0x10a8, v73
	v_dot4c_i32_i8_e32 v114, v15, v13
	ds_read2_b32 v[14:15], v14 offset1:1
	s_waitcnt lgkmcnt(3)
	v_dot4c_i32_i8_e32 v114, v16, v6
	v_dot4c_i32_i8_e32 v114, v17, v7
	v_mov_b32_e32 v115, 0
	s_waitcnt lgkmcnt(2)
	v_dot4c_i32_i8_e32 v114, v18, v8
	v_dot4c_i32_i8_e32 v115, v104, v10
	v_add_u32_e32 v16, 0x10b0, v73
	v_add_u32_e32 v18, 0x10b8, v73
	;; [unrolled: 1-line block ×3, first 2 shown]
	v_dot4c_i32_i8_e32 v114, v19, v9
	v_dot4c_i32_i8_e32 v115, v105, v11
	ds_read2_b32 v[16:17], v16 offset1:1
	ds_read2_b32 v[18:19], v18 offset1:1
	ds_read2_b32 v[98:99], v98 offset1:1
	s_waitcnt lgkmcnt(3)
	v_dot4c_i32_i8_e32 v115, v14, v12
	v_dot4c_i32_i8_e32 v115, v15, v13
	s_waitcnt lgkmcnt(2)
	v_dot4c_i32_i8_e32 v115, v16, v6
	v_dot4c_i32_i8_e32 v115, v17, v7
	v_mov_b32_e32 v116, 0
	s_waitcnt lgkmcnt(1)
	v_dot4c_i32_i8_e32 v115, v18, v8
	s_waitcnt lgkmcnt(0)
	v_dot4c_i32_i8_e32 v116, v98, v10
	v_add_u32_e32 v14, 0x2128, v73
	v_add_u32_e32 v16, 0x2130, v73
	;; [unrolled: 1-line block ×4, first 2 shown]
	v_dot4c_i32_i8_e32 v115, v19, v9
	v_dot4c_i32_i8_e32 v116, v99, v11
	ds_read2_b32 v[14:15], v14 offset1:1
	ds_read2_b32 v[16:17], v16 offset1:1
	;; [unrolled: 1-line block ×4, first 2 shown]
	v_mov_b32_e32 v117, 0
	v_mov_b32_e32 v118, 0
	;; [unrolled: 1-line block ×3, first 2 shown]
	s_waitcnt lgkmcnt(3)
	v_dot4c_i32_i8_e32 v116, v14, v12
	s_waitcnt lgkmcnt(0)
	v_dot4c_i32_i8_e32 v117, v98, v10
	v_add_u32_e32 v10, 0x31a8, v73
	v_dot4c_i32_i8_e32 v116, v15, v13
	v_dot4c_i32_i8_e32 v117, v99, v11
	ds_read2_b32 v[10:11], v10 offset1:1
	v_dot4c_i32_i8_e32 v116, v16, v6
	v_dot4c_i32_i8_e32 v116, v17, v7
	;; [unrolled: 1-line block ×3, first 2 shown]
	v_add_u32_e32 v14, 0x31b0, v73
	v_add_u32_e32 v16, 0x31b8, v73
	;; [unrolled: 1-line block ×3, first 2 shown]
	v_dot4c_i32_i8_e32 v116, v19, v9
	ds_read2_b32 v[14:15], v14 offset1:1
	ds_read2_b32 v[16:17], v16 offset1:1
	;; [unrolled: 1-line block ×3, first 2 shown]
	s_waitcnt lgkmcnt(3)
	v_dot4c_i32_i8_e32 v117, v10, v12
	v_dot4c_i32_i8_e32 v117, v11, v13
	s_waitcnt lgkmcnt(2)
	v_dot4c_i32_i8_e32 v117, v14, v6
	v_dot4c_i32_i8_e32 v117, v15, v7
	;; [unrolled: 3-line block ×3, first 2 shown]
	ds_read_b128 v[8:11], v65 offset:19072
	ds_read_b128 v[12:15], v65 offset:19088
	ds_read2_b32 v[6:7], v81 offset1:1
	ds_read2_b32 v[16:17], v79 offset0:2 offset1:3
	ds_read2_b32 v[98:99], v79 offset1:1
	ds_read2_b32 v[100:101], v77 offset0:2 offset1:3
	ds_read2_b32 v[102:103], v73 offset0:18 offset1:19
	s_waitcnt lgkmcnt(6)
	v_dot4c_i32_i8_e32 v118, v20, v8
	v_dot4c_i32_i8_e32 v118, v21, v9
	ds_read2_b32 v[20:21], v73 offset0:20 offset1:21
	ds_read2_b32 v[104:105], v73 offset0:22 offset1:23
	;; [unrolled: 1-line block ×3, first 2 shown]
	v_dot4c_i32_i8_e32 v119, v18, v8
	s_waitcnt lgkmcnt(3)
	v_dot4c_i32_i8_e32 v118, v102, v10
	v_add_u32_e32 v18, 0x10c8, v73
	v_dot4c_i32_i8_e32 v118, v103, v11
	v_dot4c_i32_i8_e32 v119, v19, v9
	ds_read2_b32 v[18:19], v18 offset1:1
	s_waitcnt lgkmcnt(3)
	v_dot4c_i32_i8_e32 v118, v20, v12
	v_dot4c_i32_i8_e32 v118, v21, v13
	s_waitcnt lgkmcnt(2)
	v_dot4c_i32_i8_e32 v118, v104, v14
	v_add_u32_e32 v20, 0x10d0, v73
	v_add_u32_e32 v102, 0x10d8, v73
	v_add_u32_e32 v104, 0x2140, v73
	v_dot4c_i32_i8_e32 v118, v105, v15
	ds_read2_b32 v[20:21], v20 offset1:1
	ds_read2_b32 v[102:103], v102 offset1:1
	;; [unrolled: 1-line block ×3, first 2 shown]
	s_waitcnt lgkmcnt(3)
	v_dot4c_i32_i8_e32 v119, v18, v10
	v_dot4c_i32_i8_e32 v119, v19, v11
	s_waitcnt lgkmcnt(2)
	v_dot4c_i32_i8_e32 v119, v20, v12
	v_dot4c_i32_i8_e32 v119, v21, v13
	v_mov_b32_e32 v120, 0
	s_waitcnt lgkmcnt(1)
	v_dot4c_i32_i8_e32 v119, v102, v14
	s_waitcnt lgkmcnt(0)
	v_dot4c_i32_i8_e32 v120, v104, v8
	v_add_u32_e32 v102, 0x2148, v73
	v_add_u32_e32 v104, 0x2150, v73
	;; [unrolled: 1-line block ×4, first 2 shown]
	v_dot4c_i32_i8_e32 v119, v103, v15
	ds_read2_b32 v[18:19], v85 offset1:1
	ds_read2_b32 v[20:21], v81 offset0:2 offset1:3
	v_dot4c_i32_i8_e32 v120, v105, v9
	ds_read2_b32 v[102:103], v102 offset1:1
	ds_read2_b32 v[104:105], v104 offset1:1
	;; [unrolled: 1-line block ×4, first 2 shown]
	v_mov_b32_e32 v121, 0
	v_mov_b32_e32 v122, 0
	;; [unrolled: 1-line block ×3, first 2 shown]
	s_waitcnt lgkmcnt(3)
	v_dot4c_i32_i8_e32 v120, v102, v10
	s_waitcnt lgkmcnt(0)
	v_dot4c_i32_i8_e32 v121, v110, v8
	v_add_u32_e32 v8, 0x31c8, v73
	v_dot4c_i32_i8_e32 v120, v103, v11
	v_dot4c_i32_i8_e32 v121, v111, v9
	ds_read2_b32 v[8:9], v8 offset1:1
	v_dot4c_i32_i8_e32 v120, v104, v12
	v_dot4c_i32_i8_e32 v120, v105, v13
	v_dot4c_i32_i8_e32 v120, v108, v14
	v_add_u32_e32 v102, 0x31d0, v73
	v_add_u32_e32 v104, 0x31d8, v73
	;; [unrolled: 1-line block ×3, first 2 shown]
	v_dot4c_i32_i8_e32 v120, v109, v15
	ds_read2_b32 v[102:103], v102 offset1:1
	ds_read2_b32 v[104:105], v104 offset1:1
	;; [unrolled: 1-line block ×3, first 2 shown]
	s_waitcnt lgkmcnt(3)
	v_dot4c_i32_i8_e32 v121, v8, v10
	v_dot4c_i32_i8_e32 v121, v9, v11
	ds_read_b128 v[8:11], v65 offset:19104
	s_waitcnt lgkmcnt(3)
	v_dot4c_i32_i8_e32 v121, v102, v12
	v_dot4c_i32_i8_e32 v121, v103, v13
	ds_read2_b32 v[102:103], v73 offset0:26 offset1:27
	s_waitcnt lgkmcnt(3)
	v_dot4c_i32_i8_e32 v121, v104, v14
	v_dot4c_i32_i8_e32 v121, v105, v15
	ds_read_b128 v[12:15], v65 offset:19120
	s_waitcnt lgkmcnt(2)
	v_dot4c_i32_i8_e32 v122, v106, v8
	v_dot4c_i32_i8_e32 v122, v107, v9
	ds_read2_b32 v[104:105], v73 offset0:28 offset1:29
	ds_read2_b32 v[106:107], v77 offset1:1
	ds_read2_b32 v[110:111], v73 offset0:30 offset1:31
	s_waitcnt lgkmcnt(4)
	v_dot4c_i32_i8_e32 v122, v102, v10
	v_add_u32_e32 v102, 0x10e8, v73
	v_dot4c_i32_i8_e32 v122, v103, v11
	ds_read2_b32 v[102:103], v102 offset1:1
	s_waitcnt lgkmcnt(3)
	v_dot4c_i32_i8_e32 v122, v104, v12
	v_dot4c_i32_i8_e32 v122, v105, v13
	s_waitcnt lgkmcnt(1)
	v_dot4c_i32_i8_e32 v122, v110, v14
	v_dot4c_i32_i8_e32 v123, v108, v8
	v_add_u32_e32 v104, 0x10f0, v73
	v_add_u32_e32 v108, 0x10f8, v73
	;; [unrolled: 1-line block ×3, first 2 shown]
	v_dot4c_i32_i8_e32 v122, v111, v15
	v_dot4c_i32_i8_e32 v123, v109, v9
	ds_read2_b32 v[104:105], v104 offset1:1
	ds_read2_b32 v[108:109], v108 offset1:1
	;; [unrolled: 1-line block ×3, first 2 shown]
	s_waitcnt lgkmcnt(3)
	v_dot4c_i32_i8_e32 v123, v102, v10
	v_dot4c_i32_i8_e32 v123, v103, v11
	s_waitcnt lgkmcnt(2)
	v_dot4c_i32_i8_e32 v123, v104, v12
	v_dot4c_i32_i8_e32 v123, v105, v13
	s_waitcnt lgkmcnt(1)
	v_dot4c_i32_i8_e32 v123, v108, v14
	v_cvt_f32_i32_e32 v105, v95
	v_cvt_f32_i32_e32 v104, v93
	v_dot4c_i32_i8_e32 v123, v109, v15
	v_cvt_f32_i32_e32 v109, v115
	v_cvt_f32_i32_e32 v108, v114
	v_mov_b32_e32 v102, v106
	v_mov_b32_e32 v103, v98
	v_pk_mul_f32 v[102:103], v[2:3], v[102:103] op_sel_hi:[0,1]
	v_mov_b32_e32 v98, v107
	v_pk_fma_f32 v[82:83], v[102:103], v[104:105], v[82:83]
	v_pk_mul_f32 v[98:99], v[2:3], v[98:99] op_sel:[1,0]
	v_pk_fma_f32 v[82:83], v[98:99], v[108:109], v[82:83]
	v_cvt_f32_i32_e32 v99, v119
	v_cvt_f32_i32_e32 v98, v118
	v_mov_b32_e32 v102, v100
	v_mov_b32_e32 v103, v16
	v_pk_mul_f32 v[102:103], v[4:5], v[102:103] op_sel_hi:[0,1]
	v_pk_fma_f32 v[82:83], v[102:103], v[98:99], v[82:83]
	v_cvt_f32_i32_e32 v99, v123
	v_cvt_f32_i32_e32 v98, v122
	v_mov_b32_e32 v100, v5
	v_mov_b32_e32 v16, v101
	v_pk_mul_f32 v[16:17], v[100:101], v[16:17] op_sel_hi:[0,1]
	v_add_u32_e32 v5, 0x2168, v73
	v_add_u32_e32 v95, 0x2170, v73
	v_pk_fma_f32 v[82:83], v[16:17], v[98:99], v[82:83]
	v_add_u32_e32 v101, 0x2178, v73
	ds_read2_b32 v[16:17], v5 offset1:1
	v_add_u32_e32 v5, 0x31e0, v73
	ds_read2_b32 v[98:99], v95 offset1:1
	ds_read2_b32 v[102:103], v101 offset1:1
	;; [unrolled: 1-line block ×3, first 2 shown]
	v_mov_b32_e32 v93, 0
	v_mov_b32_e32 v95, 0
	s_waitcnt lgkmcnt(4)
	v_dot4c_i32_i8_e32 v93, v110, v8
	v_add_u32_e32 v5, 0x31e8, v73
	s_waitcnt lgkmcnt(0)
	v_dot4c_i32_i8_e32 v95, v104, v8
	v_dot4c_i32_i8_e32 v93, v111, v9
	;; [unrolled: 1-line block ×3, first 2 shown]
	ds_read2_b32 v[8:9], v5 offset1:1
	v_dot4c_i32_i8_e32 v93, v16, v10
	v_add_u32_e32 v5, 0x31f0, v73
	v_dot4c_i32_i8_e32 v93, v17, v11
	ds_read2_b32 v[16:17], v5 offset1:1
	v_dot4c_i32_i8_e32 v93, v98, v12
	v_add_u32_e32 v5, 0x31f8, v73
	s_waitcnt lgkmcnt(1)
	v_dot4c_i32_i8_e32 v95, v8, v10
	v_dot4c_i32_i8_e32 v93, v99, v13
	ds_read2_b32 v[98:99], v5 offset1:1
	v_dot4c_i32_i8_e32 v95, v9, v11
	s_waitcnt lgkmcnt(1)
	v_dot4c_i32_i8_e32 v95, v16, v12
	v_cvt_f32_i32_e32 v11, v113
	v_cvt_f32_i32_e32 v10, v112
	v_dot4c_i32_i8_e32 v95, v17, v13
	v_cvt_f32_i32_e32 v13, v117
	v_cvt_f32_i32_e32 v12, v116
	v_mov_b32_e32 v8, v6
	v_mov_b32_e32 v9, v18
	v_pk_mul_f32 v[8:9], v[2:3], v[8:9] op_sel_hi:[0,1]
	v_mov_b32_e32 v18, v7
	v_dot4c_i32_i8_e32 v93, v102, v14
	s_waitcnt lgkmcnt(0)
	v_dot4c_i32_i8_e32 v95, v98, v14
	v_pk_fma_f32 v[8:9], v[8:9], v[10:11], v[74:75]
	v_pk_mul_f32 v[2:3], v[2:3], v[18:19] op_sel:[1,0]
	v_dot4c_i32_i8_e32 v93, v103, v15
	v_dot4c_i32_i8_e32 v95, v99, v15
	v_pk_fma_f32 v[2:3], v[2:3], v[12:13], v[8:9]
	v_mov_b32_e32 v6, v20
	v_mov_b32_e32 v7, v96
	v_cvt_f32_i32_e32 v9, v121
	v_cvt_f32_i32_e32 v8, v120
	v_pk_mul_f32 v[4:5], v[4:5], v[6:7] op_sel_hi:[0,1]
	v_cvt_f32_i32_e32 v7, v95
	v_cvt_f32_i32_e32 v6, v93
	v_mov_b32_e32 v96, v21
	v_pk_fma_f32 v[2:3], v[4:5], v[8:9], v[2:3]
	v_pk_mul_f32 v[4:5], v[100:101], v[96:97] op_sel_hi:[0,1]
	v_pk_fma_f32 v[74:75], v[4:5], v[6:7], v[2:3]
	s_barrier
.LBB186_5:                              ;   in Loop: Header=BB186_6 Depth=1
	v_add_co_u32_e32 v56, vcc, 0x88, v56
	v_addc_co_u32_e32 v1, vcc, 0, v1, vcc
	v_add_co_u32_e32 v58, vcc, 0x88, v58
	v_addc_co_u32_e32 v23, vcc, 0, v23, vcc
	;; [unrolled: 2-line block ×17, first 2 shown]
	s_add_i32 s10, s10, 4
	s_addk_i32 s18, 0x80
	v_add_co_u32_e32 v94, vcc, 0x88, v94
	v_add_u32_e32 v61, 4, v61
	v_add_u32_e32 v63, 4, v63
	s_cmp_ge_i32 s10, s19
	v_addc_co_u32_e32 v57, vcc, 0, v57, vcc
	s_cbranch_scc1 .LBB186_12
.LBB186_6:                              ; =>This Inner Loop Header: Depth=1
	v_mov_b32_e32 v6, s20
	v_add_co_u32_e32 v2, vcc, s8, v56
	v_addc_co_u32_e32 v3, vcc, v1, v6, vcc
	global_load_dword v7, v[2:3], off
	v_add_co_u32_e32 v2, vcc, s8, v58
	v_addc_co_u32_e32 v3, vcc, v23, v6, vcc
	global_load_dword v8, v[2:3], off
	;; [unrolled: 3-line block ×15, first 2 shown]
	v_add_co_u32_e32 v2, vcc, s8, v90
	v_addc_co_u32_e32 v3, vcc, v51, v6, vcc
	v_add_co_u32_e32 v4, vcc, s8, v92
	v_addc_co_u32_e32 v5, vcc, v53, v6, vcc
	global_load_ushort v93, v[4:5], off
	v_add_co_u32_e32 v4, vcc, s8, v94
	v_addc_co_u32_e32 v5, vcc, v57, v6, vcc
	global_load_ushort v6, v[4:5], off
	global_load_dword v95, v[2:3], off
	s_cmp_lt_i32 s18, s9
	s_waitcnt vmcnt(17)
	ds_write_b32 v22, v7
	s_waitcnt vmcnt(16)
	ds_write_b32 v24, v8
	s_waitcnt vmcnt(15)
	ds_write_b32 v26, v9
	s_waitcnt vmcnt(14)
	ds_write_b32 v28, v10
	s_waitcnt vmcnt(13)
	ds_write_b32 v30, v11
	s_waitcnt vmcnt(12)
	ds_write_b32 v32, v12
	s_waitcnt vmcnt(11)
	ds_write_b32 v34, v13
	s_waitcnt vmcnt(10)
	ds_write_b32 v36, v14
	s_waitcnt vmcnt(9)
	ds_write_b32 v38, v15
	s_waitcnt vmcnt(8)
	ds_write_b32 v40, v16
	s_waitcnt vmcnt(7)
	ds_write_b32 v42, v17
	s_waitcnt vmcnt(6)
	ds_write_b32 v44, v18
	s_waitcnt vmcnt(5)
	ds_write_b32 v46, v19
	s_waitcnt vmcnt(4)
	ds_write_b32 v48, v20
	s_waitcnt vmcnt(3)
	ds_write_b32 v50, v21
	s_waitcnt vmcnt(2)
	v_cvt_f32_f16_e32 v2, v93
	s_waitcnt vmcnt(0)
	ds_write_b32 v52, v95
	ds_write_b32 v89, v2
	v_cvt_f32_f16_e32 v3, v6
	ds_write_b32 v91, v3
	s_cbranch_scc0 .LBB186_5
; %bb.7:                                ;   in Loop: Header=BB186_6 Depth=1
	v_cmp_gt_i32_e32 vcc, s12, v63
	s_and_b64 s[22:23], s[2:3], vcc
	s_and_saveexec_b64 s[4:5], s[22:23]
	s_cbranch_execz .LBB186_9
; %bb.8:                                ;   in Loop: Header=BB186_6 Depth=1
	v_add_u32_e32 v2, v87, v63
	v_mad_i64_i32 v[2:3], s[22:23], v2, 36, v[54:55]
	global_load_dword v2, v[2:3], off offset:4
	s_waitcnt vmcnt(0)
	ds_write_b32 v67, v2
.LBB186_9:                              ;   in Loop: Header=BB186_6 Depth=1
	s_or_b64 exec, exec, s[4:5]
	v_cmp_gt_i32_e32 vcc, s12, v61
	s_and_b64 s[4:5], s[2:3], vcc
	s_and_b64 s[22:23], s[0:1], s[4:5]
	s_and_saveexec_b64 s[4:5], s[22:23]
	s_cbranch_execz .LBB186_4
; %bb.10:                               ;   in Loop: Header=BB186_6 Depth=1
	v_add_u32_e32 v2, v87, v61
	v_mad_i64_i32 v[2:3], s[22:23], v2, 36, s[6:7]
	global_load_dword v2, v[2:3], off
	s_waitcnt vmcnt(0)
	v_cvt_f32_f16_e32 v2, v2
	ds_write_b32 v69, v2
	s_branch .LBB186_4
.LBB186_11:
	v_mov_b32_e32 v74, v75
	v_mov_b32_e32 v83, v75
	;; [unrolled: 1-line block ×3, first 2 shown]
.LBB186_12:
	s_mul_i32 s0, s14, s11
	s_waitcnt vmcnt(0)
	v_cmp_gt_i32_e32 vcc, s0, v59
	s_and_saveexec_b64 s[0:1], vcc
	s_cbranch_execz .LBB186_21
; %bb.13:
	v_and_b32_e32 v0, 0x3ff, v0
	v_add_u32_e32 v1, s15, v0
	v_mul_lo_u32 v0, v59, s13
	v_cmp_gt_u32_e32 vcc, s13, v1
	s_and_saveexec_b64 s[0:1], vcc
	s_cbranch_execz .LBB186_15
; %bb.14:
	v_add_u32_e32 v2, v0, v1
	v_mov_b32_e32 v3, 0
	v_lshlrev_b64 v[2:3], 2, v[2:3]
	v_mov_b32_e32 v4, s17
	v_add_co_u32_e32 v2, vcc, s16, v2
	v_addc_co_u32_e32 v3, vcc, v4, v3, vcc
	global_store_dword v[2:3], v82, off
.LBB186_15:
	s_or_b64 exec, exec, s[0:1]
	v_add_u32_e32 v2, 32, v1
	v_cmp_gt_u32_e32 vcc, s13, v2
	s_and_saveexec_b64 s[0:1], vcc
	s_cbranch_execz .LBB186_17
; %bb.16:
	v_add_u32_e32 v2, v0, v2
	v_mov_b32_e32 v3, 0
	v_lshlrev_b64 v[2:3], 2, v[2:3]
	v_mov_b32_e32 v4, s17
	v_add_co_u32_e32 v2, vcc, s16, v2
	v_addc_co_u32_e32 v3, vcc, v4, v3, vcc
	global_store_dword v[2:3], v83, off
.LBB186_17:
	s_or_b64 exec, exec, s[0:1]
	v_add_u32_e32 v2, 64, v1
	;; [unrolled: 14-line block ×3, first 2 shown]
	v_cmp_gt_u32_e32 vcc, s13, v1
	s_and_b64 exec, exec, vcc
	s_cbranch_execz .LBB186_21
; %bb.20:
	v_add_u32_e32 v0, v0, v1
	v_mov_b32_e32 v1, 0
	v_lshlrev_b64 v[0:1], 2, v[0:1]
	v_mov_b32_e32 v2, s17
	v_add_co_u32_e32 v0, vcc, s16, v0
	v_addc_co_u32_e32 v1, vcc, v2, v1, vcc
	global_store_dword v[0:1], v75, off
.LBB186_21:
	s_endpgm
	.section	.rodata,"a",@progbits
	.p2align	6, 0x0
	.amdhsa_kernel _ZL8moe_q8_0IfLb1EEvPKvS1_PT_PKiS5_S5_iiiiiii
		.amdhsa_group_segment_fixed_size 20160
		.amdhsa_private_segment_fixed_size 0
		.amdhsa_kernarg_size 76
		.amdhsa_user_sgpr_count 6
		.amdhsa_user_sgpr_private_segment_buffer 1
		.amdhsa_user_sgpr_dispatch_ptr 0
		.amdhsa_user_sgpr_queue_ptr 0
		.amdhsa_user_sgpr_kernarg_segment_ptr 1
		.amdhsa_user_sgpr_dispatch_id 0
		.amdhsa_user_sgpr_flat_scratch_init 0
		.amdhsa_user_sgpr_kernarg_preload_length 0
		.amdhsa_user_sgpr_kernarg_preload_offset 0
		.amdhsa_user_sgpr_private_segment_size 0
		.amdhsa_uses_dynamic_stack 0
		.amdhsa_system_sgpr_private_segment_wavefront_offset 0
		.amdhsa_system_sgpr_workgroup_id_x 1
		.amdhsa_system_sgpr_workgroup_id_y 1
		.amdhsa_system_sgpr_workgroup_id_z 0
		.amdhsa_system_sgpr_workgroup_info 0
		.amdhsa_system_vgpr_workitem_id 1
		.amdhsa_next_free_vgpr 124
		.amdhsa_next_free_sgpr 24
		.amdhsa_accum_offset 124
		.amdhsa_reserve_vcc 1
		.amdhsa_reserve_flat_scratch 0
		.amdhsa_float_round_mode_32 0
		.amdhsa_float_round_mode_16_64 0
		.amdhsa_float_denorm_mode_32 3
		.amdhsa_float_denorm_mode_16_64 3
		.amdhsa_dx10_clamp 1
		.amdhsa_ieee_mode 1
		.amdhsa_fp16_overflow 0
		.amdhsa_tg_split 0
		.amdhsa_exception_fp_ieee_invalid_op 0
		.amdhsa_exception_fp_denorm_src 0
		.amdhsa_exception_fp_ieee_div_zero 0
		.amdhsa_exception_fp_ieee_overflow 0
		.amdhsa_exception_fp_ieee_underflow 0
		.amdhsa_exception_fp_ieee_inexact 0
		.amdhsa_exception_int_div_zero 0
	.end_amdhsa_kernel
	.section	.text._ZL8moe_q8_0IfLb1EEvPKvS1_PT_PKiS5_S5_iiiiiii,"axG",@progbits,_ZL8moe_q8_0IfLb1EEvPKvS1_PT_PKiS5_S5_iiiiiii,comdat
.Lfunc_end186:
	.size	_ZL8moe_q8_0IfLb1EEvPKvS1_PT_PKiS5_S5_iiiiiii, .Lfunc_end186-_ZL8moe_q8_0IfLb1EEvPKvS1_PT_PKiS5_S5_iiiiiii
                                        ; -- End function
	.section	.AMDGPU.csdata,"",@progbits
; Kernel info:
; codeLenInByte = 4964
; NumSgprs: 28
; NumVgprs: 124
; NumAgprs: 0
; TotalNumVgprs: 124
; ScratchSize: 0
; MemoryBound: 0
; FloatMode: 240
; IeeeMode: 1
; LDSByteSize: 20160 bytes/workgroup (compile time only)
; SGPRBlocks: 3
; VGPRBlocks: 15
; NumSGPRsForWavesPerEU: 28
; NumVGPRsForWavesPerEU: 124
; AccumOffset: 124
; Occupancy: 3
; WaveLimiterHint : 1
; COMPUTE_PGM_RSRC2:SCRATCH_EN: 0
; COMPUTE_PGM_RSRC2:USER_SGPR: 6
; COMPUTE_PGM_RSRC2:TRAP_HANDLER: 0
; COMPUTE_PGM_RSRC2:TGID_X_EN: 1
; COMPUTE_PGM_RSRC2:TGID_Y_EN: 1
; COMPUTE_PGM_RSRC2:TGID_Z_EN: 0
; COMPUTE_PGM_RSRC2:TIDIG_COMP_CNT: 1
; COMPUTE_PGM_RSRC3_GFX90A:ACCUM_OFFSET: 30
; COMPUTE_PGM_RSRC3_GFX90A:TG_SPLIT: 0
	.section	.text._ZL8moe_q2_KIfLb0EEvPKvS1_PT_PKiS5_S5_iiiiiii,"axG",@progbits,_ZL8moe_q2_KIfLb0EEvPKvS1_PT_PKiS5_S5_iiiiiii,comdat
	.globl	_ZL8moe_q2_KIfLb0EEvPKvS1_PT_PKiS5_S5_iiiiiii ; -- Begin function _ZL8moe_q2_KIfLb0EEvPKvS1_PT_PKiS5_S5_iiiiiii
	.p2align	8
	.type	_ZL8moe_q2_KIfLb0EEvPKvS1_PT_PKiS5_S5_iiiiiii,@function
_ZL8moe_q2_KIfLb0EEvPKvS1_PT_PKiS5_S5_iiiiiii: ; @_ZL8moe_q2_KIfLb0EEvPKvS1_PT_PKiS5_S5_iiiiiii
; %bb.0:
	s_load_dwordx4 s[0:3], s[4:5], 0x18
	s_mov_b32 s8, s7
	s_mov_b32 s9, 0
	s_lshl_b64 s[10:11], s[8:9], 2
	s_waitcnt lgkmcnt(0)
	s_add_u32 s2, s2, s10
	s_addc_u32 s3, s3, s11
	s_load_dword s2, s[2:3], 0x0
	s_waitcnt lgkmcnt(0)
	s_cmpk_gt_u32 s2, 0xff
	s_cbranch_scc1 .LBB187_47
; %bb.1:
	s_load_dwordx2 s[10:11], s[4:5], 0x28
	s_lshl_b32 s3, s8, 3
	s_waitcnt lgkmcnt(0)
	s_load_dword s7, s[10:11], 0x0
	s_waitcnt lgkmcnt(0)
	s_cmp_gt_u32 s3, s7
	s_cbranch_scc1 .LBB187_47
; %bb.2:
	v_bfe_u32 v1, v0, 10, 10
	v_add_u32_e32 v2, s3, v1
	v_mov_b32_e32 v3, 0
	v_lshlrev_b64 v[2:3], 2, v[2:3]
	v_mov_b32_e32 v4, s1
	v_add_co_u32_e32 v2, vcc, s0, v2
	v_addc_co_u32_e32 v3, vcc, v4, v3, vcc
	global_load_dword v11, v[2:3], off
	s_load_dwordx2 s[12:13], s[4:5], 0x10
	s_load_dwordx2 s[14:15], s[4:5], 0x30
	s_load_dwordx4 s[8:11], s[4:5], 0x3c
	s_mov_b32 s16, 0
	s_lshl_b32 s24, s6, 7
	s_mov_b32 s17, s16
	s_waitcnt lgkmcnt(0)
	s_cmpk_lt_i32 s15, 0x100
	v_pk_mov_b32 v[64:65], s[16:17], s[16:17] op_sel:[0,1]
	v_pk_mov_b32 v[66:67], s[16:17], s[16:17] op_sel:[0,1]
	s_cbranch_scc1 .LBB187_38
; %bb.3:
	s_ashr_i32 s0, s15, 31
	s_lshr_b32 s0, s0, 24
	s_load_dwordx4 s[4:7], s[4:5], 0x0
	s_add_i32 s0, s15, s0
	s_ashr_i32 s25, s0, 8
	s_ashr_i32 s0, s9, 31
	s_lshr_b32 s0, s0, 27
	s_add_i32 s0, s9, s0
	s_mul_i32 s2, s2, s14
	s_ashr_i32 s9, s0, 5
	s_ashr_i32 s0, s2, 31
	s_waitcnt lgkmcnt(0)
	s_add_u32 s1, s4, s2
	s_mul_i32 s2, s25, s24
	s_addc_u32 s0, s5, s0
	s_mul_hi_i32 s3, s2, 0x54
	s_mulk_i32 s2, 0x54
	s_add_u32 s26, s1, s2
	s_addc_u32 s27, s0, s3
	s_lshl_b32 s1, s25, 3
	v_mov_b32_e32 v3, s1
	v_mad_i32_i24 v16, s25, v1, v3
	v_add_u32_e32 v18, s1, v16
	v_add_u32_e32 v20, s1, v18
	;; [unrolled: 1-line block ×9, first 2 shown]
	v_and_b32_e32 v13, 0x3ff, v0
	v_add_u32_e32 v36, s1, v34
	v_add_u32_e32 v38, s1, v36
	v_lshlrev_b32_e32 v3, 4, v1
	v_lshrrev_b32_e32 v4, 1, v13
	v_add_u32_e32 v40, s1, v38
	v_and_b32_e32 v46, 1, v13
	v_add_u32_e32 v4, v4, v3
	v_add_u32_e32 v42, s1, v40
	v_and_b32_e32 v5, 0x7f, v4
	v_lshlrev_b32_e32 v6, 2, v46
	v_lshrrev_b32_e32 v4, 2, v4
	v_add_u32_e32 v44, s1, v42
	v_mul_i32_i24_e32 v48, s25, v5
	v_lshl_or_b32 v5, v5, 3, v6
	v_and_b32_e32 v4, 28, v4
	s_movk_i32 s1, 0x5280
	v_add3_u32 v47, v5, v4, s1
	v_lshlrev_b32_e32 v4, 2, v1
	v_lshrrev_b32_e32 v49, 3, v13
	v_add_u32_e32 v5, v49, v4
	s_lshl_b32 s3, s25, 5
	v_and_b32_e32 v6, 7, v13
	v_add_u32_e32 v9, 32, v5
	v_mov_b32_e32 v51, s3
	v_cmp_lt_u32_e32 vcc, 3, v6
	v_lshlrev_b32_e32 v6, 2, v6
	s_movk_i32 s2, 0x4200
	v_mad_i32_i24 v56, s25, v5, v51
	v_and_b32_e32 v51, 0x3ffc, v9
	v_lshlrev_b32_e32 v2, 2, v13
	s_movk_i32 s0, 0x84
	v_mul_i32_i24_e32 v54, s25, v5
	v_and_b32_e32 v7, 0x1ffc, v5
	v_lshlrev_b32_e32 v8, 5, v5
	v_add3_u32 v64, v51, v6, s2
	v_add_u32_e32 v51, 64, v5
	v_add_u32_e32 v5, 0x60, v5
	v_and_b32_e32 v12, 60, v2
	v_mad_u32_u24 v15, v1, s0, v2
	v_and_b32_e32 v52, 12, v2
	v_and_b32_e32 v53, 0x3ffc, v51
	v_lshlrev_b32_e32 v70, 5, v51
	v_and_b32_e32 v51, 0x3ffc, v5
	v_and_b32_e32 v2, 28, v2
	v_cndmask_b32_e64 v50, 0, 1, vcc
	v_add3_u32 v7, v7, v6, s2
	v_add3_u32 v65, v53, v6, s2
	;; [unrolled: 1-line block ×3, first 2 shown]
	v_and_b32_e32 v51, 31, v13
	v_add_co_u32_e32 v62, vcc, s6, v2
	v_lshlrev_b32_e32 v2, 7, v1
	v_mul_i32_i24_e32 v14, s25, v1
	v_lshl_or_b32 v1, v51, 2, v2
	v_lshrrev_b32_e32 v10, 4, v13
	v_mov_b32_e32 v53, s7
	v_add_u32_e32 v51, 0x56a0, v1
	v_or_b32_e32 v1, v4, v13
	v_mov_b32_e32 v4, 0x5aa0
	v_addc_co_u32_e32 v63, vcc, 0, v53, vcc
	v_lshl_add_u32 v53, v1, 2, v4
	v_lshlrev_b32_e32 v1, 3, v13
	v_lshlrev_b32_e32 v57, 2, v10
	v_add_u32_e32 v4, 32, v13
	v_add3_u32 v57, v57, v1, s1
	v_mov_b32_e32 v1, 0x1080
	v_mad_u32_u24 v59, v13, s0, v1
	v_lshrrev_b32_e32 v1, 2, v4
	v_lshlrev_b32_e32 v61, 3, v4
	v_and_b32_e32 v1, 0x7c, v1
	v_add_u32_e32 v66, 64, v13
	v_add3_u32 v61, v61, v1, s1
	v_mov_b32_e32 v1, 0x2100
	v_mad_u32_u24 v69, v13, s0, v1
	v_lshrrev_b32_e32 v1, 2, v66
	v_lshlrev_b32_e32 v67, 3, v66
	v_and_b32_e32 v1, 0x7c, v1
	s_abs_i32 s2, s11
	v_add3_u32 v71, v67, v1, s1
	v_cvt_f32_u32_e32 v67, s2
	v_add_u32_e32 v77, 0x60, v13
	v_mov_b32_e32 v1, 0x3180
	v_mad_u32_u24 v72, v13, s0, v1
	v_lshrrev_b32_e32 v1, 2, v77
	v_lshlrev_b32_e32 v68, 3, v77
	v_and_b32_e32 v1, 0x7c, v1
	v_add3_u32 v73, v68, v1, s1
	v_rcp_iflag_f32_e32 v1, v67
	s_sub_i32 s0, 0, s2
	s_waitcnt vmcnt(0)
	v_sub_u32_e32 v68, 0, v11
	v_max_i32_e32 v68, v11, v68
	v_mul_f32_e32 v1, 0x4f7ffffe, v1
	v_cvt_u32_f32_e32 v1, v1
	v_xor_b32_e32 v67, s11, v11
	s_add_u32 s4, s6, 0x90
	v_ashrrev_i32_e32 v67, 31, v67
	v_mul_lo_u32 v78, s0, v1
	v_mul_hi_u32 v78, v1, v78
	v_add_u32_e32 v1, v1, v78
	v_mul_hi_u32 v1, v68, v1
	v_mul_lo_u32 v78, v1, s2
	v_sub_u32_e32 v68, v68, v78
	v_add_u32_e32 v78, 1, v1
	v_cmp_le_u32_e64 s[0:1], s2, v68
	v_cndmask_b32_e64 v1, v1, v78, s[0:1]
	v_subrev_u32_e32 v78, s2, v68
	v_cndmask_b32_e64 v68, v68, v78, s[0:1]
	v_add_u32_e32 v78, 1, v1
	v_cmp_le_u32_e64 s[0:1], s2, v68
	v_cndmask_b32_e64 v1, v1, v78, s[0:1]
	s_addc_u32 s5, s7, 0
	v_xor_b32_e32 v1, v1, v67
	s_add_u32 s18, s6, 0x120
	v_sub_u32_e32 v1, v1, v67
	s_addc_u32 s19, s7, 0
	v_lshlrev_b32_e32 v9, 5, v9
	v_add_u32_e32 v58, s3, v56
	v_lshlrev_b32_e32 v5, 5, v5
	v_lshrrev_b32_e32 v75, 3, v66
	v_lshrrev_b32_e32 v76, 3, v77
	v_mul_lo_u32 v68, v1, s9
	s_add_u32 s20, s6, 0x1b0
	v_and_b32_e32 v77, 0x1fc, v77
	v_lshlrev_b32_e32 v78, 5, v13
	v_and_b32_e32 v79, 0x1fc, v66
	v_and_b32_e32 v80, 0x1fc, v4
	;; [unrolled: 1-line block ×3, first 2 shown]
	v_pk_mov_b32 v[66:67], s[16:17], s[16:17] op_sel:[0,1]
	s_movk_i32 s14, 0x54
	v_add_u32_e32 v17, 0x420, v15
	v_add_u32_e32 v19, 0x840, v15
	;; [unrolled: 1-line block ×16, first 2 shown]
	v_cmp_gt_u32_e32 vcc, 4, v13
	v_mul_u32_u24_e32 v55, 0x84, v13
	v_lshrrev_b32_e32 v74, 3, v4
	v_cmp_gt_i32_e64 s[0:1], s8, v1
	v_ashrrev_i32_e32 v1, 31, v68
	s_addc_u32 s21, s7, 0
	v_add_u32_e32 v82, 0x56a0, v2
	v_add_u32_e32 v83, 0x5aa0, v3
	;; [unrolled: 1-line block ×14, first 2 shown]
	s_mov_b32 s17, 0x1010101
	v_mov_b32_e32 v96, 4
	v_mov_b32_e32 v97, 15
	v_pk_mov_b32 v[64:65], v[66:67], v[66:67] op_sel:[0,1]
	s_branch .LBB187_5
.LBB187_4:                              ;   in Loop: Header=BB187_5 Depth=1
	s_add_i32 s16, s16, 2
	s_cmp_ge_i32 s16, s25
	s_cbranch_scc1 .LBB187_38
.LBB187_5:                              ; =>This Loop Header: Depth=1
                                        ;     Child Loop BB187_12 Depth 2
                                        ;     Child Loop BB187_20 Depth 2
	;; [unrolled: 1-line block ×4, first 2 shown]
	s_mul_i32 s2, s16, 0x54
	s_mul_hi_u32 s3, s16, 0x54
	s_add_u32 s2, s26, s2
	s_addc_u32 s3, s27, s3
	v_pk_mov_b32 v[2:3], s[2:3], s[2:3] op_sel:[0,1]
	v_mad_u64_u32 v[4:5], s[2:3], v10, s14, v[2:3]
	v_add_co_u32_e64 v4, s[2:3], v4, v12
	v_addc_co_u32_e64 v5, s[2:3], 0, v5, s[2:3]
	v_add_co_u32_e64 v4, s[2:3], 16, v4
	v_addc_co_u32_e64 v5, s[2:3], 0, v5, s[2:3]
	v_mad_u64_u32 v[6:7], s[2:3], v14, s14, v[4:5]
	v_mad_u64_u32 v[8:9], s[2:3], v16, s14, v[4:5]
	;; [unrolled: 1-line block ×8, first 2 shown]
	global_load_dword v70, v[6:7], off
	global_load_dword v110, v[8:9], off
	;; [unrolled: 1-line block ×8, first 2 shown]
	v_mad_u64_u32 v[6:7], s[2:3], v30, s14, v[4:5]
	v_mad_u64_u32 v[8:9], s[2:3], v32, s14, v[4:5]
	;; [unrolled: 1-line block ×8, first 2 shown]
	global_load_dword v108, v[6:7], off
	global_load_dword v109, v[8:9], off
	;; [unrolled: 1-line block ×8, first 2 shown]
	v_mad_u64_u32 v[4:5], s[2:3], v48, s14, v[2:3]
	v_mad_u64_u32 v[4:5], s[2:3], v46, s14, v[4:5]
	;; [unrolled: 1-line block ×3, first 2 shown]
	v_add_co_u32_e64 v2, s[2:3], v2, v52
	v_addc_co_u32_e64 v3, s[2:3], 0, v3, s[2:3]
	v_mad_u64_u32 v[6:7], s[2:3], v54, s14, v[2:3]
	v_mad_u64_u32 v[8:9], s[2:3], v56, s14, v[2:3]
	;; [unrolled: 1-line block ×4, first 2 shown]
	global_load_dword v100, v[4:5], off offset:80
	global_load_dword v101, v[6:7], off
	global_load_dword v102, v[8:9], off
	;; [unrolled: 1-line block ×3, first 2 shown]
	s_lshl_b32 s29, s16, 8
	global_load_dword v2, v[2:3], off
	s_cmp_lt_i32 s29, s15
	s_waitcnt vmcnt(20)
	ds_write_b32 v15, v70
	s_waitcnt vmcnt(19)
	ds_write_b32 v17, v110
	s_waitcnt vmcnt(18)
	ds_write_b32 v19, v111
	s_waitcnt vmcnt(17)
	ds_write_b32 v21, v112
	s_waitcnt vmcnt(16)
	ds_write_b32 v23, v113
	s_waitcnt vmcnt(15)
	ds_write_b32 v25, v114
	s_waitcnt vmcnt(14)
	ds_write_b32 v27, v115
	s_waitcnt vmcnt(13)
	ds_write_b32 v29, v116
	s_waitcnt vmcnt(12)
	ds_write_b32 v31, v108
	s_waitcnt vmcnt(11)
	ds_write_b32 v33, v109
	s_waitcnt vmcnt(10)
	ds_write_b32 v35, v117
	s_waitcnt vmcnt(9)
	ds_write_b32 v37, v118
	s_waitcnt vmcnt(8)
	ds_write_b32 v39, v119
	s_waitcnt vmcnt(7)
	ds_write_b32 v41, v120
	s_waitcnt vmcnt(6)
	ds_write_b32 v43, v121
	s_waitcnt vmcnt(5)
	ds_write_b32 v45, v122
	s_waitcnt vmcnt(4)
	ds_write_b32 v47, v100
	s_waitcnt vmcnt(3)
	ds_write_b32 v92, v101
	s_waitcnt vmcnt(2)
	ds_write_b32 v93, v102
	s_waitcnt vmcnt(1)
	ds_write_b32 v94, v103
	s_waitcnt vmcnt(0)
	ds_write_b32 v95, v2
	s_cbranch_scc0 .LBB187_4
; %bb.6:                                ;   in Loop: Header=BB187_5 Depth=1
	s_lshl_b32 s28, s16, 3
	v_add_u32_e32 v2, s28, v49
	v_cmp_gt_i32_e64 s[2:3], s9, v2
	s_and_b64 s[22:23], s[0:1], s[2:3]
	s_and_saveexec_b64 s[2:3], s[22:23]
	s_cbranch_execz .LBB187_8
; %bb.7:                                ;   in Loop: Header=BB187_5 Depth=1
	v_add_u32_e32 v2, v68, v2
	v_mad_i64_i32 v[2:3], s[22:23], v2, 36, v[62:63]
	global_load_dword v2, v[2:3], off offset:4
	s_waitcnt vmcnt(0)
	ds_write_b32 v51, v2
.LBB187_8:                              ;   in Loop: Header=BB187_5 Depth=1
	s_or_b64 exec, exec, s[2:3]
	s_and_saveexec_b64 s[22:23], vcc
	s_cbranch_execz .LBB187_11
; %bb.9:                                ;   in Loop: Header=BB187_5 Depth=1
	v_or_b32_e32 v2, s28, v13
	v_cmp_gt_i32_e64 s[2:3], s9, v2
	s_and_b64 s[2:3], s[0:1], s[2:3]
	s_and_b64 exec, exec, s[2:3]
	s_cbranch_execz .LBB187_11
; %bb.10:                               ;   in Loop: Header=BB187_5 Depth=1
	v_add_u32_e32 v2, v68, v2
	v_mad_i64_i32 v[2:3], s[2:3], v2, 36, s[6:7]
	global_load_dword v2, v[2:3], off
	s_waitcnt vmcnt(0)
	v_cvt_f32_f16_e32 v2, v2
	ds_write_b32 v53, v2
.LBB187_11:                             ;   in Loop: Header=BB187_5 Depth=1
	s_or_b64 exec, exec, s[22:23]
	s_mov_b32 s2, 0
	s_mov_b32 s3, -2
	v_mov_b32_e32 v98, v83
	v_mov_b32_e32 v99, v82
	s_waitcnt lgkmcnt(0)
	s_barrier
.LBB187_12:                             ;   Parent Loop BB187_5 Depth=1
                                        ; =>  This Inner Loop Header: Depth=2
	s_and_b32 s23, s2, -16
	s_add_i32 s22, s3, 2
	v_add_u32_e32 v100, s23, v78
	s_and_b32 s23, s22, 0x3ffffff8
	s_lshr_b32 s30, s22, 2
	s_lshl_b32 s23, s23, 2
	s_and_b32 s30, s30, 0x3ffffffc
	v_add3_u32 v112, v81, s3, v100
	v_add3_u32 v116, v80, s3, v100
	;; [unrolled: 1-line block ×4, first 2 shown]
	v_add_u32_e32 v106, s23, v55
	v_add_u32_e32 v113, s30, v57
	;; [unrolled: 1-line block ×8, first 2 shown]
	ds_read_b32 v70, v98
	ds_read_b128 v[6:9], v99
	ds_read_b128 v[2:5], v99 offset:16
	ds_read2_b32 v[100:101], v106 offset1:1
	ds_read2_b32 v[102:103], v106 offset0:2 offset1:3
	ds_read2_b32 v[104:105], v106 offset0:4 offset1:5
	ds_read2_b32 v[106:107], v106 offset0:6 offset1:7
	ds_read2_b32 v[108:109], v114 offset1:1
	ds_read2_b32 v[110:111], v114 offset0:2 offset1:3
	ds_read_b32 v146, v113
	ds_read_u16 v147, v112 offset:16898
	ds_read2_b32 v[112:113], v114 offset0:4 offset1:5
	ds_read2_b32 v[114:115], v114 offset0:6 offset1:7
	ds_read_b32 v148, v117
	ds_read_u16 v149, v116 offset:17922
	ds_read2_b32 v[116:117], v122 offset1:1
	ds_read2_b32 v[118:119], v122 offset0:2 offset1:3
	ds_read2_b32 v[120:121], v122 offset0:4 offset1:5
	;; [unrolled: 1-line block ×3, first 2 shown]
	ds_read2_b32 v[124:125], v130 offset1:1
	ds_read2_b32 v[126:127], v130 offset0:2 offset1:3
	ds_read_b32 v150, v129
	ds_read_u16 v151, v128 offset:18946
	ds_read2_b32 v[128:129], v130 offset0:4 offset1:5
	ds_read2_b32 v[130:131], v130 offset0:6 offset1:7
	ds_read_b32 v145, v145
	ds_read_u16 v144, v144 offset:19970
	s_waitcnt lgkmcnt(14)
	v_ashrrev_i32_e32 v152, s22, v100
	v_ashrrev_i32_e32 v153, s22, v101
	;; [unrolled: 1-line block ×8, first 2 shown]
	v_bfe_u32 v160, v147, 4, 4
	v_lshrrev_b32_sdwa v162, v96, v147 dst_sel:DWORD dst_unused:UNUSED_PAD src0_sel:DWORD src1_sel:BYTE_1
	s_waitcnt lgkmcnt(12)
	v_bfe_u32 v163, v149, 4, 4
	v_lshrrev_b32_sdwa v165, v96, v149 dst_sel:DWORD dst_unused:UNUSED_PAD src0_sel:DWORD src1_sel:BYTE_1
	v_cvt_f32_f16_e32 v100, v146
	v_cvt_f32_f16_sdwa v102, v146 dst_sel:DWORD dst_unused:UNUSED_PAD src0_sel:WORD_1
	s_waitcnt lgkmcnt(4)
	v_bfe_u32 v146, v151, 4, 4
	s_waitcnt lgkmcnt(0)
	v_bfe_u32 v167, v144, 4, 4
	v_mov_b32_e32 v133, 0
	v_mov_b32_e32 v136, 0
	;; [unrolled: 1-line block ×4, first 2 shown]
	v_cvt_f32_f16_e32 v105, v145
	v_cvt_f32_f16_e32 v104, v150
	v_cvt_f32_f16_sdwa v107, v145 dst_sel:DWORD dst_unused:UNUSED_PAD src0_sel:WORD_1
	v_cvt_f32_f16_sdwa v106, v150 dst_sel:DWORD dst_unused:UNUSED_PAD src0_sel:WORD_1
	v_and_b32_e32 v145, 0x3030303, v152
	v_and_b32_e32 v150, 0x3030303, v153
	;; [unrolled: 1-line block ×8, first 2 shown]
	v_mul_lo_u32 v158, v160, s17
	v_mul_lo_u32 v159, v162, s17
	v_mul_lo_u32 v160, v163, s17
	v_mul_lo_u32 v162, v165, s17
	v_mul_lo_u32 v146, v146, s17
	v_mul_lo_u32 v165, v167, s17
	v_ashrrev_i32_e32 v108, s22, v108
	v_ashrrev_i32_e32 v124, s22, v124
	v_dot4c_i32_i8_e32 v133, v158, v6
	v_dot4c_i32_i8_e32 v136, v160, v6
	v_dot4c_i32_i8_e32 v139, v146, v6
	v_dot4c_i32_i8_e32 v142, v165, v6
	v_mov_b32_e32 v135, 0
	v_mov_b32_e32 v141, 0
	v_ashrrev_i32_e32 v109, s22, v109
	v_ashrrev_i32_e32 v112, s22, v112
	;; [unrolled: 1-line block ×5, first 2 shown]
	v_and_b32_e32 v108, 0x3030303, v108
	v_and_b32_e32 v124, 0x3030303, v124
	v_dot4c_i32_i8_e32 v133, v158, v7
	v_dot4c_i32_i8_e32 v136, v160, v7
	;; [unrolled: 1-line block ×4, first 2 shown]
	v_mov_b32_e32 v132, 0
	v_mov_b32_e32 v137, 0
	;; [unrolled: 1-line block ×4, first 2 shown]
	v_ashrrev_i32_e32 v110, s22, v110
	v_ashrrev_i32_e32 v113, s22, v113
	;; [unrolled: 1-line block ×4, first 2 shown]
	v_lshrrev_b32_sdwa v166, v96, v151 dst_sel:DWORD dst_unused:UNUSED_PAD src0_sel:DWORD src1_sel:BYTE_1
	v_ashrrev_i32_e32 v126, s22, v126
	v_ashrrev_i32_e32 v129, s22, v129
	v_lshrrev_b32_sdwa v169, v96, v144 dst_sel:DWORD dst_unused:UNUSED_PAD src0_sel:DWORD src1_sel:BYTE_1
	v_and_b32_e32 v109, 0x3030303, v109
	v_and_b32_e32 v112, 0x3030303, v112
	;; [unrolled: 1-line block ×5, first 2 shown]
	v_dot4c_i32_i8_e32 v135, v108, v6
	v_dot4c_i32_i8_e32 v141, v124, v6
	;; [unrolled: 1-line block ×6, first 2 shown]
	v_mov_b32_e32 v134, 0
	v_mov_b32_e32 v140, 0
	v_ashrrev_i32_e32 v111, s22, v111
	v_ashrrev_i32_e32 v114, s22, v114
	;; [unrolled: 1-line block ×6, first 2 shown]
	v_and_b32_e32 v110, 0x3030303, v110
	v_and_b32_e32 v113, 0x3030303, v113
	;; [unrolled: 1-line block ×4, first 2 shown]
	v_mul_lo_u32 v163, v166, s17
	v_and_b32_e32 v126, 0x3030303, v126
	v_and_b32_e32 v129, 0x3030303, v129
	v_mul_lo_u32 v166, v169, s17
	v_dot4c_i32_i8_e32 v132, v145, v6
	v_dot4c_i32_i8_e32 v137, v112, v2
	;; [unrolled: 1-line block ×10, first 2 shown]
	v_ashrrev_i32_e32 v115, s22, v115
	v_ashrrev_i32_e32 v119, s22, v119
	;; [unrolled: 1-line block ×4, first 2 shown]
	v_and_b32_e32 v111, 0x3030303, v111
	v_and_b32_e32 v114, 0x3030303, v114
	;; [unrolled: 1-line block ×6, first 2 shown]
	v_dot4c_i32_i8_e32 v134, v154, v2
	v_dot4c_i32_i8_e32 v140, v120, v2
	;; [unrolled: 1-line block ×12, first 2 shown]
	v_and_b32_e32 v164, 15, v149
	v_ashrrev_i32_e32 v123, s22, v123
	v_and_b32_e32 v168, 15, v144
	v_and_b32_e32 v115, 0x3030303, v115
	;; [unrolled: 1-line block ×5, first 2 shown]
	v_dot4c_i32_i8_e32 v134, v155, v3
	v_dot4c_i32_i8_e32 v140, v121, v3
	;; [unrolled: 1-line block ×12, first 2 shown]
	s_add_i32 s2, s2, 2
	v_and_b32_e32 v161, 15, v147
	v_and_b32_sdwa v149, v149, v97 dst_sel:DWORD dst_unused:UNUSED_PAD src0_sel:BYTE_1 src1_sel:DWORD
	v_cvt_f32_f16_e32 v101, v148
	v_cvt_f32_f16_sdwa v103, v148 dst_sel:DWORD dst_unused:UNUSED_PAD src0_sel:WORD_1
	v_and_b32_e32 v148, 15, v151
	v_and_b32_sdwa v144, v144, v97 dst_sel:DWORD dst_unused:UNUSED_PAD src0_sel:BYTE_1 src1_sel:DWORD
	v_and_b32_e32 v123, 0x3030303, v123
	v_dot4c_i32_i8_e32 v134, v156, v4
	v_dot4c_i32_i8_e32 v140, v122, v4
	;; [unrolled: 1-line block ×6, first 2 shown]
	v_mul_lo_u32 v8, v164, v135
	v_mul_lo_u32 v110, v168, v141
	v_dot4c_i32_i8_e32 v133, v159, v4
	v_dot4c_i32_i8_e32 v136, v162, v4
	v_dot4c_i32_i8_e32 v139, v163, v4
	v_dot4c_i32_i8_e32 v142, v166, v4
	s_mov_b32 s3, s22
	s_cmp_lt_u32 s22, 6
	v_and_b32_sdwa v147, v147, v97 dst_sel:DWORD dst_unused:UNUSED_PAD src0_sel:BYTE_1 src1_sel:DWORD
	v_and_b32_sdwa v151, v151, v97 dst_sel:DWORD dst_unused:UNUSED_PAD src0_sel:BYTE_1 src1_sel:DWORD
	v_dot4c_i32_i8_e32 v134, v157, v5
	v_dot4c_i32_i8_e32 v140, v123, v5
	v_mul_lo_u32 v6, v161, v132
	v_mul_lo_u32 v108, v148, v138
	v_mad_u64_u32 v[8:9], s[22:23], v149, v137, v[8:9]
	v_mad_u64_u32 v[2:3], s[22:23], v144, v143, v[110:111]
	v_dot4c_i32_i8_e32 v133, v159, v5
	v_dot4c_i32_i8_e32 v136, v162, v5
	;; [unrolled: 1-line block ×4, first 2 shown]
	v_mad_u64_u32 v[6:7], s[22:23], v147, v134, v[6:7]
	v_mad_u64_u32 v[108:109], s[22:23], v151, v140, v[108:109]
	v_cvt_f32_i32_e32 v9, v2
	v_cvt_f32_i32_e32 v3, v136
	;; [unrolled: 1-line block ×8, first 2 shown]
	v_pk_mul_f32 v[2:3], v[102:103], v[2:3]
	v_pk_mul_f32 v[4:5], v[106:107], v[4:5]
	v_pk_fma_f32 v[2:3], v[6:7], v[100:101], v[2:3] neg_lo:[0,0,1] neg_hi:[0,0,1]
	v_pk_fma_f32 v[4:5], v[8:9], v[104:105], v[4:5] neg_lo:[0,0,1] neg_hi:[0,0,1]
	v_add_u32_e32 v99, 32, v99
	v_add_u32_e32 v98, 4, v98
	v_pk_fma_f32 v[66:67], v[70:71], v[2:3], v[66:67] op_sel_hi:[0,1,1]
	v_pk_fma_f32 v[64:65], v[70:71], v[4:5], v[64:65] op_sel_hi:[0,1,1]
	s_cbranch_scc1 .LBB187_12
; %bb.13:                               ;   in Loop: Header=BB187_5 Depth=1
	s_or_b32 s2, s29, 0x80
	s_cmp_ge_i32 s2, s15
	s_barrier
	s_cbranch_scc1 .LBB187_4
; %bb.14:                               ;   in Loop: Header=BB187_5 Depth=1
	v_add_u32_e32 v2, s28, v74
	v_cmp_gt_i32_e64 s[2:3], s9, v2
	s_and_b64 s[22:23], s[0:1], s[2:3]
	s_and_saveexec_b64 s[2:3], s[22:23]
	s_cbranch_execz .LBB187_16
; %bb.15:                               ;   in Loop: Header=BB187_5 Depth=1
	v_add_u32_e32 v2, v68, v2
	v_mad_i64_i32 v[2:3], s[22:23], v2, 36, v[62:63]
	global_load_dword v2, v[2:3], off offset:4
	s_waitcnt vmcnt(0)
	ds_write_b32 v51, v2
.LBB187_16:                             ;   in Loop: Header=BB187_5 Depth=1
	s_or_b64 exec, exec, s[2:3]
	s_and_saveexec_b64 s[22:23], vcc
	s_cbranch_execz .LBB187_19
; %bb.17:                               ;   in Loop: Header=BB187_5 Depth=1
	v_or_b32_e32 v2, s28, v13
	v_or_b32_e32 v3, 4, v2
	v_cmp_gt_i32_e64 s[2:3], s9, v3
	s_and_b64 s[2:3], s[0:1], s[2:3]
	s_and_b64 exec, exec, s[2:3]
	s_cbranch_execz .LBB187_19
; %bb.18:                               ;   in Loop: Header=BB187_5 Depth=1
	v_ashrrev_i32_e32 v3, 31, v2
	v_add_co_u32_e64 v2, s[2:3], v68, v2
	v_addc_co_u32_e64 v4, s[2:3], v1, v3, s[2:3]
	v_mad_u64_u32 v[2:3], s[2:3], v2, 36, s[4:5]
	v_mad_i32_i24 v3, v4, 36, v3
	global_load_dword v2, v[2:3], off
	s_waitcnt vmcnt(0)
	v_cvt_f32_f16_e32 v2, v2
	ds_write_b32 v53, v2
.LBB187_19:                             ;   in Loop: Header=BB187_5 Depth=1
	s_or_b64 exec, exec, s[22:23]
	s_mov_b32 s2, 8
	s_mov_b32 s3, 0
	v_mov_b32_e32 v98, v82
	v_mov_b32_e32 v99, v83
	s_waitcnt lgkmcnt(0)
	s_barrier
.LBB187_20:                             ;   Parent Loop BB187_5 Depth=1
                                        ; =>  This Inner Loop Header: Depth=2
	s_add_i32 s22, s3, 8
	s_and_b32 s23, s2, -16
	v_add_u32_e32 v100, s3, v78
	s_and_b32 s30, s22, 0x3ffffff8
	s_lshr_b32 s31, s22, 2
	v_add3_u32 v112, v87, s23, v100
	v_add3_u32 v116, v86, s23, v100
	;; [unrolled: 1-line block ×4, first 2 shown]
	s_lshl_b32 s23, s30, 2
	s_and_b32 s30, s31, 0x3ffffffc
	v_add_u32_e32 v106, s23, v55
	v_add_u32_e32 v113, s30, v57
	;; [unrolled: 1-line block ×8, first 2 shown]
	ds_read_b32 v70, v99
	ds_read_b128 v[6:9], v98
	ds_read_b128 v[2:5], v98 offset:16
	ds_read2_b32 v[100:101], v106 offset1:1
	ds_read2_b32 v[102:103], v106 offset0:2 offset1:3
	ds_read2_b32 v[104:105], v106 offset0:4 offset1:5
	ds_read2_b32 v[106:107], v106 offset0:6 offset1:7
	ds_read2_b32 v[108:109], v114 offset1:1
	ds_read2_b32 v[110:111], v114 offset0:2 offset1:3
	ds_read_b32 v146, v113
	ds_read_u16 v147, v112
	ds_read2_b32 v[112:113], v114 offset0:4 offset1:5
	ds_read2_b32 v[114:115], v114 offset0:6 offset1:7
	ds_read_b32 v148, v117
	ds_read_u16 v149, v116
	ds_read2_b32 v[116:117], v122 offset1:1
	ds_read2_b32 v[118:119], v122 offset0:2 offset1:3
	ds_read2_b32 v[120:121], v122 offset0:4 offset1:5
	;; [unrolled: 1-line block ×3, first 2 shown]
	ds_read2_b32 v[124:125], v130 offset1:1
	ds_read2_b32 v[126:127], v130 offset0:2 offset1:3
	ds_read_b32 v150, v129
	ds_read_u16 v151, v128
	ds_read2_b32 v[128:129], v130 offset0:4 offset1:5
	ds_read2_b32 v[130:131], v130 offset0:6 offset1:7
	ds_read_b32 v145, v145
	ds_read_u16 v144, v144
	s_waitcnt lgkmcnt(14)
	v_ashrrev_i32_e32 v152, s3, v100
	v_ashrrev_i32_e32 v153, s3, v101
	;; [unrolled: 1-line block ×8, first 2 shown]
	v_bfe_u32 v160, v147, 4, 4
	v_lshrrev_b32_sdwa v162, v96, v147 dst_sel:DWORD dst_unused:UNUSED_PAD src0_sel:DWORD src1_sel:BYTE_1
	s_waitcnt lgkmcnt(12)
	v_bfe_u32 v163, v149, 4, 4
	v_lshrrev_b32_sdwa v165, v96, v149 dst_sel:DWORD dst_unused:UNUSED_PAD src0_sel:DWORD src1_sel:BYTE_1
	v_cvt_f32_f16_e32 v100, v146
	v_cvt_f32_f16_sdwa v102, v146 dst_sel:DWORD dst_unused:UNUSED_PAD src0_sel:WORD_1
	s_waitcnt lgkmcnt(4)
	v_bfe_u32 v146, v151, 4, 4
	s_waitcnt lgkmcnt(0)
	v_bfe_u32 v167, v144, 4, 4
	v_mov_b32_e32 v133, 0
	v_mov_b32_e32 v136, 0
	v_mov_b32_e32 v139, 0
	v_mov_b32_e32 v142, 0
	v_cvt_f32_f16_e32 v105, v145
	v_cvt_f32_f16_e32 v104, v150
	v_cvt_f32_f16_sdwa v107, v145 dst_sel:DWORD dst_unused:UNUSED_PAD src0_sel:WORD_1
	v_cvt_f32_f16_sdwa v106, v150 dst_sel:DWORD dst_unused:UNUSED_PAD src0_sel:WORD_1
	v_and_b32_e32 v145, 0x3030303, v152
	v_and_b32_e32 v150, 0x3030303, v153
	;; [unrolled: 1-line block ×8, first 2 shown]
	v_mul_lo_u32 v158, v160, s17
	v_mul_lo_u32 v159, v162, s17
	;; [unrolled: 1-line block ×6, first 2 shown]
	v_ashrrev_i32_e32 v108, s3, v108
	v_dot4c_i32_i8_e32 v133, v158, v6
	v_dot4c_i32_i8_e32 v136, v160, v6
	;; [unrolled: 1-line block ×4, first 2 shown]
	v_mov_b32_e32 v132, 0
	v_mov_b32_e32 v135, 0
	v_ashrrev_i32_e32 v109, s3, v109
	v_ashrrev_i32_e32 v112, s3, v112
	v_ashrrev_i32_e32 v116, s3, v116
	v_ashrrev_i32_e32 v124, s3, v124
	v_and_b32_e32 v108, 0x3030303, v108
	v_dot4c_i32_i8_e32 v133, v158, v7
	v_dot4c_i32_i8_e32 v136, v160, v7
	;; [unrolled: 1-line block ×4, first 2 shown]
	v_mov_b32_e32 v134, 0
	v_mov_b32_e32 v137, 0
	;; [unrolled: 1-line block ×4, first 2 shown]
	v_ashrrev_i32_e32 v110, s3, v110
	v_ashrrev_i32_e32 v113, s3, v113
	;; [unrolled: 1-line block ×4, first 2 shown]
	v_lshrrev_b32_sdwa v166, v96, v151 dst_sel:DWORD dst_unused:UNUSED_PAD src0_sel:DWORD src1_sel:BYTE_1
	v_ashrrev_i32_e32 v125, s3, v125
	v_ashrrev_i32_e32 v128, s3, v128
	v_lshrrev_b32_sdwa v169, v96, v144 dst_sel:DWORD dst_unused:UNUSED_PAD src0_sel:DWORD src1_sel:BYTE_1
	v_and_b32_e32 v109, 0x3030303, v109
	v_and_b32_e32 v112, 0x3030303, v112
	;; [unrolled: 1-line block ×4, first 2 shown]
	v_dot4c_i32_i8_e32 v132, v145, v6
	v_dot4c_i32_i8_e32 v135, v108, v6
	;; [unrolled: 1-line block ×6, first 2 shown]
	v_mov_b32_e32 v140, 0
	v_mov_b32_e32 v143, 0
	v_ashrrev_i32_e32 v111, s3, v111
	v_ashrrev_i32_e32 v114, s3, v114
	;; [unrolled: 1-line block ×6, first 2 shown]
	v_and_b32_e32 v110, 0x3030303, v110
	v_and_b32_e32 v113, 0x3030303, v113
	;; [unrolled: 1-line block ×4, first 2 shown]
	v_mul_lo_u32 v163, v166, s17
	v_and_b32_e32 v125, 0x3030303, v125
	v_and_b32_e32 v128, 0x3030303, v128
	v_mul_lo_u32 v166, v169, s17
	v_dot4c_i32_i8_e32 v134, v154, v2
	v_dot4c_i32_i8_e32 v137, v112, v2
	;; [unrolled: 1-line block ×10, first 2 shown]
	v_ashrrev_i32_e32 v115, s3, v115
	v_ashrrev_i32_e32 v119, s3, v119
	;; [unrolled: 1-line block ×5, first 2 shown]
	v_and_b32_e32 v111, 0x3030303, v111
	v_and_b32_e32 v114, 0x3030303, v114
	;; [unrolled: 1-line block ×6, first 2 shown]
	v_dot4c_i32_i8_e32 v140, v120, v2
	v_dot4c_i32_i8_e32 v143, v128, v2
	;; [unrolled: 1-line block ×12, first 2 shown]
	v_and_b32_e32 v161, 15, v147
	v_and_b32_e32 v164, 15, v149
	v_ashrrev_i32_e32 v123, s3, v123
	v_ashrrev_i32_e32 v131, s3, v131
	v_and_b32_e32 v115, 0x3030303, v115
	v_and_b32_e32 v119, 0x3030303, v119
	;; [unrolled: 1-line block ×5, first 2 shown]
	v_dot4c_i32_i8_e32 v140, v121, v3
	v_dot4c_i32_i8_e32 v143, v129, v3
	;; [unrolled: 1-line block ×12, first 2 shown]
	s_add_i32 s2, s2, 2
	v_and_b32_sdwa v147, v147, v97 dst_sel:DWORD dst_unused:UNUSED_PAD src0_sel:BYTE_1 src1_sel:DWORD
	v_and_b32_sdwa v149, v149, v97 dst_sel:DWORD dst_unused:UNUSED_PAD src0_sel:BYTE_1 src1_sel:DWORD
	v_cvt_f32_f16_e32 v101, v148
	v_cvt_f32_f16_sdwa v103, v148 dst_sel:DWORD dst_unused:UNUSED_PAD src0_sel:WORD_1
	v_and_b32_e32 v148, 15, v151
	v_and_b32_e32 v168, 15, v144
	s_add_i32 s3, s3, 2
	v_and_b32_e32 v123, 0x3030303, v123
	v_and_b32_e32 v131, 0x3030303, v131
	v_dot4c_i32_i8_e32 v140, v122, v4
	v_dot4c_i32_i8_e32 v143, v130, v4
	;; [unrolled: 1-line block ×6, first 2 shown]
	v_mul_lo_u32 v6, v161, v132
	v_mul_lo_u32 v8, v164, v135
	v_dot4c_i32_i8_e32 v133, v159, v4
	v_dot4c_i32_i8_e32 v136, v162, v4
	;; [unrolled: 1-line block ×4, first 2 shown]
	v_and_b32_sdwa v151, v151, v97 dst_sel:DWORD dst_unused:UNUSED_PAD src0_sel:BYTE_1 src1_sel:DWORD
	v_and_b32_sdwa v144, v144, v97 dst_sel:DWORD dst_unused:UNUSED_PAD src0_sel:BYTE_1 src1_sel:DWORD
	s_cmp_lt_u32 s22, 14
	v_dot4c_i32_i8_e32 v140, v123, v5
	v_dot4c_i32_i8_e32 v143, v131, v5
	v_mul_lo_u32 v108, v148, v138
	v_mul_lo_u32 v110, v168, v141
	v_mad_u64_u32 v[6:7], s[22:23], v147, v134, v[6:7]
	v_mad_u64_u32 v[8:9], s[22:23], v149, v137, v[8:9]
	v_dot4c_i32_i8_e32 v133, v159, v5
	v_dot4c_i32_i8_e32 v136, v162, v5
	;; [unrolled: 1-line block ×4, first 2 shown]
	v_mad_u64_u32 v[2:3], s[22:23], v151, v140, v[108:109]
	v_mad_u64_u32 v[108:109], s[22:23], v144, v143, v[110:111]
	v_cvt_f32_i32_e32 v7, v8
	v_cvt_f32_i32_e32 v5, v136
	;; [unrolled: 1-line block ×8, first 2 shown]
	v_pk_mul_f32 v[4:5], v[102:103], v[4:5]
	v_pk_mul_f32 v[8:9], v[106:107], v[8:9]
	v_pk_fma_f32 v[4:5], v[100:101], v[6:7], v[4:5] neg_lo:[0,0,1] neg_hi:[0,0,1]
	v_pk_fma_f32 v[2:3], v[104:105], v[2:3], v[8:9] neg_lo:[0,0,1] neg_hi:[0,0,1]
	v_add_u32_e32 v99, 4, v99
	v_add_u32_e32 v98, 32, v98
	v_pk_fma_f32 v[66:67], v[70:71], v[4:5], v[66:67] op_sel_hi:[0,1,1]
	v_pk_fma_f32 v[64:65], v[70:71], v[2:3], v[64:65] op_sel_hi:[0,1,1]
	s_cbranch_scc1 .LBB187_20
; %bb.21:                               ;   in Loop: Header=BB187_5 Depth=1
	s_or_b32 s2, s29, 0x100
	s_cmp_ge_i32 s2, s15
	s_barrier
	s_cbranch_scc1 .LBB187_4
; %bb.22:                               ;   in Loop: Header=BB187_5 Depth=1
	v_add_u32_e32 v2, s28, v75
	v_cmp_gt_i32_e64 s[2:3], s9, v2
	s_and_b64 s[22:23], s[0:1], s[2:3]
	s_and_saveexec_b64 s[2:3], s[22:23]
	s_cbranch_execz .LBB187_24
; %bb.23:                               ;   in Loop: Header=BB187_5 Depth=1
	v_add_u32_e32 v2, v68, v2
	v_mad_i64_i32 v[2:3], s[22:23], v2, 36, v[62:63]
	global_load_dword v2, v[2:3], off offset:4
	s_waitcnt vmcnt(0)
	ds_write_b32 v51, v2
.LBB187_24:                             ;   in Loop: Header=BB187_5 Depth=1
	s_or_b64 exec, exec, s[2:3]
	s_and_saveexec_b64 s[22:23], vcc
	s_cbranch_execz .LBB187_27
; %bb.25:                               ;   in Loop: Header=BB187_5 Depth=1
	v_or_b32_e32 v2, s28, v13
	v_or_b32_e32 v3, 8, v2
	v_cmp_gt_i32_e64 s[2:3], s9, v3
	s_and_b64 s[2:3], s[0:1], s[2:3]
	s_and_b64 exec, exec, s[2:3]
	s_cbranch_execz .LBB187_27
; %bb.26:                               ;   in Loop: Header=BB187_5 Depth=1
	v_ashrrev_i32_e32 v3, 31, v2
	v_add_co_u32_e64 v2, s[2:3], v68, v2
	v_addc_co_u32_e64 v4, s[2:3], v1, v3, s[2:3]
	v_mad_u64_u32 v[2:3], s[2:3], v2, 36, s[18:19]
	v_mad_i32_i24 v3, v4, 36, v3
	global_load_dword v2, v[2:3], off
	s_waitcnt vmcnt(0)
	v_cvt_f32_f16_e32 v2, v2
	ds_write_b32 v53, v2
.LBB187_27:                             ;   in Loop: Header=BB187_5 Depth=1
	s_or_b64 exec, exec, s[22:23]
	s_mov_b32 s2, 16
	s_mov_b32 s3, 14
	v_mov_b32_e32 v98, v82
	v_mov_b32_e32 v99, v83
	s_waitcnt lgkmcnt(0)
	s_barrier
.LBB187_28:                             ;   Parent Loop BB187_5 Depth=1
                                        ; =>  This Inner Loop Header: Depth=2
	s_add_i32 s23, s3, 2
	s_and_b32 s30, s2, -16
	s_and_b32 s31, s23, 0x3ffffff8
	s_lshr_b32 s33, s23, 2
	s_add_i32 s30, s3, s30
	s_lshl_b32 s31, s31, 2
	s_and_b32 s33, s33, 0x3ffffffc
	v_add_u32_e32 v112, s30, v91
	v_add_u32_e32 v116, s30, v90
	;; [unrolled: 1-line block ×12, first 2 shown]
	ds_read_b32 v70, v99
	ds_read_b128 v[6:9], v98
	ds_read_b128 v[2:5], v98 offset:16
	ds_read2_b32 v[100:101], v106 offset1:1
	ds_read2_b32 v[102:103], v106 offset0:2 offset1:3
	ds_read2_b32 v[104:105], v106 offset0:4 offset1:5
	;; [unrolled: 1-line block ×3, first 2 shown]
	ds_read2_b32 v[108:109], v114 offset1:1
	ds_read2_b32 v[110:111], v114 offset0:2 offset1:3
	ds_read_b32 v146, v113
	ds_read_u16 v147, v112 offset:16882
	ds_read2_b32 v[112:113], v114 offset0:4 offset1:5
	ds_read2_b32 v[114:115], v114 offset0:6 offset1:7
	ds_read_b32 v148, v117
	ds_read_u16 v149, v116 offset:17906
	ds_read2_b32 v[116:117], v122 offset1:1
	ds_read2_b32 v[118:119], v122 offset0:2 offset1:3
	ds_read2_b32 v[120:121], v122 offset0:4 offset1:5
	;; [unrolled: 1-line block ×3, first 2 shown]
	ds_read2_b32 v[124:125], v130 offset1:1
	ds_read2_b32 v[126:127], v130 offset0:2 offset1:3
	ds_read_b32 v150, v129
	ds_read_u16 v151, v128 offset:18930
	ds_read2_b32 v[128:129], v130 offset0:4 offset1:5
	ds_read2_b32 v[130:131], v130 offset0:6 offset1:7
	ds_read_b32 v145, v145
	ds_read_u16 v144, v144 offset:19954
	s_add_i32 s22, s3, -14
	s_waitcnt lgkmcnt(14)
	v_ashrrev_i32_e32 v152, s22, v100
	v_ashrrev_i32_e32 v154, s22, v102
	;; [unrolled: 1-line block ×4, first 2 shown]
	v_bfe_u32 v160, v147, 4, 4
	s_waitcnt lgkmcnt(12)
	v_bfe_u32 v162, v149, 4, 4
	v_cvt_f32_f16_e32 v100, v146
	v_cvt_f32_f16_sdwa v102, v146 dst_sel:DWORD dst_unused:UNUSED_PAD src0_sel:WORD_1
	s_waitcnt lgkmcnt(4)
	v_bfe_u32 v146, v151, 4, 4
	s_waitcnt lgkmcnt(0)
	v_bfe_u32 v166, v144, 4, 4
	v_mov_b32_e32 v133, 0
	v_mov_b32_e32 v136, 0
	;; [unrolled: 1-line block ×4, first 2 shown]
	v_ashrrev_i32_e32 v157, s22, v105
	v_ashrrev_i32_e32 v159, s22, v107
	v_cvt_f32_f16_e32 v105, v145
	v_cvt_f32_f16_sdwa v107, v145 dst_sel:DWORD dst_unused:UNUSED_PAD src0_sel:WORD_1
	v_and_b32_e32 v145, 0x3030303, v152
	v_and_b32_e32 v152, 0x3030303, v154
	;; [unrolled: 1-line block ×4, first 2 shown]
	v_mul_lo_u32 v158, v160, s17
	v_mul_lo_u32 v160, v162, s17
	;; [unrolled: 1-line block ×4, first 2 shown]
	v_ashrrev_i32_e32 v108, s22, v108
	v_dot4c_i32_i8_e32 v133, v158, v6
	v_dot4c_i32_i8_e32 v136, v160, v6
	;; [unrolled: 1-line block ×4, first 2 shown]
	v_mov_b32_e32 v132, 0
	v_mov_b32_e32 v135, 0
	v_ashrrev_i32_e32 v153, s22, v101
	v_ashrrev_i32_e32 v109, s22, v109
	;; [unrolled: 1-line block ×5, first 2 shown]
	v_and_b32_e32 v108, 0x3030303, v108
	v_dot4c_i32_i8_e32 v133, v158, v7
	v_dot4c_i32_i8_e32 v136, v160, v7
	;; [unrolled: 1-line block ×4, first 2 shown]
	v_mov_b32_e32 v134, 0
	v_mov_b32_e32 v137, 0
	;; [unrolled: 1-line block ×4, first 2 shown]
	v_ashrrev_i32_e32 v155, s22, v103
	v_lshrrev_b32_sdwa v161, v96, v147 dst_sel:DWORD dst_unused:UNUSED_PAD src0_sel:DWORD src1_sel:BYTE_1
	v_ashrrev_i32_e32 v110, s22, v110
	v_ashrrev_i32_e32 v113, s22, v113
	v_lshrrev_b32_sdwa v163, v96, v149 dst_sel:DWORD dst_unused:UNUSED_PAD src0_sel:DWORD src1_sel:BYTE_1
	v_cvt_f32_f16_e32 v101, v148
	v_cvt_f32_f16_sdwa v103, v148 dst_sel:DWORD dst_unused:UNUSED_PAD src0_sel:WORD_1
	v_ashrrev_i32_e32 v117, s22, v117
	v_ashrrev_i32_e32 v120, s22, v120
	v_lshrrev_b32_sdwa v148, v96, v151 dst_sel:DWORD dst_unused:UNUSED_PAD src0_sel:DWORD src1_sel:BYTE_1
	v_ashrrev_i32_e32 v125, s22, v125
	v_ashrrev_i32_e32 v128, s22, v128
	v_lshrrev_b32_sdwa v167, v96, v144 dst_sel:DWORD dst_unused:UNUSED_PAD src0_sel:DWORD src1_sel:BYTE_1
	v_cvt_f32_f16_e32 v104, v150
	v_cvt_f32_f16_sdwa v106, v150 dst_sel:DWORD dst_unused:UNUSED_PAD src0_sel:WORD_1
	v_and_b32_e32 v150, 0x3030303, v153
	v_and_b32_e32 v109, 0x3030303, v109
	;; [unrolled: 1-line block ×5, first 2 shown]
	v_dot4c_i32_i8_e32 v132, v145, v6
	v_dot4c_i32_i8_e32 v135, v108, v6
	;; [unrolled: 1-line block ×6, first 2 shown]
	v_mov_b32_e32 v140, 0
	v_mov_b32_e32 v143, 0
	v_ashrrev_i32_e32 v111, s22, v111
	v_ashrrev_i32_e32 v114, s22, v114
	v_ashrrev_i32_e32 v118, s22, v118
	v_ashrrev_i32_e32 v121, s22, v121
	v_ashrrev_i32_e32 v126, s22, v126
	v_ashrrev_i32_e32 v129, s22, v129
	v_and_b32_e32 v153, 0x3030303, v155
	v_and_b32_e32 v155, 0x3030303, v157
	;; [unrolled: 1-line block ×3, first 2 shown]
	v_mul_lo_u32 v159, v161, s17
	v_and_b32_e32 v110, 0x3030303, v110
	v_and_b32_e32 v113, 0x3030303, v113
	v_mul_lo_u32 v161, v163, s17
	v_and_b32_e32 v117, 0x3030303, v117
	v_and_b32_e32 v120, 0x3030303, v120
	;; [unrolled: 3-line block ×3, first 2 shown]
	v_mul_lo_u32 v163, v167, s17
	v_dot4c_i32_i8_e32 v134, v154, v2
	v_dot4c_i32_i8_e32 v137, v112, v2
	;; [unrolled: 1-line block ×10, first 2 shown]
	v_ashrrev_i32_e32 v115, s22, v115
	v_ashrrev_i32_e32 v119, s22, v119
	;; [unrolled: 1-line block ×5, first 2 shown]
	v_and_b32_e32 v111, 0x3030303, v111
	v_and_b32_e32 v114, 0x3030303, v114
	v_and_b32_e32 v118, 0x3030303, v118
	v_and_b32_e32 v121, 0x3030303, v121
	v_and_b32_e32 v126, 0x3030303, v126
	v_and_b32_e32 v129, 0x3030303, v129
	v_dot4c_i32_i8_e32 v140, v120, v2
	v_dot4c_i32_i8_e32 v143, v128, v2
	;; [unrolled: 1-line block ×12, first 2 shown]
	v_and_b32_e32 v164, 15, v147
	v_and_b32_e32 v165, 15, v149
	v_ashrrev_i32_e32 v123, s22, v123
	v_ashrrev_i32_e32 v131, s22, v131
	v_and_b32_e32 v115, 0x3030303, v115
	v_and_b32_e32 v119, 0x3030303, v119
	;; [unrolled: 1-line block ×5, first 2 shown]
	v_dot4c_i32_i8_e32 v140, v121, v3
	v_dot4c_i32_i8_e32 v143, v129, v3
	;; [unrolled: 1-line block ×12, first 2 shown]
	s_add_i32 s2, s2, 2
	v_and_b32_sdwa v149, v149, v97 dst_sel:DWORD dst_unused:UNUSED_PAD src0_sel:BYTE_1 src1_sel:DWORD
	v_and_b32_sdwa v147, v147, v97 dst_sel:DWORD dst_unused:UNUSED_PAD src0_sel:BYTE_1 src1_sel:DWORD
	v_and_b32_e32 v168, 15, v151
	v_and_b32_e32 v169, 15, v144
	;; [unrolled: 1-line block ×4, first 2 shown]
	v_dot4c_i32_i8_e32 v140, v122, v4
	v_dot4c_i32_i8_e32 v143, v130, v4
	v_dot4c_i32_i8_e32 v134, v157, v5
	v_dot4c_i32_i8_e32 v137, v115, v5
	v_dot4c_i32_i8_e32 v138, v119, v9
	v_dot4c_i32_i8_e32 v141, v127, v9
	v_mul_lo_u32 v6, v165, v135
	v_mul_lo_u32 v8, v164, v132
	v_dot4c_i32_i8_e32 v133, v159, v4
	v_dot4c_i32_i8_e32 v136, v161, v4
	;; [unrolled: 1-line block ×4, first 2 shown]
	s_mov_b32 s3, s23
	s_cmp_lt_u32 s23, 22
	v_and_b32_sdwa v144, v144, v97 dst_sel:DWORD dst_unused:UNUSED_PAD src0_sel:BYTE_1 src1_sel:DWORD
	v_and_b32_sdwa v151, v151, v97 dst_sel:DWORD dst_unused:UNUSED_PAD src0_sel:BYTE_1 src1_sel:DWORD
	v_dot4c_i32_i8_e32 v140, v123, v5
	v_dot4c_i32_i8_e32 v143, v131, v5
	v_mul_lo_u32 v2, v169, v141
	v_mul_lo_u32 v108, v168, v138
	v_mad_u64_u32 v[8:9], s[22:23], v147, v134, v[8:9]
	v_mad_u64_u32 v[6:7], s[22:23], v149, v137, v[6:7]
	v_dot4c_i32_i8_e32 v133, v159, v5
	v_dot4c_i32_i8_e32 v136, v161, v5
	;; [unrolled: 1-line block ×4, first 2 shown]
	v_mad_u64_u32 v[108:109], s[22:23], v151, v140, v[108:109]
	v_mad_u64_u32 v[2:3], s[22:23], v144, v143, v[2:3]
	v_cvt_f32_i32_e32 v7, v6
	v_cvt_f32_i32_e32 v6, v8
	;; [unrolled: 1-line block ×8, first 2 shown]
	v_pk_mul_f32 v[4:5], v[102:103], v[4:5]
	v_pk_mul_f32 v[8:9], v[106:107], v[8:9]
	v_pk_fma_f32 v[4:5], v[100:101], v[6:7], v[4:5] neg_lo:[0,0,1] neg_hi:[0,0,1]
	v_pk_fma_f32 v[2:3], v[104:105], v[2:3], v[8:9] neg_lo:[0,0,1] neg_hi:[0,0,1]
	v_add_u32_e32 v99, 4, v99
	v_add_u32_e32 v98, 32, v98
	v_pk_fma_f32 v[66:67], v[70:71], v[4:5], v[66:67] op_sel_hi:[0,1,1]
	v_pk_fma_f32 v[64:65], v[70:71], v[2:3], v[64:65] op_sel_hi:[0,1,1]
	s_cbranch_scc1 .LBB187_28
; %bb.29:                               ;   in Loop: Header=BB187_5 Depth=1
	s_or_b32 s2, s29, 0x180
	s_cmp_ge_i32 s2, s15
	s_barrier
	s_cbranch_scc1 .LBB187_4
; %bb.30:                               ;   in Loop: Header=BB187_5 Depth=1
	v_add_u32_e32 v2, s28, v76
	v_cmp_gt_i32_e64 s[2:3], s9, v2
	s_and_b64 s[22:23], s[0:1], s[2:3]
	s_and_saveexec_b64 s[2:3], s[22:23]
	s_cbranch_execz .LBB187_32
; %bb.31:                               ;   in Loop: Header=BB187_5 Depth=1
	v_add_u32_e32 v2, v68, v2
	v_mad_i64_i32 v[2:3], s[22:23], v2, 36, v[62:63]
	global_load_dword v2, v[2:3], off offset:4
	s_waitcnt vmcnt(0)
	ds_write_b32 v51, v2
.LBB187_32:                             ;   in Loop: Header=BB187_5 Depth=1
	s_or_b64 exec, exec, s[2:3]
	s_and_saveexec_b64 s[22:23], vcc
	s_cbranch_execz .LBB187_35
; %bb.33:                               ;   in Loop: Header=BB187_5 Depth=1
	v_or_b32_e32 v2, s28, v13
	v_or_b32_e32 v3, 12, v2
	v_cmp_gt_i32_e64 s[2:3], s9, v3
	s_and_b64 s[2:3], s[0:1], s[2:3]
	s_and_b64 exec, exec, s[2:3]
	s_cbranch_execz .LBB187_35
; %bb.34:                               ;   in Loop: Header=BB187_5 Depth=1
	v_ashrrev_i32_e32 v3, 31, v2
	v_add_co_u32_e64 v2, s[2:3], v68, v2
	v_addc_co_u32_e64 v4, s[2:3], v1, v3, s[2:3]
	v_mad_u64_u32 v[2:3], s[2:3], v2, 36, s[20:21]
	v_mad_i32_i24 v3, v4, 36, v3
	global_load_dword v2, v[2:3], off
	s_waitcnt vmcnt(0)
	v_cvt_f32_f16_e32 v2, v2
	ds_write_b32 v53, v2
.LBB187_35:                             ;   in Loop: Header=BB187_5 Depth=1
	s_or_b64 exec, exec, s[22:23]
	s_mov_b32 s2, 24
	s_mov_b32 s3, 22
	v_mov_b32_e32 v98, v82
	v_mov_b32_e32 v99, v83
	s_waitcnt lgkmcnt(0)
	s_barrier
.LBB187_36:                             ;   Parent Loop BB187_5 Depth=1
                                        ; =>  This Inner Loop Header: Depth=2
	s_add_i32 s23, s3, 2
	s_and_b32 s28, s2, -16
	s_and_b32 s29, s23, 0x3ffffff8
	s_lshr_b32 s30, s23, 2
	s_add_i32 s28, s3, s28
	s_lshl_b32 s29, s29, 2
	s_and_b32 s30, s30, 0x3ffffffc
	v_add_u32_e32 v112, s28, v91
	v_add_u32_e32 v116, s28, v90
	;; [unrolled: 1-line block ×12, first 2 shown]
	ds_read_b32 v70, v99
	ds_read_b128 v[6:9], v98
	ds_read_b128 v[2:5], v98 offset:16
	ds_read2_b32 v[100:101], v106 offset1:1
	ds_read2_b32 v[102:103], v106 offset0:2 offset1:3
	ds_read2_b32 v[104:105], v106 offset0:4 offset1:5
	;; [unrolled: 1-line block ×3, first 2 shown]
	ds_read2_b32 v[108:109], v114 offset1:1
	ds_read2_b32 v[110:111], v114 offset0:2 offset1:3
	ds_read_b32 v146, v113
	ds_read_u16 v147, v112 offset:16882
	ds_read2_b32 v[112:113], v114 offset0:4 offset1:5
	ds_read2_b32 v[114:115], v114 offset0:6 offset1:7
	ds_read_b32 v148, v117
	ds_read_u16 v149, v116 offset:17906
	ds_read2_b32 v[116:117], v122 offset1:1
	ds_read2_b32 v[118:119], v122 offset0:2 offset1:3
	ds_read2_b32 v[120:121], v122 offset0:4 offset1:5
	;; [unrolled: 1-line block ×3, first 2 shown]
	ds_read2_b32 v[124:125], v130 offset1:1
	ds_read2_b32 v[126:127], v130 offset0:2 offset1:3
	ds_read_b32 v150, v129
	ds_read_u16 v151, v128 offset:18930
	ds_read2_b32 v[128:129], v130 offset0:4 offset1:5
	ds_read2_b32 v[130:131], v130 offset0:6 offset1:7
	ds_read_b32 v145, v145
	ds_read_u16 v144, v144 offset:19954
	s_sub_i32 s22, s3, 22
	s_waitcnt lgkmcnt(14)
	v_ashrrev_i32_e32 v152, s22, v100
	v_ashrrev_i32_e32 v154, s22, v102
	;; [unrolled: 1-line block ×4, first 2 shown]
	v_bfe_u32 v160, v147, 4, 4
	s_waitcnt lgkmcnt(12)
	v_bfe_u32 v162, v149, 4, 4
	v_cvt_f32_f16_e32 v100, v146
	v_cvt_f32_f16_sdwa v102, v146 dst_sel:DWORD dst_unused:UNUSED_PAD src0_sel:WORD_1
	s_waitcnt lgkmcnt(4)
	v_bfe_u32 v146, v151, 4, 4
	s_waitcnt lgkmcnt(0)
	v_bfe_u32 v166, v144, 4, 4
	v_mov_b32_e32 v136, 0
	v_mov_b32_e32 v137, 0
	;; [unrolled: 1-line block ×4, first 2 shown]
	v_ashrrev_i32_e32 v157, s22, v105
	v_ashrrev_i32_e32 v159, s22, v107
	v_cvt_f32_f16_e32 v105, v145
	v_cvt_f32_f16_sdwa v107, v145 dst_sel:DWORD dst_unused:UNUSED_PAD src0_sel:WORD_1
	v_and_b32_e32 v145, 0x3030303, v152
	v_and_b32_e32 v152, 0x3030303, v154
	;; [unrolled: 1-line block ×4, first 2 shown]
	v_mul_lo_u32 v158, v160, s17
	v_mul_lo_u32 v160, v162, s17
	;; [unrolled: 1-line block ×4, first 2 shown]
	v_ashrrev_i32_e32 v108, s22, v108
	v_dot4c_i32_i8_e32 v136, v158, v6
	v_dot4c_i32_i8_e32 v137, v160, v6
	;; [unrolled: 1-line block ×4, first 2 shown]
	v_mov_b32_e32 v132, 0
	v_mov_b32_e32 v134, 0
	v_ashrrev_i32_e32 v153, s22, v101
	v_ashrrev_i32_e32 v109, s22, v109
	;; [unrolled: 1-line block ×5, first 2 shown]
	v_and_b32_e32 v108, 0x3030303, v108
	v_dot4c_i32_i8_e32 v136, v158, v7
	v_dot4c_i32_i8_e32 v137, v160, v7
	;; [unrolled: 1-line block ×4, first 2 shown]
	v_mov_b32_e32 v133, 0
	v_mov_b32_e32 v135, 0
	;; [unrolled: 1-line block ×4, first 2 shown]
	v_ashrrev_i32_e32 v155, s22, v103
	v_ashrrev_i32_e32 v110, s22, v110
	;; [unrolled: 1-line block ×3, first 2 shown]
	v_lshrrev_b32_sdwa v161, v96, v147 dst_sel:DWORD dst_unused:UNUSED_PAD src0_sel:DWORD src1_sel:BYTE_1
	v_lshrrev_b32_sdwa v165, v96, v149 dst_sel:DWORD dst_unused:UNUSED_PAD src0_sel:DWORD src1_sel:BYTE_1
	v_cvt_f32_f16_e32 v101, v148
	v_cvt_f32_f16_sdwa v103, v148 dst_sel:DWORD dst_unused:UNUSED_PAD src0_sel:WORD_1
	v_ashrrev_i32_e32 v117, s22, v117
	v_ashrrev_i32_e32 v120, s22, v120
	;; [unrolled: 1-line block ×4, first 2 shown]
	v_lshrrev_b32_sdwa v148, v96, v151 dst_sel:DWORD dst_unused:UNUSED_PAD src0_sel:DWORD src1_sel:BYTE_1
	v_lshrrev_b32_sdwa v169, v96, v144 dst_sel:DWORD dst_unused:UNUSED_PAD src0_sel:DWORD src1_sel:BYTE_1
	v_cvt_f32_f16_e32 v104, v150
	v_cvt_f32_f16_sdwa v106, v150 dst_sel:DWORD dst_unused:UNUSED_PAD src0_sel:WORD_1
	v_and_b32_e32 v150, 0x3030303, v153
	v_and_b32_e32 v109, 0x3030303, v109
	;; [unrolled: 1-line block ×5, first 2 shown]
	v_dot4c_i32_i8_e32 v132, v145, v6
	v_dot4c_i32_i8_e32 v134, v108, v6
	;; [unrolled: 1-line block ×6, first 2 shown]
	v_mov_b32_e32 v139, 0
	v_mov_b32_e32 v141, 0
	v_ashrrev_i32_e32 v111, s22, v111
	v_ashrrev_i32_e32 v114, s22, v114
	;; [unrolled: 1-line block ×6, first 2 shown]
	v_and_b32_e32 v153, 0x3030303, v155
	v_and_b32_e32 v155, 0x3030303, v157
	;; [unrolled: 1-line block ×5, first 2 shown]
	v_mul_lo_u32 v159, v161, s17
	v_mul_lo_u32 v161, v165, s17
	v_and_b32_e32 v117, 0x3030303, v117
	v_and_b32_e32 v120, 0x3030303, v120
	;; [unrolled: 1-line block ×4, first 2 shown]
	v_mul_lo_u32 v148, v148, s17
	v_mul_lo_u32 v165, v169, s17
	v_dot4c_i32_i8_e32 v133, v154, v2
	v_dot4c_i32_i8_e32 v135, v112, v2
	;; [unrolled: 1-line block ×10, first 2 shown]
	v_ashrrev_i32_e32 v115, s22, v115
	v_ashrrev_i32_e32 v119, s22, v119
	;; [unrolled: 1-line block ×5, first 2 shown]
	v_and_b32_e32 v111, 0x3030303, v111
	v_and_b32_e32 v114, 0x3030303, v114
	;; [unrolled: 1-line block ×6, first 2 shown]
	v_dot4c_i32_i8_e32 v139, v120, v2
	v_dot4c_i32_i8_e32 v141, v128, v2
	;; [unrolled: 1-line block ×12, first 2 shown]
	v_and_b32_e32 v163, 15, v147
	v_and_b32_e32 v164, 15, v149
	v_ashrrev_i32_e32 v123, s22, v123
	v_ashrrev_i32_e32 v131, s22, v131
	v_and_b32_e32 v115, 0x3030303, v115
	v_and_b32_e32 v119, 0x3030303, v119
	;; [unrolled: 1-line block ×5, first 2 shown]
	v_dot4c_i32_i8_e32 v139, v121, v3
	v_dot4c_i32_i8_e32 v141, v129, v3
	;; [unrolled: 1-line block ×12, first 2 shown]
	s_add_i32 s2, s2, 2
	v_and_b32_sdwa v149, v149, v97 dst_sel:DWORD dst_unused:UNUSED_PAD src0_sel:BYTE_1 src1_sel:DWORD
	v_and_b32_sdwa v147, v147, v97 dst_sel:DWORD dst_unused:UNUSED_PAD src0_sel:BYTE_1 src1_sel:DWORD
	v_and_b32_e32 v167, 15, v151
	v_and_b32_e32 v168, 15, v144
	;; [unrolled: 1-line block ×4, first 2 shown]
	v_dot4c_i32_i8_e32 v139, v122, v4
	v_dot4c_i32_i8_e32 v141, v130, v4
	;; [unrolled: 1-line block ×6, first 2 shown]
	v_mul_lo_u32 v6, v164, v134
	v_mul_lo_u32 v8, v163, v132
	v_dot4c_i32_i8_e32 v136, v159, v4
	v_dot4c_i32_i8_e32 v137, v161, v4
	;; [unrolled: 1-line block ×4, first 2 shown]
	s_mov_b32 s3, s23
	s_cmp_lt_u32 s23, 30
	v_and_b32_sdwa v144, v144, v97 dst_sel:DWORD dst_unused:UNUSED_PAD src0_sel:BYTE_1 src1_sel:DWORD
	v_and_b32_sdwa v151, v151, v97 dst_sel:DWORD dst_unused:UNUSED_PAD src0_sel:BYTE_1 src1_sel:DWORD
	v_dot4c_i32_i8_e32 v139, v123, v5
	v_dot4c_i32_i8_e32 v141, v131, v5
	v_mul_lo_u32 v108, v168, v140
	v_mul_lo_u32 v110, v167, v138
	v_mad_u64_u32 v[8:9], s[22:23], v147, v133, v[8:9]
	v_mad_u64_u32 v[6:7], s[22:23], v149, v135, v[6:7]
	v_dot4c_i32_i8_e32 v136, v159, v5
	v_dot4c_i32_i8_e32 v137, v161, v5
	v_dot4c_i32_i8_e32 v142, v148, v5
	v_dot4c_i32_i8_e32 v143, v165, v5
	v_mad_u64_u32 v[2:3], s[22:23], v151, v139, v[110:111]
	v_mad_u64_u32 v[108:109], s[22:23], v144, v141, v[108:109]
	v_cvt_f32_i32_e32 v7, v6
	v_cvt_f32_i32_e32 v6, v8
	;; [unrolled: 1-line block ×8, first 2 shown]
	v_pk_mul_f32 v[4:5], v[102:103], v[4:5]
	v_pk_mul_f32 v[8:9], v[106:107], v[8:9]
	v_pk_fma_f32 v[4:5], v[100:101], v[6:7], v[4:5] neg_lo:[0,0,1] neg_hi:[0,0,1]
	v_pk_fma_f32 v[2:3], v[104:105], v[2:3], v[8:9] neg_lo:[0,0,1] neg_hi:[0,0,1]
	v_add_u32_e32 v99, 4, v99
	v_add_u32_e32 v98, 32, v98
	v_pk_fma_f32 v[66:67], v[70:71], v[4:5], v[66:67] op_sel_hi:[0,1,1]
	v_pk_fma_f32 v[64:65], v[70:71], v[2:3], v[64:65] op_sel_hi:[0,1,1]
	s_cbranch_scc1 .LBB187_36
; %bb.37:                               ;   in Loop: Header=BB187_5 Depth=1
	s_barrier
	s_branch .LBB187_4
.LBB187_38:
	s_mul_i32 s0, s11, s8
	s_waitcnt vmcnt(0)
	v_cmp_gt_i32_e32 vcc, s0, v11
	s_and_saveexec_b64 s[0:1], vcc
	s_cbranch_execz .LBB187_47
; %bb.39:
	v_and_b32_e32 v0, 0x3ff, v0
	v_add_u32_e32 v1, s24, v0
	v_mul_lo_u32 v0, v11, s10
	v_cmp_gt_u32_e32 vcc, s10, v1
	s_and_saveexec_b64 s[0:1], vcc
	s_cbranch_execz .LBB187_41
; %bb.40:
	v_add_u32_e32 v2, v0, v1
	v_mov_b32_e32 v3, 0
	v_lshlrev_b64 v[2:3], 2, v[2:3]
	v_mov_b32_e32 v4, s13
	v_add_co_u32_e32 v2, vcc, s12, v2
	v_addc_co_u32_e32 v3, vcc, v4, v3, vcc
	global_store_dword v[2:3], v66, off
.LBB187_41:
	s_or_b64 exec, exec, s[0:1]
	v_add_u32_e32 v2, 32, v1
	v_cmp_gt_u32_e32 vcc, s10, v2
	s_and_saveexec_b64 s[0:1], vcc
	s_cbranch_execz .LBB187_43
; %bb.42:
	v_add_u32_e32 v2, v0, v2
	v_mov_b32_e32 v3, 0
	v_lshlrev_b64 v[2:3], 2, v[2:3]
	v_mov_b32_e32 v4, s13
	v_add_co_u32_e32 v2, vcc, s12, v2
	v_addc_co_u32_e32 v3, vcc, v4, v3, vcc
	global_store_dword v[2:3], v67, off
.LBB187_43:
	s_or_b64 exec, exec, s[0:1]
	v_add_u32_e32 v2, 64, v1
	;; [unrolled: 14-line block ×3, first 2 shown]
	v_cmp_gt_u32_e32 vcc, s10, v1
	s_and_b64 exec, exec, vcc
	s_cbranch_execz .LBB187_47
; %bb.46:
	v_add_u32_e32 v0, v0, v1
	v_mov_b32_e32 v1, 0
	v_lshlrev_b64 v[0:1], 2, v[0:1]
	v_mov_b32_e32 v2, s13
	v_add_co_u32_e32 v0, vcc, s12, v0
	v_addc_co_u32_e32 v1, vcc, v2, v1, vcc
	global_store_dword v[0:1], v65, off
.LBB187_47:
	s_endpgm
	.section	.rodata,"a",@progbits
	.p2align	6, 0x0
	.amdhsa_kernel _ZL8moe_q2_KIfLb0EEvPKvS1_PT_PKiS5_S5_iiiiiii
		.amdhsa_group_segment_fixed_size 23328
		.amdhsa_private_segment_fixed_size 0
		.amdhsa_kernarg_size 76
		.amdhsa_user_sgpr_count 6
		.amdhsa_user_sgpr_private_segment_buffer 1
		.amdhsa_user_sgpr_dispatch_ptr 0
		.amdhsa_user_sgpr_queue_ptr 0
		.amdhsa_user_sgpr_kernarg_segment_ptr 1
		.amdhsa_user_sgpr_dispatch_id 0
		.amdhsa_user_sgpr_flat_scratch_init 0
		.amdhsa_user_sgpr_kernarg_preload_length 0
		.amdhsa_user_sgpr_kernarg_preload_offset 0
		.amdhsa_user_sgpr_private_segment_size 0
		.amdhsa_uses_dynamic_stack 0
		.amdhsa_system_sgpr_private_segment_wavefront_offset 0
		.amdhsa_system_sgpr_workgroup_id_x 1
		.amdhsa_system_sgpr_workgroup_id_y 1
		.amdhsa_system_sgpr_workgroup_id_z 0
		.amdhsa_system_sgpr_workgroup_info 0
		.amdhsa_system_vgpr_workitem_id 1
		.amdhsa_next_free_vgpr 170
		.amdhsa_next_free_sgpr 34
		.amdhsa_accum_offset 172
		.amdhsa_reserve_vcc 1
		.amdhsa_reserve_flat_scratch 0
		.amdhsa_float_round_mode_32 0
		.amdhsa_float_round_mode_16_64 0
		.amdhsa_float_denorm_mode_32 3
		.amdhsa_float_denorm_mode_16_64 3
		.amdhsa_dx10_clamp 1
		.amdhsa_ieee_mode 1
		.amdhsa_fp16_overflow 0
		.amdhsa_tg_split 0
		.amdhsa_exception_fp_ieee_invalid_op 0
		.amdhsa_exception_fp_denorm_src 0
		.amdhsa_exception_fp_ieee_div_zero 0
		.amdhsa_exception_fp_ieee_overflow 0
		.amdhsa_exception_fp_ieee_underflow 0
		.amdhsa_exception_fp_ieee_inexact 0
		.amdhsa_exception_int_div_zero 0
	.end_amdhsa_kernel
	.section	.text._ZL8moe_q2_KIfLb0EEvPKvS1_PT_PKiS5_S5_iiiiiii,"axG",@progbits,_ZL8moe_q2_KIfLb0EEvPKvS1_PT_PKiS5_S5_iiiiiii,comdat
.Lfunc_end187:
	.size	_ZL8moe_q2_KIfLb0EEvPKvS1_PT_PKiS5_S5_iiiiiii, .Lfunc_end187-_ZL8moe_q2_KIfLb0EEvPKvS1_PT_PKiS5_S5_iiiiiii
                                        ; -- End function
	.section	.AMDGPU.csdata,"",@progbits
; Kernel info:
; codeLenInByte = 8712
; NumSgprs: 38
; NumVgprs: 170
; NumAgprs: 0
; TotalNumVgprs: 170
; ScratchSize: 0
; MemoryBound: 0
; FloatMode: 240
; IeeeMode: 1
; LDSByteSize: 23328 bytes/workgroup (compile time only)
; SGPRBlocks: 4
; VGPRBlocks: 21
; NumSGPRsForWavesPerEU: 38
; NumVGPRsForWavesPerEU: 170
; AccumOffset: 172
; Occupancy: 2
; WaveLimiterHint : 1
; COMPUTE_PGM_RSRC2:SCRATCH_EN: 0
; COMPUTE_PGM_RSRC2:USER_SGPR: 6
; COMPUTE_PGM_RSRC2:TRAP_HANDLER: 0
; COMPUTE_PGM_RSRC2:TGID_X_EN: 1
; COMPUTE_PGM_RSRC2:TGID_Y_EN: 1
; COMPUTE_PGM_RSRC2:TGID_Z_EN: 0
; COMPUTE_PGM_RSRC2:TIDIG_COMP_CNT: 1
; COMPUTE_PGM_RSRC3_GFX90A:ACCUM_OFFSET: 42
; COMPUTE_PGM_RSRC3_GFX90A:TG_SPLIT: 0
	.section	.text._ZL8moe_q2_KIfLb1EEvPKvS1_PT_PKiS5_S5_iiiiiii,"axG",@progbits,_ZL8moe_q2_KIfLb1EEvPKvS1_PT_PKiS5_S5_iiiiiii,comdat
	.globl	_ZL8moe_q2_KIfLb1EEvPKvS1_PT_PKiS5_S5_iiiiiii ; -- Begin function _ZL8moe_q2_KIfLb1EEvPKvS1_PT_PKiS5_S5_iiiiiii
	.p2align	8
	.type	_ZL8moe_q2_KIfLb1EEvPKvS1_PT_PKiS5_S5_iiiiiii,@function
_ZL8moe_q2_KIfLb1EEvPKvS1_PT_PKiS5_S5_iiiiiii: ; @_ZL8moe_q2_KIfLb1EEvPKvS1_PT_PKiS5_S5_iiiiiii
; %bb.0:
	s_load_dwordx4 s[0:3], s[4:5], 0x18
	s_mov_b32 s8, s7
	s_mov_b32 s9, 0
	s_lshl_b64 s[10:11], s[8:9], 2
	s_waitcnt lgkmcnt(0)
	s_add_u32 s2, s2, s10
	s_addc_u32 s3, s3, s11
	s_load_dword s2, s[2:3], 0x0
	s_waitcnt lgkmcnt(0)
	s_cmpk_gt_u32 s2, 0xff
	s_cbranch_scc1 .LBB188_47
; %bb.1:
	s_load_dwordx2 s[10:11], s[4:5], 0x28
	s_lshl_b32 s3, s8, 3
	s_waitcnt lgkmcnt(0)
	s_load_dword s7, s[10:11], 0x0
	s_waitcnt lgkmcnt(0)
	s_cmp_gt_u32 s3, s7
	s_cbranch_scc1 .LBB188_47
; %bb.2:
	v_bfe_u32 v1, v0, 10, 10
	v_add_u32_e32 v2, s3, v1
	v_mov_b32_e32 v3, 0
	v_lshlrev_b64 v[2:3], 2, v[2:3]
	v_mov_b32_e32 v4, s1
	v_add_co_u32_e32 v2, vcc, s0, v2
	v_addc_co_u32_e32 v3, vcc, v4, v3, vcc
	global_load_dword v11, v[2:3], off
	s_load_dwordx8 s[8:15], s[4:5], 0x30
	s_load_dwordx2 s[16:17], s[4:5], 0x10
	s_mov_b32 s18, 0
	s_waitcnt lgkmcnt(0)
	s_lshl_b32 s15, s6, 7
	s_mov_b32 s19, s18
	s_cmpk_lt_i32 s9, 0x100
	v_pk_mov_b32 v[96:97], s[18:19], s[18:19] op_sel:[0,1]
	v_pk_mov_b32 v[98:99], s[18:19], s[18:19] op_sel:[0,1]
	s_cbranch_scc1 .LBB188_38
; %bb.3:
	s_ashr_i32 s0, s9, 31
	s_lshr_b32 s0, s0, 24
	s_load_dwordx4 s[4:7], s[4:5], 0x0
	s_add_i32 s0, s9, s0
	s_ashr_i32 s26, s0, 8
	s_ashr_i32 s0, s12, 31
	s_lshr_b32 s0, s0, 27
	s_add_i32 s0, s12, s0
	s_mul_i32 s2, s2, s8
	s_ashr_i32 s12, s0, 5
	s_ashr_i32 s0, s2, 31
	s_waitcnt lgkmcnt(0)
	s_add_u32 s1, s4, s2
	s_mul_i32 s2, s26, s15
	s_addc_u32 s0, s5, s0
	s_mul_hi_i32 s3, s2, 0x54
	s_mulk_i32 s2, 0x54
	s_add_u32 s27, s1, s2
	s_addc_u32 s28, s0, s3
	s_not_b32 s0, s15
	s_add_i32 s2, s0, s10
	v_and_b32_e32 v13, 0x3ff, v0
	v_lshlrev_b32_e32 v2, 2, v13
	v_min_i32_e32 v3, s2, v1
	s_movk_i32 s3, 0x84
	v_mul_lo_u32 v14, v3, s26
	v_mad_u64_u32 v[16:17], s[0:1], v3, s3, v[2:3]
	v_add_u32_e32 v3, 8, v1
	v_min_i32_e32 v3, s2, v3
	v_mul_lo_u32 v18, v3, s26
	v_mad_u64_u32 v[20:21], s[0:1], v3, s3, v[2:3]
	v_add_u32_e32 v3, 16, v1
	v_min_i32_e32 v3, s2, v3
	;; [unrolled: 4-line block ×15, first 2 shown]
	v_mul_lo_u32 v74, v3, s26
	v_mad_u64_u32 v[76:77], s[0:1], v3, s3, v[2:3]
	v_lshlrev_b32_e32 v3, 4, v1
	v_lshrrev_b32_e32 v4, 1, v13
	v_add_u32_e32 v4, v4, v3
	v_and_b32_e32 v4, 0x7f, v4
	v_min_i32_e32 v4, s2, v4
	v_ashrrev_i32_e32 v5, 31, v4
	v_lshrrev_b32_e32 v5, 28, v5
	v_add_u32_e32 v5, v4, v5
	v_and_b32_e32 v78, 1, v13
	v_ashrrev_i32_e32 v5, 4, v5
	v_lshlrev_b32_e32 v5, 2, v5
	v_lshlrev_b32_e32 v6, 2, v78
	s_movk_i32 s0, 0x5280
	v_add3_u32 v5, v5, v6, s0
	v_lshlrev_b32_e32 v6, 2, v1
	v_lshrrev_b32_e32 v15, 3, v13
	v_add_u32_e32 v7, v15, v6
	v_min_i32_e32 v9, s2, v7
	v_ashrrev_i32_e32 v17, 31, v9
	v_lshrrev_b32_e32 v17, 30, v17
	v_and_b32_e32 v8, 7, v13
	v_add_u32_e32 v17, v9, v17
	v_cmp_lt_u32_e32 vcc, 3, v8
	v_and_b32_e32 v17, -4, v17
	v_lshlrev_b32_e32 v8, 2, v8
	s_movk_i32 s1, 0x4200
	v_add3_u32 v75, v17, v8, s1
	v_add_u32_e32 v17, 32, v7
	v_min_i32_e32 v17, s2, v17
	v_ashrrev_i32_e32 v19, 31, v17
	v_lshrrev_b32_e32 v19, 30, v19
	v_mul_lo_u32 v88, v17, s26
	v_add_u32_e32 v19, v17, v19
	v_lshlrev_b32_e32 v79, 5, v17
	v_add_u32_e32 v17, 64, v7
	v_and_b32_e32 v19, -4, v19
	v_min_i32_e32 v17, s2, v17
	v_add3_u32 v77, v19, v8, s1
	v_ashrrev_i32_e32 v19, 31, v17
	v_add_u32_e32 v7, 0x60, v7
	v_lshrrev_b32_e32 v19, 30, v19
	v_min_i32_e32 v7, s2, v7
	v_mul_lo_u32 v90, v17, s26
	v_add_u32_e32 v19, v17, v19
	v_lshlrev_b32_e32 v83, 5, v17
	v_ashrrev_i32_e32 v17, 31, v7
	v_lshrrev_b32_e32 v17, 30, v17
	v_add_u32_e32 v17, v7, v17
	v_and_b32_e32 v12, 60, v2
	v_and_b32_e32 v84, 12, v2
	v_and_b32_e32 v19, -4, v19
	v_and_b32_e32 v17, -4, v17
	v_and_b32_e32 v2, 28, v2
	v_cndmask_b32_e64 v82, 0, 1, vcc
	v_add3_u32 v81, v19, v8, s1
	v_add3_u32 v8, v17, v8, s1
	v_and_b32_e32 v17, 31, v13
	v_add_co_u32_e32 v94, vcc, s6, v2
	v_lshlrev_b32_e32 v2, 7, v1
	v_lshl_or_b32 v1, v17, 2, v2
	v_lshrrev_b32_e32 v10, 4, v13
	v_mov_b32_e32 v19, s7
	v_add_u32_e32 v17, 0x56a0, v1
	v_or_b32_e32 v1, v6, v13
	v_mov_b32_e32 v6, 0x5aa0
	v_addc_co_u32_e32 v95, vcc, 0, v19, vcc
	v_lshl_add_u32 v19, v1, 2, v6
	v_lshlrev_b32_e32 v1, 3, v13
	v_lshlrev_b32_e32 v23, 2, v10
	v_add_u32_e32 v6, 32, v13
	v_add3_u32 v23, v23, v1, s0
	v_mov_b32_e32 v1, 0x1080
	v_mad_u32_u24 v25, v13, s3, v1
	v_lshrrev_b32_e32 v1, 2, v6
	v_lshlrev_b32_e32 v27, 3, v6
	v_and_b32_e32 v1, 0x7c, v1
	v_add_u32_e32 v47, 64, v13
	v_add3_u32 v27, v27, v1, s0
	v_mov_b32_e32 v1, 0x2100
	v_mad_u32_u24 v29, v13, s3, v1
	v_lshrrev_b32_e32 v1, 2, v47
	s_abs_i32 s2, s14
	v_lshlrev_b32_e32 v31, 3, v47
	v_and_b32_e32 v1, 0x7c, v1
	v_cvt_f32_u32_e32 v41, s2
	v_add_u32_e32 v43, 0x60, v13
	v_add3_u32 v31, v31, v1, s0
	v_mov_b32_e32 v1, 0x3180
	v_mad_u32_u24 v33, v13, s3, v1
	v_lshrrev_b32_e32 v1, 2, v43
	v_lshlrev_b32_e32 v35, 3, v43
	v_and_b32_e32 v1, 0x7c, v1
	v_add3_u32 v35, v35, v1, s0
	v_rcp_iflag_f32_e32 v1, v41
	s_sub_i32 s0, 0, s2
	s_waitcnt vmcnt(0)
	v_sub_u32_e32 v49, 0, v11
	v_max_i32_e32 v49, v11, v49
	v_mul_f32_e32 v1, 0x4f7ffffe, v1
	v_cvt_u32_f32_e32 v1, v1
	v_xor_b32_e32 v45, s14, v11
	s_add_u32 s4, s6, 0x90
	v_ashrrev_i32_e32 v45, 31, v45
	v_mul_lo_u32 v51, s0, v1
	v_mul_hi_u32 v51, v1, v51
	v_add_u32_e32 v1, v1, v51
	v_mul_hi_u32 v1, v49, v1
	v_mul_lo_u32 v51, v1, s2
	v_sub_u32_e32 v49, v49, v51
	v_add_u32_e32 v51, 1, v1
	v_cmp_le_u32_e64 s[0:1], s2, v49
	v_cndmask_b32_e64 v1, v1, v51, s[0:1]
	v_subrev_u32_e32 v51, s2, v49
	v_cndmask_b32_e64 v49, v49, v51, s[0:1]
	v_add_u32_e32 v51, 1, v1
	v_cmp_le_u32_e64 s[0:1], s2, v49
	v_cndmask_b32_e64 v1, v1, v51, s[0:1]
	s_addc_u32 s5, s7, 0
	v_xor_b32_e32 v1, v1, v45
	s_add_u32 s20, s6, 0x120
	v_sub_u32_e32 v1, v1, v45
	s_addc_u32 s21, s7, 0
	v_mul_lo_u32 v80, v4, s26
	v_lshlrev_b32_e32 v4, 3, v4
	v_mul_lo_u32 v86, v9, s26
	v_lshlrev_b32_e32 v9, 5, v9
	;; [unrolled: 2-line block ×3, first 2 shown]
	v_lshrrev_b32_e32 v39, 3, v47
	v_lshrrev_b32_e32 v41, 3, v43
	v_mul_lo_u32 v100, v1, s12
	s_add_u32 s22, s6, 0x1b0
	v_and_b32_e32 v43, 0x1fc, v43
	v_lshlrev_b32_e32 v45, 5, v13
	v_and_b32_e32 v47, 0x1fc, v47
	v_and_b32_e32 v49, 0x1fc, v6
	;; [unrolled: 1-line block ×3, first 2 shown]
	s_movk_i32 s8, 0x54
	v_cmp_gt_u32_e32 vcc, 4, v13
	v_mul_u32_u24_e32 v21, 0x84, v13
	v_lshrrev_b32_e32 v37, 3, v6
	v_cmp_gt_i32_e64 s[0:1], s11, v1
	v_ashrrev_i32_e32 v1, 31, v100
	s_addc_u32 s23, s7, 0
	v_add_u32_e32 v53, 0x56a0, v2
	v_add_u32_e32 v55, 0x5aa0, v3
	v_add_u32_e32 v57, 0x4e08, v43
	v_add_u32_e32 v59, 0x4a08, v47
	v_add_u32_e32 v61, 0x4608, v49
	v_add_u32_e32 v63, 0x4208, v51
	v_add_u32_e32 v65, v45, v43
	v_add_u32_e32 v67, v45, v47
	v_add_u32_e32 v69, v45, v49
	v_add_u32_e32 v71, v45, v51
	v_pk_mov_b32 v[98:99], s[18:19], s[18:19] op_sel:[0,1]
	v_add_u32_e32 v73, v5, v4
	v_add_u32_e32 v75, v75, v9
	;; [unrolled: 1-line block ×5, first 2 shown]
	s_mov_b32 s10, 0x1010101
	v_mov_b32_e32 v83, 4
	v_mov_b32_e32 v85, 15
	v_pk_mov_b32 v[96:97], s[18:19], s[18:19] op_sel:[0,1]
	s_branch .LBB188_5
.LBB188_4:                              ;   in Loop: Header=BB188_5 Depth=1
	s_add_i32 s18, s18, 2
	s_cmp_ge_i32 s18, s26
	s_cbranch_scc1 .LBB188_38
.LBB188_5:                              ; =>This Loop Header: Depth=1
                                        ;     Child Loop BB188_12 Depth 2
                                        ;     Child Loop BB188_20 Depth 2
	;; [unrolled: 1-line block ×4, first 2 shown]
	s_mul_i32 s2, s18, 0x54
	s_mul_hi_u32 s3, s18, 0x54
	s_add_u32 s2, s27, s2
	s_addc_u32 s3, s28, s3
	v_pk_mov_b32 v[2:3], s[2:3], s[2:3] op_sel:[0,1]
	v_mad_u64_u32 v[4:5], s[2:3], v10, s8, v[2:3]
	v_add_co_u32_e64 v4, s[2:3], v4, v12
	v_addc_co_u32_e64 v5, s[2:3], 0, v5, s[2:3]
	v_add_co_u32_e64 v4, s[2:3], 16, v4
	v_addc_co_u32_e64 v5, s[2:3], 0, v5, s[2:3]
	v_mad_i64_i32 v[6:7], s[2:3], v14, s8, v[4:5]
	v_mad_i64_i32 v[8:9], s[2:3], v18, s8, v[4:5]
	;; [unrolled: 1-line block ×8, first 2 shown]
	global_load_dword v87, v[6:7], off
	global_load_dword v89, v[8:9], off
	;; [unrolled: 1-line block ×8, first 2 shown]
	v_mad_i64_i32 v[6:7], s[2:3], v46, s8, v[4:5]
	v_mad_i64_i32 v[8:9], s[2:3], v50, s8, v[4:5]
	;; [unrolled: 1-line block ×8, first 2 shown]
	global_load_dword v112, v[6:7], off
	global_load_dword v113, v[8:9], off
	;; [unrolled: 1-line block ×8, first 2 shown]
	v_mad_i64_i32 v[4:5], s[2:3], v80, s8, v[2:3]
	v_mad_u64_u32 v[4:5], s[2:3], v78, s8, v[4:5]
	v_mad_u64_u32 v[2:3], s[2:3], v82, s8, v[2:3]
	v_add_co_u32_e64 v2, s[2:3], v2, v84
	v_addc_co_u32_e64 v3, s[2:3], 0, v3, s[2:3]
	v_mad_i64_i32 v[6:7], s[2:3], v86, s8, v[2:3]
	v_mad_i64_i32 v[8:9], s[2:3], v88, s8, v[2:3]
	v_mad_i64_i32 v[102:103], s[2:3], v90, s8, v[2:3]
	v_mad_i64_i32 v[2:3], s[2:3], v92, s8, v[2:3]
	global_load_dword v104, v[4:5], off offset:80
	global_load_dword v105, v[6:7], off
	global_load_dword v106, v[8:9], off
	;; [unrolled: 1-line block ×3, first 2 shown]
	s_lshl_b32 s29, s18, 8
	global_load_dword v2, v[2:3], off
	s_cmp_lt_i32 s29, s9
	s_waitcnt vmcnt(20)
	ds_write_b32 v16, v87
	s_waitcnt vmcnt(19)
	ds_write_b32 v20, v89
	;; [unrolled: 2-line block ×21, first 2 shown]
	s_cbranch_scc0 .LBB188_4
; %bb.6:                                ;   in Loop: Header=BB188_5 Depth=1
	s_lshl_b32 s19, s18, 3
	v_add_u32_e32 v2, s19, v15
	v_cmp_gt_i32_e64 s[2:3], s12, v2
	s_and_b64 s[24:25], s[0:1], s[2:3]
	s_and_saveexec_b64 s[2:3], s[24:25]
	s_cbranch_execz .LBB188_8
; %bb.7:                                ;   in Loop: Header=BB188_5 Depth=1
	v_add_u32_e32 v2, v100, v2
	v_mad_i64_i32 v[2:3], s[24:25], v2, 36, v[94:95]
	global_load_dword v2, v[2:3], off offset:4
	s_waitcnt vmcnt(0)
	ds_write_b32 v17, v2
.LBB188_8:                              ;   in Loop: Header=BB188_5 Depth=1
	s_or_b64 exec, exec, s[2:3]
	s_and_saveexec_b64 s[24:25], vcc
	s_cbranch_execz .LBB188_11
; %bb.9:                                ;   in Loop: Header=BB188_5 Depth=1
	v_or_b32_e32 v2, s19, v13
	v_cmp_gt_i32_e64 s[2:3], s12, v2
	s_and_b64 s[2:3], s[0:1], s[2:3]
	s_and_b64 exec, exec, s[2:3]
	s_cbranch_execz .LBB188_11
; %bb.10:                               ;   in Loop: Header=BB188_5 Depth=1
	v_add_u32_e32 v2, v100, v2
	v_mad_i64_i32 v[2:3], s[2:3], v2, 36, s[6:7]
	global_load_dword v2, v[2:3], off
	s_waitcnt vmcnt(0)
	v_cvt_f32_f16_e32 v2, v2
	ds_write_b32 v19, v2
.LBB188_11:                             ;   in Loop: Header=BB188_5 Depth=1
	s_or_b64 exec, exec, s[24:25]
	s_mov_b32 s2, 0
	s_mov_b32 s3, -2
	v_mov_b32_e32 v87, v55
	v_mov_b32_e32 v89, v53
	s_waitcnt lgkmcnt(0)
	s_barrier
.LBB188_12:                             ;   Parent Loop BB188_5 Depth=1
                                        ; =>  This Inner Loop Header: Depth=2
	s_and_b32 s25, s2, -16
	s_add_i32 s24, s3, 2
	v_add_u32_e32 v104, s25, v45
	s_and_b32 s25, s24, 0x3ffffff8
	s_lshr_b32 s30, s24, 2
	s_lshl_b32 s25, s25, 2
	s_and_b32 s30, s30, 0x3ffffffc
	v_add3_u32 v116, v51, s3, v104
	v_add3_u32 v120, v49, s3, v104
	;; [unrolled: 1-line block ×4, first 2 shown]
	v_add_u32_e32 v110, s25, v21
	v_add_u32_e32 v117, s30, v23
	;; [unrolled: 1-line block ×8, first 2 shown]
	ds_read_b32 v102, v87
	ds_read_b128 v[6:9], v89
	ds_read_b128 v[2:5], v89 offset:16
	ds_read2_b32 v[104:105], v110 offset1:1
	ds_read2_b32 v[106:107], v110 offset0:2 offset1:3
	ds_read2_b32 v[108:109], v110 offset0:4 offset1:5
	;; [unrolled: 1-line block ×3, first 2 shown]
	ds_read2_b32 v[112:113], v118 offset1:1
	ds_read2_b32 v[114:115], v118 offset0:2 offset1:3
	ds_read_b32 v146, v117
	ds_read_u16 v147, v116 offset:16898
	ds_read2_b32 v[116:117], v118 offset0:4 offset1:5
	ds_read2_b32 v[118:119], v118 offset0:6 offset1:7
	ds_read_b32 v148, v121
	ds_read_u16 v149, v120 offset:17922
	ds_read2_b32 v[120:121], v126 offset1:1
	ds_read2_b32 v[122:123], v126 offset0:2 offset1:3
	ds_read2_b32 v[124:125], v126 offset0:4 offset1:5
	;; [unrolled: 1-line block ×3, first 2 shown]
	ds_read2_b32 v[128:129], v134 offset1:1
	ds_read2_b32 v[130:131], v134 offset0:2 offset1:3
	ds_read_b32 v150, v133
	ds_read_u16 v151, v132 offset:18946
	ds_read2_b32 v[132:133], v134 offset0:4 offset1:5
	ds_read2_b32 v[134:135], v134 offset0:6 offset1:7
	ds_read_b32 v145, v145
	ds_read_u16 v144, v144 offset:19970
	s_waitcnt lgkmcnt(14)
	v_ashrrev_i32_e32 v152, s24, v104
	v_ashrrev_i32_e32 v153, s24, v105
	;; [unrolled: 1-line block ×8, first 2 shown]
	v_bfe_u32 v160, v147, 4, 4
	v_lshrrev_b32_sdwa v162, v83, v147 dst_sel:DWORD dst_unused:UNUSED_PAD src0_sel:DWORD src1_sel:BYTE_1
	s_waitcnt lgkmcnt(12)
	v_bfe_u32 v163, v149, 4, 4
	v_lshrrev_b32_sdwa v165, v83, v149 dst_sel:DWORD dst_unused:UNUSED_PAD src0_sel:DWORD src1_sel:BYTE_1
	v_cvt_f32_f16_e32 v104, v146
	v_cvt_f32_f16_sdwa v106, v146 dst_sel:DWORD dst_unused:UNUSED_PAD src0_sel:WORD_1
	s_waitcnt lgkmcnt(4)
	v_bfe_u32 v146, v151, 4, 4
	s_waitcnt lgkmcnt(0)
	v_bfe_u32 v167, v144, 4, 4
	v_mov_b32_e32 v93, 0
	v_mov_b32_e32 v136, 0
	;; [unrolled: 1-line block ×4, first 2 shown]
	v_cvt_f32_f16_e32 v109, v145
	v_cvt_f32_f16_e32 v108, v150
	v_cvt_f32_f16_sdwa v111, v145 dst_sel:DWORD dst_unused:UNUSED_PAD src0_sel:WORD_1
	v_cvt_f32_f16_sdwa v110, v150 dst_sel:DWORD dst_unused:UNUSED_PAD src0_sel:WORD_1
	v_and_b32_e32 v145, 0x3030303, v152
	v_and_b32_e32 v150, 0x3030303, v153
	;; [unrolled: 1-line block ×8, first 2 shown]
	v_mul_lo_u32 v158, v160, s10
	v_mul_lo_u32 v159, v162, s10
	;; [unrolled: 1-line block ×6, first 2 shown]
	v_ashrrev_i32_e32 v112, s24, v112
	v_ashrrev_i32_e32 v128, s24, v128
	v_dot4c_i32_i8_e32 v93, v158, v6
	v_dot4c_i32_i8_e32 v136, v160, v6
	;; [unrolled: 1-line block ×4, first 2 shown]
	v_mov_b32_e32 v103, 0
	v_mov_b32_e32 v141, 0
	v_ashrrev_i32_e32 v113, s24, v113
	v_ashrrev_i32_e32 v116, s24, v116
	;; [unrolled: 1-line block ×5, first 2 shown]
	v_and_b32_e32 v112, 0x3030303, v112
	v_and_b32_e32 v128, 0x3030303, v128
	v_dot4c_i32_i8_e32 v93, v158, v7
	v_dot4c_i32_i8_e32 v136, v160, v7
	;; [unrolled: 1-line block ×4, first 2 shown]
	v_mov_b32_e32 v91, 0
	v_mov_b32_e32 v137, 0
	;; [unrolled: 1-line block ×4, first 2 shown]
	v_ashrrev_i32_e32 v114, s24, v114
	v_ashrrev_i32_e32 v117, s24, v117
	;; [unrolled: 1-line block ×4, first 2 shown]
	v_lshrrev_b32_sdwa v166, v83, v151 dst_sel:DWORD dst_unused:UNUSED_PAD src0_sel:DWORD src1_sel:BYTE_1
	v_ashrrev_i32_e32 v130, s24, v130
	v_ashrrev_i32_e32 v133, s24, v133
	v_lshrrev_b32_sdwa v169, v83, v144 dst_sel:DWORD dst_unused:UNUSED_PAD src0_sel:DWORD src1_sel:BYTE_1
	v_and_b32_e32 v113, 0x3030303, v113
	v_and_b32_e32 v116, 0x3030303, v116
	;; [unrolled: 1-line block ×5, first 2 shown]
	v_dot4c_i32_i8_e32 v103, v112, v6
	v_dot4c_i32_i8_e32 v141, v128, v6
	;; [unrolled: 1-line block ×6, first 2 shown]
	v_mov_b32_e32 v101, 0
	v_mov_b32_e32 v140, 0
	v_ashrrev_i32_e32 v115, s24, v115
	v_ashrrev_i32_e32 v118, s24, v118
	;; [unrolled: 1-line block ×6, first 2 shown]
	v_and_b32_e32 v114, 0x3030303, v114
	v_and_b32_e32 v117, 0x3030303, v117
	;; [unrolled: 1-line block ×4, first 2 shown]
	v_mul_lo_u32 v163, v166, s10
	v_and_b32_e32 v130, 0x3030303, v130
	v_and_b32_e32 v133, 0x3030303, v133
	v_mul_lo_u32 v166, v169, s10
	v_dot4c_i32_i8_e32 v91, v145, v6
	v_dot4c_i32_i8_e32 v137, v116, v2
	v_dot4c_i32_i8_e32 v138, v120, v6
	v_dot4c_i32_i8_e32 v143, v132, v2
	v_dot4c_i32_i8_e32 v103, v113, v7
	v_dot4c_i32_i8_e32 v141, v129, v7
	v_dot4c_i32_i8_e32 v93, v158, v9
	v_dot4c_i32_i8_e32 v136, v160, v9
	v_dot4c_i32_i8_e32 v139, v146, v9
	v_dot4c_i32_i8_e32 v142, v165, v9
	v_ashrrev_i32_e32 v119, s24, v119
	v_ashrrev_i32_e32 v123, s24, v123
	;; [unrolled: 1-line block ×4, first 2 shown]
	v_and_b32_e32 v115, 0x3030303, v115
	v_and_b32_e32 v118, 0x3030303, v118
	;; [unrolled: 1-line block ×6, first 2 shown]
	v_dot4c_i32_i8_e32 v101, v154, v2
	v_dot4c_i32_i8_e32 v140, v124, v2
	;; [unrolled: 1-line block ×12, first 2 shown]
	v_and_b32_e32 v164, 15, v149
	v_ashrrev_i32_e32 v127, s24, v127
	v_and_b32_e32 v168, 15, v144
	v_and_b32_e32 v119, 0x3030303, v119
	;; [unrolled: 1-line block ×5, first 2 shown]
	v_dot4c_i32_i8_e32 v101, v155, v3
	v_dot4c_i32_i8_e32 v140, v125, v3
	;; [unrolled: 1-line block ×12, first 2 shown]
	s_add_i32 s2, s2, 2
	v_and_b32_e32 v161, 15, v147
	v_and_b32_sdwa v149, v149, v85 dst_sel:DWORD dst_unused:UNUSED_PAD src0_sel:BYTE_1 src1_sel:DWORD
	v_cvt_f32_f16_e32 v105, v148
	v_cvt_f32_f16_sdwa v107, v148 dst_sel:DWORD dst_unused:UNUSED_PAD src0_sel:WORD_1
	v_and_b32_e32 v148, 15, v151
	v_and_b32_sdwa v144, v144, v85 dst_sel:DWORD dst_unused:UNUSED_PAD src0_sel:BYTE_1 src1_sel:DWORD
	v_and_b32_e32 v127, 0x3030303, v127
	v_dot4c_i32_i8_e32 v101, v156, v4
	v_dot4c_i32_i8_e32 v140, v126, v4
	;; [unrolled: 1-line block ×6, first 2 shown]
	v_mul_lo_u32 v8, v164, v103
	v_mul_lo_u32 v114, v168, v141
	v_dot4c_i32_i8_e32 v93, v159, v4
	v_dot4c_i32_i8_e32 v136, v162, v4
	v_dot4c_i32_i8_e32 v139, v163, v4
	v_dot4c_i32_i8_e32 v142, v166, v4
	s_mov_b32 s3, s24
	s_cmp_lt_u32 s24, 6
	v_and_b32_sdwa v147, v147, v85 dst_sel:DWORD dst_unused:UNUSED_PAD src0_sel:BYTE_1 src1_sel:DWORD
	v_and_b32_sdwa v151, v151, v85 dst_sel:DWORD dst_unused:UNUSED_PAD src0_sel:BYTE_1 src1_sel:DWORD
	v_dot4c_i32_i8_e32 v101, v157, v5
	v_dot4c_i32_i8_e32 v140, v127, v5
	v_mul_lo_u32 v6, v161, v91
	v_mul_lo_u32 v112, v148, v138
	v_mad_u64_u32 v[8:9], s[24:25], v149, v137, v[8:9]
	v_mad_u64_u32 v[2:3], s[24:25], v144, v143, v[114:115]
	v_dot4c_i32_i8_e32 v93, v159, v5
	v_dot4c_i32_i8_e32 v136, v162, v5
	;; [unrolled: 1-line block ×4, first 2 shown]
	v_mad_u64_u32 v[6:7], s[24:25], v147, v101, v[6:7]
	v_mad_u64_u32 v[112:113], s[24:25], v151, v140, v[112:113]
	v_cvt_f32_i32_e32 v9, v2
	v_cvt_f32_i32_e32 v3, v136
	;; [unrolled: 1-line block ×8, first 2 shown]
	v_pk_mul_f32 v[2:3], v[106:107], v[2:3]
	v_pk_mul_f32 v[4:5], v[110:111], v[4:5]
	v_pk_fma_f32 v[2:3], v[6:7], v[104:105], v[2:3] neg_lo:[0,0,1] neg_hi:[0,0,1]
	v_pk_fma_f32 v[4:5], v[8:9], v[108:109], v[4:5] neg_lo:[0,0,1] neg_hi:[0,0,1]
	v_add_u32_e32 v89, 32, v89
	v_add_u32_e32 v87, 4, v87
	v_pk_fma_f32 v[98:99], v[102:103], v[2:3], v[98:99] op_sel_hi:[0,1,1]
	v_pk_fma_f32 v[96:97], v[102:103], v[4:5], v[96:97] op_sel_hi:[0,1,1]
	s_cbranch_scc1 .LBB188_12
; %bb.13:                               ;   in Loop: Header=BB188_5 Depth=1
	s_or_b32 s2, s29, 0x80
	s_cmp_ge_i32 s2, s9
	s_barrier
	s_cbranch_scc1 .LBB188_4
; %bb.14:                               ;   in Loop: Header=BB188_5 Depth=1
	v_add_u32_e32 v2, s19, v37
	v_cmp_gt_i32_e64 s[2:3], s12, v2
	s_and_b64 s[24:25], s[0:1], s[2:3]
	s_and_saveexec_b64 s[2:3], s[24:25]
	s_cbranch_execz .LBB188_16
; %bb.15:                               ;   in Loop: Header=BB188_5 Depth=1
	v_add_u32_e32 v2, v100, v2
	v_mad_i64_i32 v[2:3], s[24:25], v2, 36, v[94:95]
	global_load_dword v2, v[2:3], off offset:4
	s_waitcnt vmcnt(0)
	ds_write_b32 v17, v2
.LBB188_16:                             ;   in Loop: Header=BB188_5 Depth=1
	s_or_b64 exec, exec, s[2:3]
	s_and_saveexec_b64 s[24:25], vcc
	s_cbranch_execz .LBB188_19
; %bb.17:                               ;   in Loop: Header=BB188_5 Depth=1
	v_or_b32_e32 v2, s19, v13
	v_or_b32_e32 v3, 4, v2
	v_cmp_gt_i32_e64 s[2:3], s12, v3
	s_and_b64 s[2:3], s[0:1], s[2:3]
	s_and_b64 exec, exec, s[2:3]
	s_cbranch_execz .LBB188_19
; %bb.18:                               ;   in Loop: Header=BB188_5 Depth=1
	v_ashrrev_i32_e32 v3, 31, v2
	v_add_co_u32_e64 v2, s[2:3], v100, v2
	v_addc_co_u32_e64 v4, s[2:3], v1, v3, s[2:3]
	v_mad_u64_u32 v[2:3], s[2:3], v2, 36, s[4:5]
	v_mad_i32_i24 v3, v4, 36, v3
	global_load_dword v2, v[2:3], off
	s_waitcnt vmcnt(0)
	v_cvt_f32_f16_e32 v2, v2
	ds_write_b32 v19, v2
.LBB188_19:                             ;   in Loop: Header=BB188_5 Depth=1
	s_or_b64 exec, exec, s[24:25]
	s_mov_b32 s2, 8
	s_mov_b32 s3, 0
	v_mov_b32_e32 v87, v53
	v_mov_b32_e32 v89, v55
	s_waitcnt lgkmcnt(0)
	s_barrier
.LBB188_20:                             ;   Parent Loop BB188_5 Depth=1
                                        ; =>  This Inner Loop Header: Depth=2
	s_add_i32 s24, s3, 8
	s_and_b32 s25, s2, -16
	v_add_u32_e32 v91, s3, v45
	s_and_b32 s30, s24, 0x3ffffff8
	s_lshr_b32 s31, s24, 2
	v_add3_u32 v116, v63, s25, v91
	v_add3_u32 v120, v61, s25, v91
	;; [unrolled: 1-line block ×4, first 2 shown]
	s_lshl_b32 s25, s30, 2
	s_and_b32 s30, s31, 0x3ffffffc
	v_add_u32_e32 v110, s25, v21
	v_add_u32_e32 v117, s30, v23
	;; [unrolled: 1-line block ×8, first 2 shown]
	ds_read_b32 v102, v89
	ds_read_b128 v[6:9], v87
	ds_read_b128 v[2:5], v87 offset:16
	ds_read2_b32 v[104:105], v110 offset1:1
	ds_read2_b32 v[106:107], v110 offset0:2 offset1:3
	ds_read2_b32 v[108:109], v110 offset0:4 offset1:5
	;; [unrolled: 1-line block ×3, first 2 shown]
	ds_read2_b32 v[112:113], v118 offset1:1
	ds_read2_b32 v[114:115], v118 offset0:2 offset1:3
	ds_read_b32 v146, v117
	ds_read_u16 v147, v116
	ds_read2_b32 v[116:117], v118 offset0:4 offset1:5
	ds_read2_b32 v[118:119], v118 offset0:6 offset1:7
	ds_read_b32 v148, v121
	ds_read_u16 v149, v120
	ds_read2_b32 v[120:121], v126 offset1:1
	ds_read2_b32 v[122:123], v126 offset0:2 offset1:3
	ds_read2_b32 v[124:125], v126 offset0:4 offset1:5
	;; [unrolled: 1-line block ×3, first 2 shown]
	ds_read2_b32 v[128:129], v134 offset1:1
	ds_read2_b32 v[130:131], v134 offset0:2 offset1:3
	ds_read_b32 v150, v133
	ds_read_u16 v151, v132
	ds_read2_b32 v[132:133], v134 offset0:4 offset1:5
	ds_read2_b32 v[134:135], v134 offset0:6 offset1:7
	ds_read_b32 v145, v145
	ds_read_u16 v91, v91
	s_waitcnt lgkmcnt(14)
	v_ashrrev_i32_e32 v152, s3, v104
	v_ashrrev_i32_e32 v153, s3, v105
	;; [unrolled: 1-line block ×8, first 2 shown]
	v_bfe_u32 v160, v147, 4, 4
	v_lshrrev_b32_sdwa v162, v83, v147 dst_sel:DWORD dst_unused:UNUSED_PAD src0_sel:DWORD src1_sel:BYTE_1
	s_waitcnt lgkmcnt(12)
	v_bfe_u32 v163, v149, 4, 4
	v_lshrrev_b32_sdwa v165, v83, v149 dst_sel:DWORD dst_unused:UNUSED_PAD src0_sel:DWORD src1_sel:BYTE_1
	v_cvt_f32_f16_e32 v104, v146
	v_cvt_f32_f16_sdwa v106, v146 dst_sel:DWORD dst_unused:UNUSED_PAD src0_sel:WORD_1
	s_waitcnt lgkmcnt(4)
	v_bfe_u32 v146, v151, 4, 4
	s_waitcnt lgkmcnt(0)
	v_bfe_u32 v167, v91, 4, 4
	v_mov_b32_e32 v101, 0
	v_mov_b32_e32 v137, 0
	;; [unrolled: 1-line block ×4, first 2 shown]
	v_cvt_f32_f16_e32 v109, v145
	v_cvt_f32_f16_e32 v108, v150
	v_cvt_f32_f16_sdwa v111, v145 dst_sel:DWORD dst_unused:UNUSED_PAD src0_sel:WORD_1
	v_cvt_f32_f16_sdwa v110, v150 dst_sel:DWORD dst_unused:UNUSED_PAD src0_sel:WORD_1
	v_and_b32_e32 v145, 0x3030303, v152
	v_and_b32_e32 v150, 0x3030303, v153
	;; [unrolled: 1-line block ×8, first 2 shown]
	v_mul_lo_u32 v158, v160, s10
	v_mul_lo_u32 v159, v162, s10
	v_mul_lo_u32 v160, v163, s10
	v_mul_lo_u32 v162, v165, s10
	v_mul_lo_u32 v146, v146, s10
	v_mul_lo_u32 v165, v167, s10
	v_ashrrev_i32_e32 v112, s3, v112
	v_dot4c_i32_i8_e32 v101, v158, v6
	v_dot4c_i32_i8_e32 v137, v160, v6
	v_dot4c_i32_i8_e32 v140, v146, v6
	v_dot4c_i32_i8_e32 v143, v165, v6
	v_mov_b32_e32 v93, 0
	v_mov_b32_e32 v136, 0
	v_ashrrev_i32_e32 v113, s3, v113
	v_ashrrev_i32_e32 v116, s3, v116
	;; [unrolled: 1-line block ×4, first 2 shown]
	v_and_b32_e32 v112, 0x3030303, v112
	v_dot4c_i32_i8_e32 v101, v158, v7
	v_dot4c_i32_i8_e32 v137, v160, v7
	;; [unrolled: 1-line block ×4, first 2 shown]
	v_mov_b32_e32 v103, 0
	v_mov_b32_e32 v138, 0
	;; [unrolled: 1-line block ×4, first 2 shown]
	v_ashrrev_i32_e32 v114, s3, v114
	v_ashrrev_i32_e32 v117, s3, v117
	;; [unrolled: 1-line block ×4, first 2 shown]
	v_lshrrev_b32_sdwa v166, v83, v151 dst_sel:DWORD dst_unused:UNUSED_PAD src0_sel:DWORD src1_sel:BYTE_1
	v_ashrrev_i32_e32 v129, s3, v129
	v_ashrrev_i32_e32 v132, s3, v132
	v_lshrrev_b32_sdwa v169, v83, v91 dst_sel:DWORD dst_unused:UNUSED_PAD src0_sel:DWORD src1_sel:BYTE_1
	v_and_b32_e32 v113, 0x3030303, v113
	v_and_b32_e32 v116, 0x3030303, v116
	;; [unrolled: 1-line block ×4, first 2 shown]
	v_dot4c_i32_i8_e32 v93, v145, v6
	v_dot4c_i32_i8_e32 v136, v112, v6
	;; [unrolled: 1-line block ×6, first 2 shown]
	v_mov_b32_e32 v141, 0
	v_mov_b32_e32 v144, 0
	v_ashrrev_i32_e32 v115, s3, v115
	v_ashrrev_i32_e32 v118, s3, v118
	;; [unrolled: 1-line block ×6, first 2 shown]
	v_and_b32_e32 v114, 0x3030303, v114
	v_and_b32_e32 v117, 0x3030303, v117
	v_and_b32_e32 v121, 0x3030303, v121
	v_and_b32_e32 v124, 0x3030303, v124
	v_mul_lo_u32 v163, v166, s10
	v_and_b32_e32 v129, 0x3030303, v129
	v_and_b32_e32 v132, 0x3030303, v132
	v_mul_lo_u32 v166, v169, s10
	v_dot4c_i32_i8_e32 v103, v154, v2
	v_dot4c_i32_i8_e32 v138, v116, v2
	v_dot4c_i32_i8_e32 v139, v120, v6
	v_dot4c_i32_i8_e32 v142, v128, v6
	v_dot4c_i32_i8_e32 v93, v150, v7
	v_dot4c_i32_i8_e32 v136, v113, v7
	v_dot4c_i32_i8_e32 v101, v158, v9
	v_dot4c_i32_i8_e32 v137, v160, v9
	v_dot4c_i32_i8_e32 v140, v146, v9
	v_dot4c_i32_i8_e32 v143, v165, v9
	v_ashrrev_i32_e32 v119, s3, v119
	v_ashrrev_i32_e32 v123, s3, v123
	;; [unrolled: 1-line block ×5, first 2 shown]
	v_and_b32_e32 v115, 0x3030303, v115
	v_and_b32_e32 v118, 0x3030303, v118
	;; [unrolled: 1-line block ×6, first 2 shown]
	v_dot4c_i32_i8_e32 v141, v124, v2
	v_dot4c_i32_i8_e32 v144, v132, v2
	;; [unrolled: 1-line block ×12, first 2 shown]
	v_and_b32_e32 v161, 15, v147
	v_and_b32_e32 v164, 15, v149
	v_ashrrev_i32_e32 v127, s3, v127
	v_ashrrev_i32_e32 v135, s3, v135
	v_and_b32_e32 v119, 0x3030303, v119
	v_and_b32_e32 v123, 0x3030303, v123
	v_and_b32_e32 v126, 0x3030303, v126
	v_and_b32_e32 v131, 0x3030303, v131
	v_and_b32_e32 v134, 0x3030303, v134
	v_dot4c_i32_i8_e32 v141, v125, v3
	v_dot4c_i32_i8_e32 v144, v133, v3
	;; [unrolled: 1-line block ×12, first 2 shown]
	s_add_i32 s2, s2, 2
	v_and_b32_sdwa v147, v147, v85 dst_sel:DWORD dst_unused:UNUSED_PAD src0_sel:BYTE_1 src1_sel:DWORD
	v_and_b32_sdwa v149, v149, v85 dst_sel:DWORD dst_unused:UNUSED_PAD src0_sel:BYTE_1 src1_sel:DWORD
	v_cvt_f32_f16_e32 v105, v148
	v_cvt_f32_f16_sdwa v107, v148 dst_sel:DWORD dst_unused:UNUSED_PAD src0_sel:WORD_1
	v_and_b32_e32 v148, 15, v151
	v_and_b32_e32 v168, 15, v91
	s_add_i32 s3, s3, 2
	v_and_b32_e32 v127, 0x3030303, v127
	v_and_b32_e32 v135, 0x3030303, v135
	v_dot4c_i32_i8_e32 v141, v126, v4
	v_dot4c_i32_i8_e32 v144, v134, v4
	;; [unrolled: 1-line block ×6, first 2 shown]
	v_mul_lo_u32 v6, v161, v93
	v_mul_lo_u32 v8, v164, v136
	v_dot4c_i32_i8_e32 v101, v159, v4
	v_dot4c_i32_i8_e32 v137, v162, v4
	v_dot4c_i32_i8_e32 v140, v163, v4
	v_dot4c_i32_i8_e32 v143, v166, v4
	v_and_b32_sdwa v151, v151, v85 dst_sel:DWORD dst_unused:UNUSED_PAD src0_sel:BYTE_1 src1_sel:DWORD
	v_and_b32_sdwa v91, v91, v85 dst_sel:DWORD dst_unused:UNUSED_PAD src0_sel:BYTE_1 src1_sel:DWORD
	s_cmp_lt_u32 s24, 14
	v_dot4c_i32_i8_e32 v141, v127, v5
	v_dot4c_i32_i8_e32 v144, v135, v5
	v_mul_lo_u32 v112, v148, v139
	v_mul_lo_u32 v114, v168, v142
	v_mad_u64_u32 v[6:7], s[24:25], v147, v103, v[6:7]
	v_mad_u64_u32 v[8:9], s[24:25], v149, v138, v[8:9]
	v_dot4c_i32_i8_e32 v101, v159, v5
	v_dot4c_i32_i8_e32 v137, v162, v5
	;; [unrolled: 1-line block ×4, first 2 shown]
	v_mad_u64_u32 v[2:3], s[24:25], v151, v141, v[112:113]
	v_mad_u64_u32 v[112:113], s[24:25], v91, v144, v[114:115]
	v_cvt_f32_i32_e32 v7, v8
	v_cvt_f32_i32_e32 v5, v137
	;; [unrolled: 1-line block ×8, first 2 shown]
	v_pk_mul_f32 v[4:5], v[106:107], v[4:5]
	v_pk_mul_f32 v[8:9], v[110:111], v[8:9]
	v_pk_fma_f32 v[4:5], v[104:105], v[6:7], v[4:5] neg_lo:[0,0,1] neg_hi:[0,0,1]
	v_pk_fma_f32 v[2:3], v[108:109], v[2:3], v[8:9] neg_lo:[0,0,1] neg_hi:[0,0,1]
	v_add_u32_e32 v89, 4, v89
	v_add_u32_e32 v87, 32, v87
	v_pk_fma_f32 v[98:99], v[102:103], v[4:5], v[98:99] op_sel_hi:[0,1,1]
	v_pk_fma_f32 v[96:97], v[102:103], v[2:3], v[96:97] op_sel_hi:[0,1,1]
	s_cbranch_scc1 .LBB188_20
; %bb.21:                               ;   in Loop: Header=BB188_5 Depth=1
	s_or_b32 s2, s29, 0x100
	s_cmp_ge_i32 s2, s9
	s_barrier
	s_cbranch_scc1 .LBB188_4
; %bb.22:                               ;   in Loop: Header=BB188_5 Depth=1
	v_add_u32_e32 v2, s19, v39
	v_cmp_gt_i32_e64 s[2:3], s12, v2
	s_and_b64 s[24:25], s[0:1], s[2:3]
	s_and_saveexec_b64 s[2:3], s[24:25]
	s_cbranch_execz .LBB188_24
; %bb.23:                               ;   in Loop: Header=BB188_5 Depth=1
	v_add_u32_e32 v2, v100, v2
	v_mad_i64_i32 v[2:3], s[24:25], v2, 36, v[94:95]
	global_load_dword v2, v[2:3], off offset:4
	s_waitcnt vmcnt(0)
	ds_write_b32 v17, v2
.LBB188_24:                             ;   in Loop: Header=BB188_5 Depth=1
	s_or_b64 exec, exec, s[2:3]
	s_and_saveexec_b64 s[24:25], vcc
	s_cbranch_execz .LBB188_27
; %bb.25:                               ;   in Loop: Header=BB188_5 Depth=1
	v_or_b32_e32 v2, s19, v13
	v_or_b32_e32 v3, 8, v2
	v_cmp_gt_i32_e64 s[2:3], s12, v3
	s_and_b64 s[2:3], s[0:1], s[2:3]
	s_and_b64 exec, exec, s[2:3]
	s_cbranch_execz .LBB188_27
; %bb.26:                               ;   in Loop: Header=BB188_5 Depth=1
	v_ashrrev_i32_e32 v3, 31, v2
	v_add_co_u32_e64 v2, s[2:3], v100, v2
	v_addc_co_u32_e64 v4, s[2:3], v1, v3, s[2:3]
	v_mad_u64_u32 v[2:3], s[2:3], v2, 36, s[20:21]
	v_mad_i32_i24 v3, v4, 36, v3
	global_load_dword v2, v[2:3], off
	s_waitcnt vmcnt(0)
	v_cvt_f32_f16_e32 v2, v2
	ds_write_b32 v19, v2
.LBB188_27:                             ;   in Loop: Header=BB188_5 Depth=1
	s_or_b64 exec, exec, s[24:25]
	s_mov_b32 s2, 16
	s_mov_b32 s3, 14
	v_mov_b32_e32 v87, v53
	v_mov_b32_e32 v89, v55
	s_waitcnt lgkmcnt(0)
	s_barrier
.LBB188_28:                             ;   Parent Loop BB188_5 Depth=1
                                        ; =>  This Inner Loop Header: Depth=2
	s_add_i32 s25, s3, 2
	s_and_b32 s30, s2, -16
	s_and_b32 s31, s25, 0x3ffffff8
	s_lshr_b32 s33, s25, 2
	s_add_i32 s30, s3, s30
	s_lshl_b32 s31, s31, 2
	s_and_b32 s33, s33, 0x3ffffffc
	v_add_u32_e32 v116, s30, v71
	v_add_u32_e32 v120, s30, v69
	;; [unrolled: 1-line block ×12, first 2 shown]
	ds_read_b32 v102, v89
	ds_read_b128 v[6:9], v87
	ds_read_b128 v[2:5], v87 offset:16
	ds_read2_b32 v[104:105], v110 offset1:1
	ds_read2_b32 v[106:107], v110 offset0:2 offset1:3
	ds_read2_b32 v[108:109], v110 offset0:4 offset1:5
	;; [unrolled: 1-line block ×3, first 2 shown]
	ds_read2_b32 v[112:113], v118 offset1:1
	ds_read2_b32 v[114:115], v118 offset0:2 offset1:3
	ds_read_b32 v146, v117
	ds_read_u16 v147, v116 offset:16882
	ds_read2_b32 v[116:117], v118 offset0:4 offset1:5
	ds_read2_b32 v[118:119], v118 offset0:6 offset1:7
	ds_read_b32 v148, v121
	ds_read_u16 v149, v120 offset:17906
	ds_read2_b32 v[120:121], v126 offset1:1
	ds_read2_b32 v[122:123], v126 offset0:2 offset1:3
	ds_read2_b32 v[124:125], v126 offset0:4 offset1:5
	;; [unrolled: 1-line block ×3, first 2 shown]
	ds_read2_b32 v[128:129], v134 offset1:1
	ds_read2_b32 v[130:131], v134 offset0:2 offset1:3
	ds_read_b32 v150, v133
	ds_read_u16 v151, v132 offset:18930
	ds_read2_b32 v[132:133], v134 offset0:4 offset1:5
	ds_read2_b32 v[134:135], v134 offset0:6 offset1:7
	ds_read_b32 v145, v145
	ds_read_u16 v144, v144 offset:19954
	s_add_i32 s24, s3, -14
	s_waitcnt lgkmcnt(14)
	v_ashrrev_i32_e32 v152, s24, v104
	v_ashrrev_i32_e32 v154, s24, v106
	;; [unrolled: 1-line block ×4, first 2 shown]
	v_bfe_u32 v160, v147, 4, 4
	s_waitcnt lgkmcnt(12)
	v_bfe_u32 v162, v149, 4, 4
	v_cvt_f32_f16_e32 v104, v146
	v_cvt_f32_f16_sdwa v106, v146 dst_sel:DWORD dst_unused:UNUSED_PAD src0_sel:WORD_1
	s_waitcnt lgkmcnt(4)
	v_bfe_u32 v146, v151, 4, 4
	s_waitcnt lgkmcnt(0)
	v_bfe_u32 v166, v144, 4, 4
	v_mov_b32_e32 v93, 0
	v_mov_b32_e32 v136, 0
	;; [unrolled: 1-line block ×4, first 2 shown]
	v_ashrrev_i32_e32 v157, s24, v109
	v_ashrrev_i32_e32 v159, s24, v111
	v_cvt_f32_f16_e32 v109, v145
	v_cvt_f32_f16_sdwa v111, v145 dst_sel:DWORD dst_unused:UNUSED_PAD src0_sel:WORD_1
	v_and_b32_e32 v145, 0x3030303, v152
	v_and_b32_e32 v152, 0x3030303, v154
	;; [unrolled: 1-line block ×4, first 2 shown]
	v_mul_lo_u32 v158, v160, s10
	v_mul_lo_u32 v160, v162, s10
	;; [unrolled: 1-line block ×4, first 2 shown]
	v_ashrrev_i32_e32 v112, s24, v112
	v_dot4c_i32_i8_e32 v93, v158, v6
	v_dot4c_i32_i8_e32 v136, v160, v6
	;; [unrolled: 1-line block ×4, first 2 shown]
	v_mov_b32_e32 v91, 0
	v_mov_b32_e32 v103, 0
	v_ashrrev_i32_e32 v153, s24, v105
	v_ashrrev_i32_e32 v113, s24, v113
	;; [unrolled: 1-line block ×5, first 2 shown]
	v_and_b32_e32 v112, 0x3030303, v112
	v_dot4c_i32_i8_e32 v93, v158, v7
	v_dot4c_i32_i8_e32 v136, v160, v7
	;; [unrolled: 1-line block ×4, first 2 shown]
	v_mov_b32_e32 v101, 0
	v_mov_b32_e32 v137, 0
	;; [unrolled: 1-line block ×4, first 2 shown]
	v_ashrrev_i32_e32 v155, s24, v107
	v_lshrrev_b32_sdwa v161, v83, v147 dst_sel:DWORD dst_unused:UNUSED_PAD src0_sel:DWORD src1_sel:BYTE_1
	v_ashrrev_i32_e32 v114, s24, v114
	v_ashrrev_i32_e32 v117, s24, v117
	v_lshrrev_b32_sdwa v163, v83, v149 dst_sel:DWORD dst_unused:UNUSED_PAD src0_sel:DWORD src1_sel:BYTE_1
	v_cvt_f32_f16_e32 v105, v148
	v_cvt_f32_f16_sdwa v107, v148 dst_sel:DWORD dst_unused:UNUSED_PAD src0_sel:WORD_1
	v_ashrrev_i32_e32 v121, s24, v121
	v_ashrrev_i32_e32 v124, s24, v124
	v_lshrrev_b32_sdwa v148, v83, v151 dst_sel:DWORD dst_unused:UNUSED_PAD src0_sel:DWORD src1_sel:BYTE_1
	v_ashrrev_i32_e32 v129, s24, v129
	v_ashrrev_i32_e32 v132, s24, v132
	v_lshrrev_b32_sdwa v167, v83, v144 dst_sel:DWORD dst_unused:UNUSED_PAD src0_sel:DWORD src1_sel:BYTE_1
	v_cvt_f32_f16_e32 v108, v150
	v_cvt_f32_f16_sdwa v110, v150 dst_sel:DWORD dst_unused:UNUSED_PAD src0_sel:WORD_1
	v_and_b32_e32 v150, 0x3030303, v153
	v_and_b32_e32 v113, 0x3030303, v113
	;; [unrolled: 1-line block ×5, first 2 shown]
	v_dot4c_i32_i8_e32 v91, v145, v6
	v_dot4c_i32_i8_e32 v103, v112, v6
	;; [unrolled: 1-line block ×6, first 2 shown]
	v_mov_b32_e32 v140, 0
	v_mov_b32_e32 v143, 0
	v_ashrrev_i32_e32 v115, s24, v115
	v_ashrrev_i32_e32 v118, s24, v118
	;; [unrolled: 1-line block ×6, first 2 shown]
	v_and_b32_e32 v153, 0x3030303, v155
	v_and_b32_e32 v155, 0x3030303, v157
	;; [unrolled: 1-line block ×3, first 2 shown]
	v_mul_lo_u32 v159, v161, s10
	v_and_b32_e32 v114, 0x3030303, v114
	v_and_b32_e32 v117, 0x3030303, v117
	v_mul_lo_u32 v161, v163, s10
	v_and_b32_e32 v121, 0x3030303, v121
	v_and_b32_e32 v124, 0x3030303, v124
	;; [unrolled: 3-line block ×3, first 2 shown]
	v_mul_lo_u32 v163, v167, s10
	v_dot4c_i32_i8_e32 v101, v154, v2
	v_dot4c_i32_i8_e32 v137, v116, v2
	;; [unrolled: 1-line block ×10, first 2 shown]
	v_ashrrev_i32_e32 v119, s24, v119
	v_ashrrev_i32_e32 v123, s24, v123
	v_ashrrev_i32_e32 v126, s24, v126
	v_ashrrev_i32_e32 v131, s24, v131
	v_ashrrev_i32_e32 v134, s24, v134
	v_and_b32_e32 v115, 0x3030303, v115
	v_and_b32_e32 v118, 0x3030303, v118
	v_and_b32_e32 v122, 0x3030303, v122
	v_and_b32_e32 v125, 0x3030303, v125
	v_and_b32_e32 v130, 0x3030303, v130
	v_and_b32_e32 v133, 0x3030303, v133
	v_dot4c_i32_i8_e32 v140, v124, v2
	v_dot4c_i32_i8_e32 v143, v132, v2
	v_dot4c_i32_i8_e32 v101, v155, v3
	v_dot4c_i32_i8_e32 v137, v117, v3
	v_dot4c_i32_i8_e32 v138, v121, v7
	v_dot4c_i32_i8_e32 v141, v129, v7
	v_dot4c_i32_i8_e32 v91, v152, v8
	v_dot4c_i32_i8_e32 v103, v114, v8
	v_dot4c_i32_i8_e32 v93, v159, v2
	v_dot4c_i32_i8_e32 v136, v161, v2
	v_dot4c_i32_i8_e32 v139, v148, v2
	v_dot4c_i32_i8_e32 v142, v163, v2
	v_and_b32_e32 v164, 15, v147
	v_and_b32_e32 v165, 15, v149
	v_ashrrev_i32_e32 v127, s24, v127
	v_ashrrev_i32_e32 v135, s24, v135
	v_and_b32_e32 v119, 0x3030303, v119
	v_and_b32_e32 v123, 0x3030303, v123
	v_and_b32_e32 v126, 0x3030303, v126
	v_and_b32_e32 v131, 0x3030303, v131
	v_and_b32_e32 v134, 0x3030303, v134
	v_dot4c_i32_i8_e32 v140, v125, v3
	v_dot4c_i32_i8_e32 v143, v133, v3
	;; [unrolled: 1-line block ×12, first 2 shown]
	s_add_i32 s2, s2, 2
	v_and_b32_sdwa v149, v149, v85 dst_sel:DWORD dst_unused:UNUSED_PAD src0_sel:BYTE_1 src1_sel:DWORD
	v_and_b32_sdwa v147, v147, v85 dst_sel:DWORD dst_unused:UNUSED_PAD src0_sel:BYTE_1 src1_sel:DWORD
	v_and_b32_e32 v168, 15, v151
	v_and_b32_e32 v169, 15, v144
	;; [unrolled: 1-line block ×4, first 2 shown]
	v_dot4c_i32_i8_e32 v140, v126, v4
	v_dot4c_i32_i8_e32 v143, v134, v4
	v_dot4c_i32_i8_e32 v101, v157, v5
	v_dot4c_i32_i8_e32 v137, v119, v5
	v_dot4c_i32_i8_e32 v138, v123, v9
	v_dot4c_i32_i8_e32 v141, v131, v9
	v_mul_lo_u32 v6, v165, v103
	v_mul_lo_u32 v8, v164, v91
	v_dot4c_i32_i8_e32 v93, v159, v4
	v_dot4c_i32_i8_e32 v136, v161, v4
	;; [unrolled: 1-line block ×4, first 2 shown]
	s_mov_b32 s3, s25
	s_cmp_lt_u32 s25, 22
	v_and_b32_sdwa v144, v144, v85 dst_sel:DWORD dst_unused:UNUSED_PAD src0_sel:BYTE_1 src1_sel:DWORD
	v_and_b32_sdwa v151, v151, v85 dst_sel:DWORD dst_unused:UNUSED_PAD src0_sel:BYTE_1 src1_sel:DWORD
	v_dot4c_i32_i8_e32 v140, v127, v5
	v_dot4c_i32_i8_e32 v143, v135, v5
	v_mul_lo_u32 v2, v169, v141
	v_mul_lo_u32 v112, v168, v138
	v_mad_u64_u32 v[8:9], s[24:25], v147, v101, v[8:9]
	v_mad_u64_u32 v[6:7], s[24:25], v149, v137, v[6:7]
	v_dot4c_i32_i8_e32 v93, v159, v5
	v_dot4c_i32_i8_e32 v136, v161, v5
	;; [unrolled: 1-line block ×4, first 2 shown]
	v_mad_u64_u32 v[112:113], s[24:25], v151, v140, v[112:113]
	v_mad_u64_u32 v[2:3], s[24:25], v144, v143, v[2:3]
	v_cvt_f32_i32_e32 v7, v6
	v_cvt_f32_i32_e32 v6, v8
	;; [unrolled: 1-line block ×8, first 2 shown]
	v_pk_mul_f32 v[4:5], v[106:107], v[4:5]
	v_pk_mul_f32 v[8:9], v[110:111], v[8:9]
	v_pk_fma_f32 v[4:5], v[104:105], v[6:7], v[4:5] neg_lo:[0,0,1] neg_hi:[0,0,1]
	v_pk_fma_f32 v[2:3], v[108:109], v[2:3], v[8:9] neg_lo:[0,0,1] neg_hi:[0,0,1]
	v_add_u32_e32 v89, 4, v89
	v_add_u32_e32 v87, 32, v87
	v_pk_fma_f32 v[98:99], v[102:103], v[4:5], v[98:99] op_sel_hi:[0,1,1]
	v_pk_fma_f32 v[96:97], v[102:103], v[2:3], v[96:97] op_sel_hi:[0,1,1]
	s_cbranch_scc1 .LBB188_28
; %bb.29:                               ;   in Loop: Header=BB188_5 Depth=1
	s_or_b32 s2, s29, 0x180
	s_cmp_ge_i32 s2, s9
	s_barrier
	s_cbranch_scc1 .LBB188_4
; %bb.30:                               ;   in Loop: Header=BB188_5 Depth=1
	v_add_u32_e32 v2, s19, v41
	v_cmp_gt_i32_e64 s[2:3], s12, v2
	s_and_b64 s[24:25], s[0:1], s[2:3]
	s_and_saveexec_b64 s[2:3], s[24:25]
	s_cbranch_execz .LBB188_32
; %bb.31:                               ;   in Loop: Header=BB188_5 Depth=1
	v_add_u32_e32 v2, v100, v2
	v_mad_i64_i32 v[2:3], s[24:25], v2, 36, v[94:95]
	global_load_dword v2, v[2:3], off offset:4
	s_waitcnt vmcnt(0)
	ds_write_b32 v17, v2
.LBB188_32:                             ;   in Loop: Header=BB188_5 Depth=1
	s_or_b64 exec, exec, s[2:3]
	s_and_saveexec_b64 s[24:25], vcc
	s_cbranch_execz .LBB188_35
; %bb.33:                               ;   in Loop: Header=BB188_5 Depth=1
	v_or_b32_e32 v2, s19, v13
	v_or_b32_e32 v3, 12, v2
	v_cmp_gt_i32_e64 s[2:3], s12, v3
	s_and_b64 s[2:3], s[0:1], s[2:3]
	s_and_b64 exec, exec, s[2:3]
	s_cbranch_execz .LBB188_35
; %bb.34:                               ;   in Loop: Header=BB188_5 Depth=1
	v_ashrrev_i32_e32 v3, 31, v2
	v_add_co_u32_e64 v2, s[2:3], v100, v2
	v_addc_co_u32_e64 v4, s[2:3], v1, v3, s[2:3]
	v_mad_u64_u32 v[2:3], s[2:3], v2, 36, s[22:23]
	v_mad_i32_i24 v3, v4, 36, v3
	global_load_dword v2, v[2:3], off
	s_waitcnt vmcnt(0)
	v_cvt_f32_f16_e32 v2, v2
	ds_write_b32 v19, v2
.LBB188_35:                             ;   in Loop: Header=BB188_5 Depth=1
	s_or_b64 exec, exec, s[24:25]
	s_mov_b32 s2, 24
	s_mov_b32 s3, 22
	v_mov_b32_e32 v87, v53
	v_mov_b32_e32 v89, v55
	s_waitcnt lgkmcnt(0)
	s_barrier
.LBB188_36:                             ;   Parent Loop BB188_5 Depth=1
                                        ; =>  This Inner Loop Header: Depth=2
	s_add_i32 s24, s3, 2
	s_and_b32 s25, s2, -16
	s_and_b32 s29, s24, 0x3ffffff8
	s_lshr_b32 s30, s24, 2
	s_add_i32 s25, s3, s25
	s_lshl_b32 s29, s29, 2
	s_and_b32 s30, s30, 0x3ffffffc
	v_add_u32_e32 v116, s25, v71
	v_add_u32_e32 v120, s25, v69
	;; [unrolled: 1-line block ×12, first 2 shown]
	ds_read_b32 v102, v89
	ds_read_b128 v[6:9], v87
	ds_read_b128 v[2:5], v87 offset:16
	ds_read2_b32 v[104:105], v110 offset1:1
	ds_read2_b32 v[106:107], v110 offset0:2 offset1:3
	ds_read2_b32 v[108:109], v110 offset0:4 offset1:5
	;; [unrolled: 1-line block ×3, first 2 shown]
	ds_read2_b32 v[112:113], v118 offset1:1
	ds_read2_b32 v[114:115], v118 offset0:2 offset1:3
	ds_read_b32 v146, v117
	ds_read_u16 v147, v116 offset:16882
	ds_read2_b32 v[116:117], v118 offset0:4 offset1:5
	ds_read2_b32 v[118:119], v118 offset0:6 offset1:7
	ds_read_b32 v148, v121
	ds_read_u16 v149, v120 offset:17906
	ds_read2_b32 v[120:121], v126 offset1:1
	ds_read2_b32 v[122:123], v126 offset0:2 offset1:3
	ds_read2_b32 v[124:125], v126 offset0:4 offset1:5
	;; [unrolled: 1-line block ×3, first 2 shown]
	ds_read2_b32 v[128:129], v134 offset1:1
	ds_read2_b32 v[130:131], v134 offset0:2 offset1:3
	ds_read_b32 v150, v133
	ds_read_u16 v151, v132 offset:18930
	ds_read2_b32 v[132:133], v134 offset0:4 offset1:5
	ds_read2_b32 v[134:135], v134 offset0:6 offset1:7
	ds_read_b32 v145, v145
	ds_read_u16 v144, v144 offset:19954
	s_sub_i32 s19, s3, 22
	s_waitcnt lgkmcnt(14)
	v_ashrrev_i32_e32 v152, s19, v104
	v_ashrrev_i32_e32 v154, s19, v106
	;; [unrolled: 1-line block ×4, first 2 shown]
	v_bfe_u32 v160, v147, 4, 4
	s_waitcnt lgkmcnt(12)
	v_bfe_u32 v162, v149, 4, 4
	v_cvt_f32_f16_e32 v104, v146
	v_cvt_f32_f16_sdwa v106, v146 dst_sel:DWORD dst_unused:UNUSED_PAD src0_sel:WORD_1
	s_waitcnt lgkmcnt(4)
	v_bfe_u32 v146, v151, 4, 4
	s_waitcnt lgkmcnt(0)
	v_bfe_u32 v166, v144, 4, 4
	v_mov_b32_e32 v136, 0
	v_mov_b32_e32 v137, 0
	;; [unrolled: 1-line block ×4, first 2 shown]
	v_ashrrev_i32_e32 v157, s19, v109
	v_ashrrev_i32_e32 v159, s19, v111
	v_cvt_f32_f16_e32 v109, v145
	v_cvt_f32_f16_sdwa v111, v145 dst_sel:DWORD dst_unused:UNUSED_PAD src0_sel:WORD_1
	v_and_b32_e32 v145, 0x3030303, v152
	v_and_b32_e32 v152, 0x3030303, v154
	;; [unrolled: 1-line block ×4, first 2 shown]
	v_mul_lo_u32 v158, v160, s10
	v_mul_lo_u32 v160, v162, s10
	v_mul_lo_u32 v146, v146, s10
	v_mul_lo_u32 v162, v166, s10
	v_ashrrev_i32_e32 v112, s19, v112
	v_dot4c_i32_i8_e32 v136, v158, v6
	v_dot4c_i32_i8_e32 v137, v160, v6
	;; [unrolled: 1-line block ×4, first 2 shown]
	v_mov_b32_e32 v91, 0
	v_mov_b32_e32 v101, 0
	v_ashrrev_i32_e32 v153, s19, v105
	v_ashrrev_i32_e32 v113, s19, v113
	;; [unrolled: 1-line block ×5, first 2 shown]
	v_and_b32_e32 v112, 0x3030303, v112
	v_dot4c_i32_i8_e32 v136, v158, v7
	v_dot4c_i32_i8_e32 v137, v160, v7
	;; [unrolled: 1-line block ×4, first 2 shown]
	v_mov_b32_e32 v93, 0
	v_mov_b32_e32 v103, 0
	v_mov_b32_e32 v138, 0
	v_mov_b32_e32 v140, 0
	v_ashrrev_i32_e32 v155, s19, v107
	v_ashrrev_i32_e32 v114, s19, v114
	;; [unrolled: 1-line block ×3, first 2 shown]
	v_lshrrev_b32_sdwa v161, v83, v147 dst_sel:DWORD dst_unused:UNUSED_PAD src0_sel:DWORD src1_sel:BYTE_1
	v_lshrrev_b32_sdwa v165, v83, v149 dst_sel:DWORD dst_unused:UNUSED_PAD src0_sel:DWORD src1_sel:BYTE_1
	v_cvt_f32_f16_e32 v105, v148
	v_cvt_f32_f16_sdwa v107, v148 dst_sel:DWORD dst_unused:UNUSED_PAD src0_sel:WORD_1
	v_ashrrev_i32_e32 v121, s19, v121
	v_ashrrev_i32_e32 v124, s19, v124
	;; [unrolled: 1-line block ×4, first 2 shown]
	v_lshrrev_b32_sdwa v148, v83, v151 dst_sel:DWORD dst_unused:UNUSED_PAD src0_sel:DWORD src1_sel:BYTE_1
	v_lshrrev_b32_sdwa v169, v83, v144 dst_sel:DWORD dst_unused:UNUSED_PAD src0_sel:DWORD src1_sel:BYTE_1
	v_cvt_f32_f16_e32 v108, v150
	v_cvt_f32_f16_sdwa v110, v150 dst_sel:DWORD dst_unused:UNUSED_PAD src0_sel:WORD_1
	v_and_b32_e32 v150, 0x3030303, v153
	v_and_b32_e32 v113, 0x3030303, v113
	v_and_b32_e32 v116, 0x3030303, v116
	v_and_b32_e32 v120, 0x3030303, v120
	v_and_b32_e32 v128, 0x3030303, v128
	v_dot4c_i32_i8_e32 v91, v145, v6
	v_dot4c_i32_i8_e32 v101, v112, v6
	;; [unrolled: 1-line block ×6, first 2 shown]
	v_mov_b32_e32 v139, 0
	v_mov_b32_e32 v141, 0
	v_ashrrev_i32_e32 v115, s19, v115
	v_ashrrev_i32_e32 v118, s19, v118
	v_ashrrev_i32_e32 v122, s19, v122
	v_ashrrev_i32_e32 v125, s19, v125
	v_ashrrev_i32_e32 v130, s19, v130
	v_ashrrev_i32_e32 v133, s19, v133
	v_and_b32_e32 v153, 0x3030303, v155
	v_and_b32_e32 v155, 0x3030303, v157
	;; [unrolled: 1-line block ×5, first 2 shown]
	v_mul_lo_u32 v159, v161, s10
	v_mul_lo_u32 v161, v165, s10
	v_and_b32_e32 v121, 0x3030303, v121
	v_and_b32_e32 v124, 0x3030303, v124
	;; [unrolled: 1-line block ×4, first 2 shown]
	v_mul_lo_u32 v148, v148, s10
	v_mul_lo_u32 v165, v169, s10
	v_dot4c_i32_i8_e32 v93, v154, v2
	v_dot4c_i32_i8_e32 v103, v116, v2
	;; [unrolled: 1-line block ×10, first 2 shown]
	v_ashrrev_i32_e32 v119, s19, v119
	v_ashrrev_i32_e32 v123, s19, v123
	;; [unrolled: 1-line block ×5, first 2 shown]
	v_and_b32_e32 v115, 0x3030303, v115
	v_and_b32_e32 v118, 0x3030303, v118
	;; [unrolled: 1-line block ×6, first 2 shown]
	v_dot4c_i32_i8_e32 v139, v124, v2
	v_dot4c_i32_i8_e32 v141, v132, v2
	;; [unrolled: 1-line block ×12, first 2 shown]
	v_and_b32_e32 v163, 15, v147
	v_and_b32_e32 v164, 15, v149
	v_ashrrev_i32_e32 v127, s19, v127
	v_ashrrev_i32_e32 v135, s19, v135
	v_and_b32_e32 v119, 0x3030303, v119
	v_and_b32_e32 v123, 0x3030303, v123
	;; [unrolled: 1-line block ×5, first 2 shown]
	v_dot4c_i32_i8_e32 v139, v125, v3
	v_dot4c_i32_i8_e32 v141, v133, v3
	;; [unrolled: 1-line block ×12, first 2 shown]
	s_add_i32 s2, s2, 2
	v_and_b32_sdwa v149, v149, v85 dst_sel:DWORD dst_unused:UNUSED_PAD src0_sel:BYTE_1 src1_sel:DWORD
	v_and_b32_sdwa v147, v147, v85 dst_sel:DWORD dst_unused:UNUSED_PAD src0_sel:BYTE_1 src1_sel:DWORD
	v_and_b32_e32 v167, 15, v151
	v_and_b32_e32 v168, 15, v144
	;; [unrolled: 1-line block ×4, first 2 shown]
	v_dot4c_i32_i8_e32 v139, v126, v4
	v_dot4c_i32_i8_e32 v141, v134, v4
	;; [unrolled: 1-line block ×6, first 2 shown]
	v_mul_lo_u32 v6, v164, v101
	v_mul_lo_u32 v8, v163, v91
	v_dot4c_i32_i8_e32 v136, v159, v4
	v_dot4c_i32_i8_e32 v137, v161, v4
	;; [unrolled: 1-line block ×4, first 2 shown]
	s_mov_b32 s3, s24
	s_cmp_lt_u32 s24, 30
	v_and_b32_sdwa v144, v144, v85 dst_sel:DWORD dst_unused:UNUSED_PAD src0_sel:BYTE_1 src1_sel:DWORD
	v_and_b32_sdwa v151, v151, v85 dst_sel:DWORD dst_unused:UNUSED_PAD src0_sel:BYTE_1 src1_sel:DWORD
	v_dot4c_i32_i8_e32 v139, v127, v5
	v_dot4c_i32_i8_e32 v141, v135, v5
	v_mul_lo_u32 v112, v168, v140
	v_mul_lo_u32 v114, v167, v138
	v_mad_u64_u32 v[8:9], s[24:25], v147, v93, v[8:9]
	v_mad_u64_u32 v[6:7], s[24:25], v149, v103, v[6:7]
	v_dot4c_i32_i8_e32 v136, v159, v5
	v_dot4c_i32_i8_e32 v137, v161, v5
	;; [unrolled: 1-line block ×4, first 2 shown]
	v_mad_u64_u32 v[2:3], s[24:25], v151, v139, v[114:115]
	v_mad_u64_u32 v[112:113], s[24:25], v144, v141, v[112:113]
	v_cvt_f32_i32_e32 v7, v6
	v_cvt_f32_i32_e32 v6, v8
	;; [unrolled: 1-line block ×8, first 2 shown]
	v_pk_mul_f32 v[4:5], v[106:107], v[4:5]
	v_pk_mul_f32 v[8:9], v[110:111], v[8:9]
	v_pk_fma_f32 v[4:5], v[104:105], v[6:7], v[4:5] neg_lo:[0,0,1] neg_hi:[0,0,1]
	v_pk_fma_f32 v[2:3], v[108:109], v[2:3], v[8:9] neg_lo:[0,0,1] neg_hi:[0,0,1]
	v_add_u32_e32 v89, 4, v89
	v_add_u32_e32 v87, 32, v87
	v_pk_fma_f32 v[98:99], v[102:103], v[4:5], v[98:99] op_sel_hi:[0,1,1]
	v_pk_fma_f32 v[96:97], v[102:103], v[2:3], v[96:97] op_sel_hi:[0,1,1]
	s_cbranch_scc1 .LBB188_36
; %bb.37:                               ;   in Loop: Header=BB188_5 Depth=1
	s_barrier
	s_branch .LBB188_4
.LBB188_38:
	s_mul_i32 s0, s14, s11
	s_waitcnt vmcnt(0)
	v_cmp_gt_i32_e32 vcc, s0, v11
	s_and_saveexec_b64 s[0:1], vcc
	s_cbranch_execz .LBB188_47
; %bb.39:
	v_and_b32_e32 v0, 0x3ff, v0
	v_add_u32_e32 v1, s15, v0
	v_mul_lo_u32 v0, v11, s13
	v_cmp_gt_u32_e32 vcc, s13, v1
	s_and_saveexec_b64 s[0:1], vcc
	s_cbranch_execz .LBB188_41
; %bb.40:
	v_add_u32_e32 v2, v0, v1
	v_mov_b32_e32 v3, 0
	v_lshlrev_b64 v[2:3], 2, v[2:3]
	v_mov_b32_e32 v4, s17
	v_add_co_u32_e32 v2, vcc, s16, v2
	v_addc_co_u32_e32 v3, vcc, v4, v3, vcc
	global_store_dword v[2:3], v98, off
.LBB188_41:
	s_or_b64 exec, exec, s[0:1]
	v_add_u32_e32 v2, 32, v1
	v_cmp_gt_u32_e32 vcc, s13, v2
	s_and_saveexec_b64 s[0:1], vcc
	s_cbranch_execz .LBB188_43
; %bb.42:
	v_add_u32_e32 v2, v0, v2
	v_mov_b32_e32 v3, 0
	v_lshlrev_b64 v[2:3], 2, v[2:3]
	v_mov_b32_e32 v4, s17
	v_add_co_u32_e32 v2, vcc, s16, v2
	v_addc_co_u32_e32 v3, vcc, v4, v3, vcc
	global_store_dword v[2:3], v99, off
.LBB188_43:
	s_or_b64 exec, exec, s[0:1]
	v_add_u32_e32 v2, 64, v1
	;; [unrolled: 14-line block ×3, first 2 shown]
	v_cmp_gt_u32_e32 vcc, s13, v1
	s_and_b64 exec, exec, vcc
	s_cbranch_execz .LBB188_47
; %bb.46:
	v_add_u32_e32 v0, v0, v1
	v_mov_b32_e32 v1, 0
	v_lshlrev_b64 v[0:1], 2, v[0:1]
	v_mov_b32_e32 v2, s17
	v_add_co_u32_e32 v0, vcc, s16, v0
	v_addc_co_u32_e32 v1, vcc, v2, v1, vcc
	global_store_dword v[0:1], v97, off
.LBB188_47:
	s_endpgm
	.section	.rodata,"a",@progbits
	.p2align	6, 0x0
	.amdhsa_kernel _ZL8moe_q2_KIfLb1EEvPKvS1_PT_PKiS5_S5_iiiiiii
		.amdhsa_group_segment_fixed_size 23328
		.amdhsa_private_segment_fixed_size 0
		.amdhsa_kernarg_size 76
		.amdhsa_user_sgpr_count 6
		.amdhsa_user_sgpr_private_segment_buffer 1
		.amdhsa_user_sgpr_dispatch_ptr 0
		.amdhsa_user_sgpr_queue_ptr 0
		.amdhsa_user_sgpr_kernarg_segment_ptr 1
		.amdhsa_user_sgpr_dispatch_id 0
		.amdhsa_user_sgpr_flat_scratch_init 0
		.amdhsa_user_sgpr_kernarg_preload_length 0
		.amdhsa_user_sgpr_kernarg_preload_offset 0
		.amdhsa_user_sgpr_private_segment_size 0
		.amdhsa_uses_dynamic_stack 0
		.amdhsa_system_sgpr_private_segment_wavefront_offset 0
		.amdhsa_system_sgpr_workgroup_id_x 1
		.amdhsa_system_sgpr_workgroup_id_y 1
		.amdhsa_system_sgpr_workgroup_id_z 0
		.amdhsa_system_sgpr_workgroup_info 0
		.amdhsa_system_vgpr_workitem_id 1
		.amdhsa_next_free_vgpr 170
		.amdhsa_next_free_sgpr 34
		.amdhsa_accum_offset 172
		.amdhsa_reserve_vcc 1
		.amdhsa_reserve_flat_scratch 0
		.amdhsa_float_round_mode_32 0
		.amdhsa_float_round_mode_16_64 0
		.amdhsa_float_denorm_mode_32 3
		.amdhsa_float_denorm_mode_16_64 3
		.amdhsa_dx10_clamp 1
		.amdhsa_ieee_mode 1
		.amdhsa_fp16_overflow 0
		.amdhsa_tg_split 0
		.amdhsa_exception_fp_ieee_invalid_op 0
		.amdhsa_exception_fp_denorm_src 0
		.amdhsa_exception_fp_ieee_div_zero 0
		.amdhsa_exception_fp_ieee_overflow 0
		.amdhsa_exception_fp_ieee_underflow 0
		.amdhsa_exception_fp_ieee_inexact 0
		.amdhsa_exception_int_div_zero 0
	.end_amdhsa_kernel
	.section	.text._ZL8moe_q2_KIfLb1EEvPKvS1_PT_PKiS5_S5_iiiiiii,"axG",@progbits,_ZL8moe_q2_KIfLb1EEvPKvS1_PT_PKiS5_S5_iiiiiii,comdat
.Lfunc_end188:
	.size	_ZL8moe_q2_KIfLb1EEvPKvS1_PT_PKiS5_S5_iiiiiii, .Lfunc_end188-_ZL8moe_q2_KIfLb1EEvPKvS1_PT_PKiS5_S5_iiiiiii
                                        ; -- End function
	.section	.AMDGPU.csdata,"",@progbits
; Kernel info:
; codeLenInByte = 8988
; NumSgprs: 38
; NumVgprs: 170
; NumAgprs: 0
; TotalNumVgprs: 170
; ScratchSize: 0
; MemoryBound: 0
; FloatMode: 240
; IeeeMode: 1
; LDSByteSize: 23328 bytes/workgroup (compile time only)
; SGPRBlocks: 4
; VGPRBlocks: 21
; NumSGPRsForWavesPerEU: 38
; NumVGPRsForWavesPerEU: 170
; AccumOffset: 172
; Occupancy: 2
; WaveLimiterHint : 1
; COMPUTE_PGM_RSRC2:SCRATCH_EN: 0
; COMPUTE_PGM_RSRC2:USER_SGPR: 6
; COMPUTE_PGM_RSRC2:TRAP_HANDLER: 0
; COMPUTE_PGM_RSRC2:TGID_X_EN: 1
; COMPUTE_PGM_RSRC2:TGID_Y_EN: 1
; COMPUTE_PGM_RSRC2:TGID_Z_EN: 0
; COMPUTE_PGM_RSRC2:TIDIG_COMP_CNT: 1
; COMPUTE_PGM_RSRC3_GFX90A:ACCUM_OFFSET: 42
; COMPUTE_PGM_RSRC3_GFX90A:TG_SPLIT: 0
	.section	.text._ZL8moe_q3_KIfLb0EEvPKvS1_PT_PKiS5_S5_iiiiiii,"axG",@progbits,_ZL8moe_q3_KIfLb0EEvPKvS1_PT_PKiS5_S5_iiiiiii,comdat
	.globl	_ZL8moe_q3_KIfLb0EEvPKvS1_PT_PKiS5_S5_iiiiiii ; -- Begin function _ZL8moe_q3_KIfLb0EEvPKvS1_PT_PKiS5_S5_iiiiiii
	.p2align	8
	.type	_ZL8moe_q3_KIfLb0EEvPKvS1_PT_PKiS5_S5_iiiiiii,@function
_ZL8moe_q3_KIfLb0EEvPKvS1_PT_PKiS5_S5_iiiiiii: ; @_ZL8moe_q3_KIfLb0EEvPKvS1_PT_PKiS5_S5_iiiiiii
; %bb.0:
	s_load_dwordx4 s[0:3], s[4:5], 0x18
	s_mov_b32 s8, s7
	s_mov_b32 s9, 0
	s_lshl_b64 s[10:11], s[8:9], 2
	s_waitcnt lgkmcnt(0)
	s_add_u32 s2, s2, s10
	s_addc_u32 s3, s3, s11
	s_load_dword s2, s[2:3], 0x0
	s_waitcnt lgkmcnt(0)
	s_cmpk_gt_u32 s2, 0xff
	s_cbranch_scc1 .LBB189_48
; %bb.1:
	s_load_dwordx2 s[10:11], s[4:5], 0x28
	s_lshl_b32 s3, s8, 3
	s_waitcnt lgkmcnt(0)
	s_load_dword s7, s[10:11], 0x0
	s_waitcnt lgkmcnt(0)
	s_cmp_gt_u32 s3, s7
	s_cbranch_scc1 .LBB189_48
; %bb.2:
	v_bfe_u32 v1, v0, 10, 10
	v_add_u32_e32 v10, s3, v1
	v_mov_b32_e32 v11, 0
	v_lshlrev_b64 v[2:3], 2, v[10:11]
	v_mov_b32_e32 v4, s1
	v_add_co_u32_e32 v2, vcc, s0, v2
	v_addc_co_u32_e32 v3, vcc, v4, v3, vcc
	global_load_dword v13, v[2:3], off
	s_load_dwordx2 s[14:15], s[4:5], 0x30
	s_load_dwordx2 s[12:13], s[4:5], 0x10
	s_load_dwordx4 s[8:11], s[4:5], 0x3c
	s_lshl_b32 s22, s6, 7
	s_mov_b32 s23, 0
	s_waitcnt lgkmcnt(0)
	s_cmpk_lt_i32 s15, 0x100
	s_cbranch_scc1 .LBB189_38
; %bb.3:
	s_ashr_i32 s0, s15, 31
	s_lshr_b32 s0, s0, 24
	s_load_dwordx4 s[4:7], s[4:5], 0x0
	s_add_i32 s0, s15, s0
	s_ashr_i32 s24, s0, 8
	s_ashr_i32 s0, s9, 31
	s_lshr_b32 s0, s0, 27
	s_add_i32 s0, s9, s0
	s_mul_i32 s2, s2, s14
	s_ashr_i32 s9, s0, 5
	s_ashr_i32 s0, s2, 31
	s_waitcnt lgkmcnt(0)
	s_add_u32 s1, s4, s2
	s_mul_i32 s2, s24, s22
	s_addc_u32 s0, s5, s0
	s_mul_hi_i32 s3, s2, 0x6e
	s_mulk_i32 s2, 0x6e
	s_add_u32 s25, s1, s2
	s_addc_u32 s26, s0, s3
	s_lshl_b32 s1, s24, 3
	v_mov_b32_e32 v4, s1
	v_mad_i32_i24 v16, s24, v1, v4
	v_add_u32_e32 v18, s1, v16
	v_add_u32_e32 v20, s1, v18
	v_add_u32_e32 v22, s1, v20
	v_add_u32_e32 v24, s1, v22
	v_add_u32_e32 v26, s1, v24
	v_add_u32_e32 v28, s1, v26
	v_add_u32_e32 v30, s1, v28
	v_add_u32_e32 v32, s1, v30
	v_add_u32_e32 v34, s1, v32
	v_and_b32_e32 v17, 0x3ff, v0
	v_add_u32_e32 v36, s1, v34
	v_add_u32_e32 v38, s1, v36
	v_lshlrev_b32_e32 v4, 4, v1
	v_lshrrev_b32_e32 v5, 1, v17
	v_add_u32_e32 v40, s1, v38
	v_and_b32_e32 v46, 1, v17
	v_add_u32_e32 v6, v5, v4
	v_add_u32_e32 v42, s1, v40
	v_and_b32_e32 v7, 0x7f, v6
	v_lshlrev_b32_e32 v8, 2, v46
	v_lshrrev_b32_e32 v6, 2, v6
	v_add_u32_e32 v44, s1, v42
	v_mul_i32_i24_e32 v48, s24, v7
	v_lshl_or_b32 v7, v7, 3, v8
	v_and_b32_e32 v6, 28, v6
	s_movk_i32 s1, 0x7380
	v_lshrrev_b32_e32 v10, 4, v17
	v_add3_u32 v51, v7, v6, s1
	v_lshlrev_b32_e32 v6, 1, v1
	v_add_u32_e32 v7, v10, v6
	v_add_u32_e32 v53, 32, v7
	v_and_b32_e32 v2, 15, v17
	v_lshlrev_b32_e32 v55, 1, v53
	v_lshlrev_b32_e32 v12, 2, v2
	s_movk_i32 s2, 0x4200
	v_and_b32_e32 v55, 0x3ffc, v55
	v_lshlrev_b32_e32 v92, 6, v53
	v_add_u32_e32 v53, 48, v7
	v_add3_u32 v87, v55, v12, s2
	v_lshlrev_b32_e32 v55, 1, v53
	s_lshl_b32 s3, s24, 4
	v_and_b32_e32 v55, 0x3ffc, v55
	v_lshlrev_b32_e32 v111, 6, v53
	v_add_u32_e32 v53, 64, v7
	v_mov_b32_e32 v11, s3
	v_add3_u32 v110, v55, v12, s2
	v_lshlrev_b32_e32 v55, 1, v53
	v_mad_i32_i24 v56, s24, v7, v11
	v_and_b32_e32 v55, 0x3ffc, v55
	v_lshlrev_b32_e32 v113, 6, v53
	v_add_u32_e32 v53, 0x50, v7
	v_add_u32_e32 v58, s3, v56
	v_add3_u32 v112, v55, v12, s2
	v_lshlrev_b32_e32 v55, 1, v53
	v_mul_i32_i24_e32 v54, s24, v7
	v_lshlrev_b32_e32 v8, 6, v7
	v_add_u32_e32 v9, 16, v7
	v_add_u32_e32 v60, s3, v58
	v_and_b32_e32 v55, 0x3ffc, v55
	v_lshlrev_b32_e32 v115, 6, v53
	v_add_u32_e32 v53, 0x60, v7
	v_add_u32_e32 v7, 0x70, v7
	v_cmp_lt_u32_e32 vcc, 7, v2
	v_and_b32_e32 v2, 7, v17
	v_add_u32_e32 v62, s3, v60
	v_add3_u32 v114, v55, v12, s2
	v_lshlrev_b32_e32 v55, 1, v53
	v_lshlrev_b32_e32 v117, 6, v53
	;; [unrolled: 1-line block ×3, first 2 shown]
	v_cndmask_b32_e64 v50, 0, 1, vcc
	v_lshlrev_b32_e32 v52, 2, v2
	v_add_u32_e32 v64, s3, v62
	v_and_b32_e32 v55, 0x3ffc, v55
	v_and_b32_e32 v53, 0x3ffc, v53
	v_cmp_lt_u32_e32 vcc, 3, v2
	v_and_b32_e32 v2, 3, v17
	v_add_u16_e32 v6, v10, v6
	v_add_u32_e32 v66, s3, v64
	v_add3_u32 v116, v55, v12, s2
	v_add3_u32 v118, v53, v12, s2
	v_lshlrev_b32_e32 v61, 2, v1
	v_lshrrev_b32_e32 v53, 3, v17
	v_cndmask_b32_e64 v70, 0, 1, vcc
	v_add_u16_e32 v55, -2, v2
	v_cmp_gt_u32_e32 vcc, 2, v2
	v_lshrrev_b16_e32 v6, 1, v6
	v_lshlrev_b32_e32 v11, 1, v9
	v_add_u32_e32 v68, s3, v66
	v_add_u32_e32 v59, v53, v61
	v_cndmask_b32_e32 v57, v55, v2, vcc
	v_mov_b32_e32 v63, 2
	s_lshl_b32 s3, s24, 5
	v_lshlrev_b32_e32 v3, 2, v17
	s_movk_i32 s0, 0x84
	v_lshlrev_b32_e32 v6, 2, v6
	v_and_b32_e32 v11, 0x3ffc, v11
	v_lshlrev_b32_sdwa v72, v63, v57 dst_sel:DWORD dst_unused:UNUSED_PAD src0_sel:DWORD src1_sel:BYTE_0
	v_add_u32_e32 v63, 32, v59
	v_mov_b32_e32 v65, s3
	v_mad_u32_u24 v19, v1, s0, v3
	v_add3_u32 v6, v6, v12, s2
	v_add3_u32 v11, v11, v12, s2
	v_cmp_lt_u32_e32 vcc, 1, v2
	v_lshlrev_b32_e32 v57, 1, v2
	v_mul_i32_i24_e32 v74, s24, v59
	v_and_b32_e32 v2, 0x1ffc, v59
	s_movk_i32 s2, 0x6300
	v_lshlrev_b32_e32 v119, 5, v59
	v_mad_i32_i24 v76, s24, v59, v65
	v_and_b32_e32 v65, 0x3ffc, v63
	v_lshlrev_b32_e32 v121, 5, v63
	v_add_u32_e32 v63, 64, v59
	v_add_u32_e32 v59, 0x60, v59
	v_and_b32_e32 v3, 28, v3
	v_cndmask_b32_e64 v55, 0, 1, vcc
	v_add3_u32 v120, v65, v52, s2
	v_and_b32_e32 v65, 0x3ffc, v63
	v_lshlrev_b32_e32 v123, 5, v63
	v_and_b32_e32 v63, 0x3ffc, v59
	v_lshlrev_b32_e32 v125, 5, v59
	v_and_b32_e32 v59, 31, v17
	v_add_co_u32_e32 v82, vcc, s6, v3
	v_lshlrev_b32_e32 v3, 7, v1
	v_mul_i32_i24_e32 v14, s24, v1
	v_lshl_or_b32 v1, v59, 2, v3
	v_add_u32_e32 v59, 0x77a0, v1
	v_or_b32_e32 v1, v61, v17
	v_mov_b32_e32 v61, 0x7ba0
	v_add_u32_e32 v95, 32, v17
	v_lshl_add_u32 v61, v1, 2, v61
	v_lshrrev_b32_e32 v1, 1, v95
	v_lshl_add_u32 v71, v95, 4, v1
	v_mov_b32_e32 v1, 0x1080
	v_add3_u32 v122, v65, v52, s2
	v_lshl_add_u32 v65, v17, 4, v5
	v_lshlrev_b32_e32 v5, 2, v10
	v_lshlrev_b32_e32 v69, 3, v17
	v_mad_u32_u24 v73, v17, s0, v1
	v_lshrrev_b32_e32 v1, 2, v95
	v_add3_u32 v69, v5, v69, s1
	v_and_b32_e32 v1, 0x7c, v1
	v_lshlrev_b32_e32 v5, 3, v95
	v_add_u32_e32 v94, 64, v17
	v_add_u32_e32 v93, 0x60, v17
	v_add3_u32 v75, v5, v1, s1
	v_mov_b32_e32 v1, 0x2100
	v_add3_u32 v2, v2, v52, s2
	v_add3_u32 v124, v63, v52, s2
	v_lshrrev_b32_e32 v84, 1, v93
	v_mad_u32_u24 v79, v17, s0, v1
	v_lshrrev_b32_e32 v1, 2, v94
	s_abs_i32 s2, s11
	v_and_b32_e32 v1, 0x7c, v1
	v_lshlrev_b32_e32 v5, 3, v94
	v_lshl_add_u32 v85, v93, 4, v84
	v_cvt_f32_u32_e32 v84, s2
	v_add3_u32 v81, v5, v1, s1
	v_mov_b32_e32 v1, 0x3180
	v_mad_u32_u24 v86, v17, s0, v1
	v_lshrrev_b32_e32 v1, 2, v93
	v_and_b32_e32 v1, 0x7c, v1
	v_lshlrev_b32_e32 v5, 3, v93
	v_add3_u32 v88, v5, v1, s1
	v_rcp_iflag_f32_e32 v1, v84
	s_sub_i32 s0, 0, s2
	s_waitcnt vmcnt(0)
	v_sub_u32_e32 v84, 0, v13
	v_max_i32_e32 v84, v13, v84
	v_mul_f32_e32 v1, 0x4f7ffffe, v1
	v_cvt_u32_f32_e32 v1, v1
	v_xor_b32_e32 v5, s11, v13
	s_add_u32 s4, s6, 0x90
	v_ashrrev_i32_e32 v5, 31, v5
	v_mul_lo_u32 v96, s0, v1
	v_mul_hi_u32 v96, v1, v96
	v_add_u32_e32 v1, v1, v96
	v_mul_hi_u32 v1, v84, v1
	v_mul_lo_u32 v96, v1, s2
	v_sub_u32_e32 v84, v84, v96
	v_add_u32_e32 v96, 1, v1
	v_cmp_le_u32_e64 s[0:1], s2, v84
	v_cndmask_b32_e64 v1, v1, v96, s[0:1]
	v_subrev_u32_e32 v96, s2, v84
	v_cndmask_b32_e64 v84, v84, v96, s[0:1]
	v_add_u32_e32 v96, 1, v1
	v_cmp_le_u32_e64 s[0:1], s2, v84
	v_cndmask_b32_e64 v1, v1, v96, s[0:1]
	s_addc_u32 s5, s7, 0
	v_xor_b32_e32 v1, v1, v5
	s_add_u32 s16, s6, 0x120
	v_mov_b32_e32 v63, s7
	v_lshrrev_b32_e32 v77, 1, v94
	v_sub_u32_e32 v1, v1, v5
	s_addc_u32 s17, s7, 0
	v_lshlrev_b32_e32 v9, 6, v9
	v_lshlrev_b32_e32 v7, 6, v7
	v_add_u32_e32 v78, s3, v76
	v_addc_co_u32_e32 v83, vcc, 0, v63, vcc
	v_lshlrev_b32_e32 v63, 5, v17
	v_lshl_add_u32 v77, v94, 4, v77
	v_lshrrev_b32_e32 v89, 3, v95
	v_lshrrev_b32_e32 v90, 3, v94
	;; [unrolled: 1-line block ×3, first 2 shown]
	v_mul_lo_u32 v84, v1, s9
	s_add_u32 s18, s6, 0x1b0
	v_and_b32_e32 v93, 0x1fc, v93
	v_and_b32_e32 v94, 0x1fc, v94
	;; [unrolled: 1-line block ×4, first 2 shown]
	s_movk_i32 s14, 0x6e
	v_mov_b32_e32 v15, 0
	v_add_u32_e32 v21, 0x420, v19
	v_add_u32_e32 v23, 0x840, v19
	;; [unrolled: 1-line block ×15, first 2 shown]
	s_movk_i32 s27, 0x60
	v_lshlrev_b32_e32 v55, 2, v55
	v_add_u32_e32 v80, s3, v78
	v_cmp_gt_u32_e32 vcc, 4, v17
	v_mul_u32_u24_e32 v67, 0x84, v17
	v_cmp_gt_i32_e64 s[0:1], s8, v1
	v_ashrrev_i32_e32 v1, 31, v84
	s_addc_u32 s19, s7, 0
	v_add_u32_e32 v97, 0x77a0, v3
	v_add_u32_e32 v98, 0x7ba0, v4
	;; [unrolled: 1-line block ×18, first 2 shown]
	s_mov_b32 s28, 0x30303030
	s_movk_i32 s29, 0x3f00
	s_movk_i32 s30, 0xe000
	v_add_u32_e32 v115, v2, v119
	v_add_u32_e32 v116, v120, v121
	v_add_u32_e32 v117, v122, v123
	v_add_u32_e32 v118, v124, v125
	v_mov_b32_e32 v119, 8
	v_mov_b32_e32 v92, 0
	;; [unrolled: 1-line block ×4, first 2 shown]
	s_branch .LBB189_5
.LBB189_4:                              ;   in Loop: Header=BB189_5 Depth=1
	s_add_i32 s23, s23, 2
	s_cmp_ge_i32 s23, s24
	s_cbranch_scc1 .LBB189_39
.LBB189_5:                              ; =>This Loop Header: Depth=1
                                        ;     Child Loop BB189_12 Depth 2
                                        ;     Child Loop BB189_20 Depth 2
	;; [unrolled: 1-line block ×4, first 2 shown]
	s_mul_i32 s2, s23, 0x6e
	s_mul_hi_u32 s3, s23, 0x6e
	s_add_u32 s2, s25, s2
	s_addc_u32 s3, s26, s3
	v_pk_mov_b32 v[2:3], s[2:3], s[2:3] op_sel:[0,1]
	v_mad_u64_u32 v[4:5], s[2:3], v10, s14, v[2:3]
	v_add_co_u32_e64 v4, s[2:3], v4, v12
	v_addc_co_u32_e64 v5, s[2:3], 0, v5, s[2:3]
	v_add_co_u32_e64 v4, s[2:3], 32, v4
	v_addc_co_u32_e64 v5, s[2:3], 0, v5, s[2:3]
	v_mad_u64_u32 v[6:7], s[2:3], v14, s14, v[4:5]
	v_mad_u64_u32 v[8:9], s[2:3], v16, s14, v[4:5]
	;; [unrolled: 1-line block ×8, first 2 shown]
	global_load_dword v132, v[6:7], off
	global_load_dword v133, v[8:9], off
	;; [unrolled: 1-line block ×8, first 2 shown]
	v_mad_u64_u32 v[6:7], s[2:3], v30, s14, v[4:5]
	v_mad_u64_u32 v[8:9], s[2:3], v32, s14, v[4:5]
	;; [unrolled: 1-line block ×8, first 2 shown]
	global_load_dword v140, v[6:7], off
	global_load_dword v141, v[8:9], off
	;; [unrolled: 1-line block ×8, first 2 shown]
	v_mad_u64_u32 v[4:5], s[2:3], v48, s14, v[2:3]
	v_mad_u64_u32 v[4:5], s[2:3], v46, s14, v[4:5]
	;; [unrolled: 1-line block ×3, first 2 shown]
	v_add_co_u32_e64 v6, s[2:3], v6, v52
	v_addc_co_u32_e64 v7, s[2:3], 0, v7, s[2:3]
	v_mad_u64_u32 v[120:121], s[2:3], v56, s14, v[6:7]
	v_mad_u64_u32 v[122:123], s[2:3], v58, s14, v[6:7]
	;; [unrolled: 1-line block ×7, first 2 shown]
	global_load_ushort v148, v[4:5], off offset:108
	global_load_dword v149, v[8:9], off
	s_nop 0
	global_load_dword v120, v[120:121], off
	s_nop 0
	global_load_dword v121, v[122:123], off
	s_nop 0
	global_load_dword v122, v[124:125], off
	global_load_dword v123, v[126:127], off
	s_nop 0
	global_load_dword v124, v[128:129], off
	global_load_dword v125, v[130:131], off
	v_mad_u64_u32 v[4:5], s[2:3], v68, s14, v[6:7]
	v_mad_u64_u32 v[2:3], s[2:3], v70, s14, v[2:3]
	v_add_co_u32_e64 v2, s[2:3], s27, v2
	v_addc_co_u32_e64 v3, s[2:3], 0, v3, s[2:3]
	global_load_dword v126, v[4:5], off
	v_mad_u64_u32 v[4:5], s[2:3], v74, s14, v[2:3]
	v_add_co_u32_e64 v6, s[2:3], v4, v72
	v_addc_co_u32_e64 v7, s[2:3], 0, v5, s[2:3]
	global_load_dword v127, v[6:7], off
	v_mad_u64_u32 v[6:7], s[2:3], v76, s14, v[2:3]
	v_mad_u64_u32 v[8:9], s[2:3], v78, s14, v[2:3]
	;; [unrolled: 1-line block ×3, first 2 shown]
	global_load_dword v128, v[2:3], off offset:8
	global_load_dword v129, v[8:9], off offset:8
	global_load_dword v130, v[6:7], off offset:8
	global_load_dword v131, v[4:5], off offset:8
	v_add_co_u32_e64 v4, s[2:3], v6, v72
	v_addc_co_u32_e64 v5, s[2:3], 0, v7, s[2:3]
	global_load_dword v6, v[4:5], off
	v_add_co_u32_e64 v4, s[2:3], v8, v72
	v_addc_co_u32_e64 v5, s[2:3], 0, v9, s[2:3]
	global_load_dword v4, v[4:5], off
	v_add_co_u32_e64 v2, s[2:3], v2, v72
	s_waitcnt vmcnt(31)
	ds_write_b32 v19, v132
	s_waitcnt vmcnt(30)
	ds_write_b32 v21, v133
	s_waitcnt vmcnt(29)
	ds_write_b32 v23, v134
	s_waitcnt vmcnt(28)
	ds_write_b32 v25, v135
	s_waitcnt vmcnt(27)
	ds_write_b32 v27, v136
	s_waitcnt vmcnt(26)
	ds_write_b32 v29, v137
	v_addc_co_u32_e64 v3, s[2:3], 0, v3, s[2:3]
	global_load_dword v2, v[2:3], off
	s_waitcnt vmcnt(26)
	ds_write_b32 v31, v138
	s_waitcnt vmcnt(25)
	ds_write_b32 v33, v139
	;; [unrolled: 2-line block ×7, first 2 shown]
	s_lshl_b32 s33, s23, 8
	s_cmp_lt_i32 s33, s15
	s_waitcnt vmcnt(16)
	v_cvt_f32_f16_e32 v3, v148
	ds_write_b32 v45, v145
	ds_write_b32 v47, v146
	;; [unrolled: 1-line block ×4, first 2 shown]
	s_waitcnt vmcnt(15)
	v_not_b32_e32 v3, v149
	ds_write_b32 v107, v3
	s_waitcnt vmcnt(14)
	v_not_b32_e32 v3, v120
	ds_write_b32 v108, v3
	;; [unrolled: 3-line block ×8, first 2 shown]
	s_waitcnt vmcnt(7)
	v_ashrrev_i32_e32 v3, v55, v127
	v_and_b32_e32 v3, 0xf0f0f0f, v3
	s_waitcnt vmcnt(3)
	v_ashrrev_i32_e32 v5, v57, v131
	v_lshlrev_b32_e32 v5, 4, v5
	v_and_or_b32 v3, v5, s28, v3
	v_lshlrev_b16_e32 v7, 8, v3
	v_and_b32_e32 v5, 0x3f00, v3
	v_add_u16_e32 v7, 0xe000, v7
	v_or_b32_sdwa v5, v5, v7 dst_sel:DWORD dst_unused:UNUSED_PAD src0_sel:DWORD src1_sel:BYTE_1
	v_and_b32_sdwa v7, v3, s29 dst_sel:DWORD dst_unused:UNUSED_PAD src0_sel:WORD_1 src1_sel:DWORD
	v_lshlrev_b16_sdwa v3, v119, v3 dst_sel:DWORD dst_unused:UNUSED_PAD src0_sel:DWORD src1_sel:WORD_1
	v_add_u16_e32 v3, 0xe000, v3
	v_or_b32_sdwa v3, v7, v3 dst_sel:DWORD dst_unused:UNUSED_PAD src0_sel:DWORD src1_sel:BYTE_1
	v_add_u16_e32 v5, 0xe000, v5
	v_add_u16_sdwa v3, v3, s30 dst_sel:WORD_1 dst_unused:UNUSED_PAD src0_sel:DWORD src1_sel:DWORD
	v_or_b32_e32 v3, v5, v3
	ds_write_b32 v115, v3
	s_waitcnt vmcnt(2)
	v_ashrrev_i32_e32 v3, v55, v6
	v_ashrrev_i32_e32 v5, v57, v130
	v_and_b32_e32 v3, 0xf0f0f0f, v3
	v_lshlrev_b32_e32 v5, 4, v5
	v_and_or_b32 v3, v5, s28, v3
	v_lshlrev_b16_e32 v6, 8, v3
	v_and_b32_e32 v5, 0x3f00, v3
	v_add_u16_e32 v6, 0xe000, v6
	v_or_b32_sdwa v5, v5, v6 dst_sel:DWORD dst_unused:UNUSED_PAD src0_sel:DWORD src1_sel:BYTE_1
	v_and_b32_sdwa v6, v3, s29 dst_sel:DWORD dst_unused:UNUSED_PAD src0_sel:WORD_1 src1_sel:DWORD
	v_lshlrev_b16_sdwa v3, v119, v3 dst_sel:DWORD dst_unused:UNUSED_PAD src0_sel:DWORD src1_sel:WORD_1
	v_add_u16_e32 v3, 0xe000, v3
	v_or_b32_sdwa v3, v6, v3 dst_sel:DWORD dst_unused:UNUSED_PAD src0_sel:DWORD src1_sel:BYTE_1
	v_add_u16_e32 v5, 0xe000, v5
	v_add_u16_sdwa v3, v3, s30 dst_sel:WORD_1 dst_unused:UNUSED_PAD src0_sel:DWORD src1_sel:DWORD
	v_or_b32_e32 v3, v5, v3
	ds_write_b32 v116, v3
	s_waitcnt vmcnt(1)
	v_ashrrev_i32_e32 v3, v55, v4
	v_ashrrev_i32_e32 v4, v57, v129
	v_and_b32_e32 v3, 0xf0f0f0f, v3
	;; [unrolled: 18-line block ×3, first 2 shown]
	v_lshlrev_b32_e32 v3, 4, v3
	v_and_or_b32 v2, v3, s28, v2
	v_lshlrev_b16_e32 v4, 8, v2
	v_and_b32_e32 v3, 0x3f00, v2
	v_add_u16_e32 v4, 0xe000, v4
	v_or_b32_sdwa v3, v3, v4 dst_sel:DWORD dst_unused:UNUSED_PAD src0_sel:DWORD src1_sel:BYTE_1
	v_and_b32_sdwa v4, v2, s29 dst_sel:DWORD dst_unused:UNUSED_PAD src0_sel:WORD_1 src1_sel:DWORD
	v_lshlrev_b16_sdwa v2, v119, v2 dst_sel:DWORD dst_unused:UNUSED_PAD src0_sel:DWORD src1_sel:WORD_1
	v_add_u16_e32 v2, 0xe000, v2
	v_or_b32_sdwa v2, v4, v2 dst_sel:DWORD dst_unused:UNUSED_PAD src0_sel:DWORD src1_sel:BYTE_1
	v_add_u16_e32 v3, 0xe000, v3
	v_add_u16_sdwa v2, v2, s30 dst_sel:WORD_1 dst_unused:UNUSED_PAD src0_sel:DWORD src1_sel:DWORD
	v_or_b32_e32 v2, v3, v2
	ds_write_b32 v118, v2
	s_cbranch_scc0 .LBB189_4
; %bb.6:                                ;   in Loop: Header=BB189_5 Depth=1
	s_lshl_b32 s31, s23, 3
	v_add_u32_e32 v2, s31, v53
	v_cmp_gt_i32_e64 s[2:3], s9, v2
	s_and_b64 s[20:21], s[0:1], s[2:3]
	s_and_saveexec_b64 s[2:3], s[20:21]
	s_cbranch_execz .LBB189_8
; %bb.7:                                ;   in Loop: Header=BB189_5 Depth=1
	v_add_u32_e32 v2, v84, v2
	v_mad_i64_i32 v[2:3], s[20:21], v2, 36, v[82:83]
	global_load_dword v2, v[2:3], off offset:4
	s_waitcnt vmcnt(0)
	ds_write_b32 v59, v2
.LBB189_8:                              ;   in Loop: Header=BB189_5 Depth=1
	s_or_b64 exec, exec, s[2:3]
	s_and_saveexec_b64 s[20:21], vcc
	s_cbranch_execz .LBB189_11
; %bb.9:                                ;   in Loop: Header=BB189_5 Depth=1
	v_or_b32_e32 v2, s31, v17
	v_cmp_gt_i32_e64 s[2:3], s9, v2
	s_and_b64 s[2:3], s[0:1], s[2:3]
	s_and_b64 exec, exec, s[2:3]
	s_cbranch_execz .LBB189_11
; %bb.10:                               ;   in Loop: Header=BB189_5 Depth=1
	v_add_u32_e32 v2, v84, v2
	v_mad_i64_i32 v[2:3], s[2:3], v2, 36, s[6:7]
	global_load_dword v2, v[2:3], off
	s_waitcnt vmcnt(0)
	v_cvt_f32_f16_e32 v2, v2
	ds_write_b32 v61, v2
.LBB189_11:                             ;   in Loop: Header=BB189_5 Depth=1
	s_or_b64 exec, exec, s[20:21]
	s_mov_b32 s20, -2
	s_mov_b32 s2, 0
	v_mov_b32_e32 v120, v98
	v_mov_b32_e32 v121, v97
	s_mov_b32 s3, 0
	s_waitcnt lgkmcnt(0)
	s_barrier
.LBB189_12:                             ;   Parent Loop BB189_5 Depth=1
                                        ; =>  This Inner Loop Header: Depth=2
	s_and_b32 s21, s3, -16
	v_add_u32_e32 v123, s21, v63
	s_add_i32 s21, s20, 2
	s_lshr_b32 s36, s21, 4
	s_and_b32 s35, s21, 0x3ffffff8
	s_lshl_b32 s34, s36, 3
	s_lshl_b32 s35, s35, 2
	v_add_lshl_u32 v130, v65, s34, 2
	v_add_u32_e32 v128, s35, v67
	v_add_u32_e32 v126, 0x4200, v130
	ds_read_b32 v122, v120
	ds_read_b128 v[6:9], v121
	ds_read_b128 v[2:5], v121 offset:16
	ds_read2_b32 v[124:125], v128 offset1:1
	ds_read2_b32 v[126:127], v126 offset1:1
	s_lshl_b32 s36, s36, 2
	s_add_i32 s3, s3, 2
	v_add_u32_e32 v121, 32, v121
	s_waitcnt lgkmcnt(1)
	v_ashrrev_i32_e32 v124, s21, v124
	s_waitcnt lgkmcnt(0)
	v_ashrrev_i32_e32 v126, s2, v126
	v_lshlrev_b32_e32 v126, 2, v126
	v_and_b32_e32 v129, 0x3030303, v124
	v_bfe_u32 v124, v124, 24, 2
	v_and_b32_e32 v126, 0x4040404, v126
	v_sub_u16_e32 v131, v129, v126
	v_sub_u16_sdwa v132, v129, v126 dst_sel:BYTE_1 dst_unused:UNUSED_PAD src0_sel:BYTE_1 src1_sel:BYTE_1
	v_sub_u16_sdwa v124, v124, v126 dst_sel:BYTE_1 dst_unused:UNUSED_PAD src0_sel:DWORD src1_sel:BYTE_3
	v_sub_u16_sdwa v126, v129, v126 dst_sel:DWORD dst_unused:UNUSED_PAD src0_sel:WORD_1 src1_sel:WORD_1
	v_or_b32_sdwa v131, v131, v132 dst_sel:DWORD dst_unused:UNUSED_PAD src0_sel:BYTE_0 src1_sel:DWORD
	v_or_b32_sdwa v124, v126, v124 dst_sel:WORD_1 dst_unused:UNUSED_PAD src0_sel:BYTE_0 src1_sel:DWORD
	v_ashrrev_i32_e32 v126, s2, v127
	v_or_b32_sdwa v129, v131, v124 dst_sel:DWORD dst_unused:UNUSED_PAD src0_sel:WORD_0 src1_sel:DWORD
	v_ashrrev_i32_e32 v124, s21, v125
	v_lshlrev_b32_e32 v126, 2, v126
	v_and_b32_e32 v125, 0x3030303, v124
	v_bfe_u32 v124, v124, 24, 2
	v_and_b32_e32 v126, 0x4040404, v126
	v_sub_u16_e32 v127, v125, v126
	v_sub_u16_sdwa v131, v125, v126 dst_sel:BYTE_1 dst_unused:UNUSED_PAD src0_sel:BYTE_1 src1_sel:BYTE_1
	v_sub_u16_sdwa v124, v124, v126 dst_sel:BYTE_1 dst_unused:UNUSED_PAD src0_sel:DWORD src1_sel:BYTE_3
	v_sub_u16_sdwa v125, v125, v126 dst_sel:DWORD dst_unused:UNUSED_PAD src0_sel:WORD_1 src1_sel:WORD_1
	v_or_b32_sdwa v127, v127, v131 dst_sel:DWORD dst_unused:UNUSED_PAD src0_sel:BYTE_0 src1_sel:DWORD
	v_or_b32_sdwa v124, v125, v124 dst_sel:WORD_1 dst_unused:UNUSED_PAD src0_sel:BYTE_0 src1_sel:DWORD
	v_add_u32_e32 v126, 0x4208, v130
	v_or_b32_sdwa v131, v127, v124 dst_sel:DWORD dst_unused:UNUSED_PAD src0_sel:WORD_0 src1_sel:DWORD
	ds_read2_b32 v[124:125], v128 offset0:2 offset1:3
	ds_read2_b32 v[126:127], v126 offset1:1
	v_add_u32_e32 v120, 4, v120
	s_waitcnt lgkmcnt(1)
	v_ashrrev_i32_e32 v124, s21, v124
	s_waitcnt lgkmcnt(0)
	v_ashrrev_i32_e32 v126, s2, v126
	v_lshlrev_b32_e32 v126, 2, v126
	v_and_b32_e32 v132, 0x3030303, v124
	v_bfe_u32 v124, v124, 24, 2
	v_and_b32_e32 v126, 0x4040404, v126
	v_sub_u16_e32 v133, v132, v126
	v_sub_u16_sdwa v134, v132, v126 dst_sel:BYTE_1 dst_unused:UNUSED_PAD src0_sel:BYTE_1 src1_sel:BYTE_1
	v_sub_u16_sdwa v124, v124, v126 dst_sel:BYTE_1 dst_unused:UNUSED_PAD src0_sel:DWORD src1_sel:BYTE_3
	v_sub_u16_sdwa v126, v132, v126 dst_sel:DWORD dst_unused:UNUSED_PAD src0_sel:WORD_1 src1_sel:WORD_1
	v_or_b32_sdwa v133, v133, v134 dst_sel:DWORD dst_unused:UNUSED_PAD src0_sel:BYTE_0 src1_sel:DWORD
	v_or_b32_sdwa v124, v126, v124 dst_sel:WORD_1 dst_unused:UNUSED_PAD src0_sel:BYTE_0 src1_sel:DWORD
	v_ashrrev_i32_e32 v126, s2, v127
	v_or_b32_sdwa v132, v133, v124 dst_sel:DWORD dst_unused:UNUSED_PAD src0_sel:WORD_0 src1_sel:DWORD
	v_ashrrev_i32_e32 v124, s21, v125
	v_lshlrev_b32_e32 v126, 2, v126
	v_and_b32_e32 v125, 0x3030303, v124
	v_bfe_u32 v124, v124, 24, 2
	v_and_b32_e32 v126, 0x4040404, v126
	v_sub_u16_e32 v127, v125, v126
	v_sub_u16_sdwa v133, v125, v126 dst_sel:BYTE_1 dst_unused:UNUSED_PAD src0_sel:BYTE_1 src1_sel:BYTE_1
	v_sub_u16_sdwa v124, v124, v126 dst_sel:BYTE_1 dst_unused:UNUSED_PAD src0_sel:DWORD src1_sel:BYTE_3
	v_sub_u16_sdwa v125, v125, v126 dst_sel:DWORD dst_unused:UNUSED_PAD src0_sel:WORD_1 src1_sel:WORD_1
	v_or_b32_sdwa v127, v127, v133 dst_sel:DWORD dst_unused:UNUSED_PAD src0_sel:BYTE_0 src1_sel:DWORD
	v_or_b32_sdwa v124, v125, v124 dst_sel:WORD_1 dst_unused:UNUSED_PAD src0_sel:BYTE_0 src1_sel:DWORD
	v_add_u32_e32 v126, 0x4210, v130
	v_or_b32_sdwa v133, v127, v124 dst_sel:DWORD dst_unused:UNUSED_PAD src0_sel:WORD_0 src1_sel:DWORD
	ds_read2_b32 v[124:125], v128 offset0:4 offset1:5
	ds_read2_b32 v[126:127], v126 offset1:1
	s_waitcnt lgkmcnt(1)
	v_ashrrev_i32_e32 v124, s21, v124
	s_waitcnt lgkmcnt(0)
	v_ashrrev_i32_e32 v126, s2, v126
	v_lshlrev_b32_e32 v126, 2, v126
	v_and_b32_e32 v134, 0x3030303, v124
	v_bfe_u32 v124, v124, 24, 2
	v_and_b32_e32 v126, 0x4040404, v126
	v_sub_u16_e32 v135, v134, v126
	v_sub_u16_sdwa v136, v134, v126 dst_sel:BYTE_1 dst_unused:UNUSED_PAD src0_sel:BYTE_1 src1_sel:BYTE_1
	v_sub_u16_sdwa v124, v124, v126 dst_sel:BYTE_1 dst_unused:UNUSED_PAD src0_sel:DWORD src1_sel:BYTE_3
	v_sub_u16_sdwa v126, v134, v126 dst_sel:DWORD dst_unused:UNUSED_PAD src0_sel:WORD_1 src1_sel:WORD_1
	v_or_b32_sdwa v135, v135, v136 dst_sel:DWORD dst_unused:UNUSED_PAD src0_sel:BYTE_0 src1_sel:DWORD
	v_or_b32_sdwa v124, v126, v124 dst_sel:WORD_1 dst_unused:UNUSED_PAD src0_sel:BYTE_0 src1_sel:DWORD
	v_ashrrev_i32_e32 v126, s2, v127
	v_or_b32_sdwa v134, v135, v124 dst_sel:DWORD dst_unused:UNUSED_PAD src0_sel:WORD_0 src1_sel:DWORD
	v_ashrrev_i32_e32 v124, s21, v125
	v_lshlrev_b32_e32 v126, 2, v126
	v_and_b32_e32 v125, 0x3030303, v124
	v_bfe_u32 v124, v124, 24, 2
	v_and_b32_e32 v126, 0x4040404, v126
	v_sub_u16_e32 v127, v125, v126
	v_sub_u16_sdwa v135, v125, v126 dst_sel:BYTE_1 dst_unused:UNUSED_PAD src0_sel:BYTE_1 src1_sel:BYTE_1
	v_sub_u16_sdwa v124, v124, v126 dst_sel:BYTE_1 dst_unused:UNUSED_PAD src0_sel:DWORD src1_sel:BYTE_3
	v_sub_u16_sdwa v125, v125, v126 dst_sel:DWORD dst_unused:UNUSED_PAD src0_sel:WORD_1 src1_sel:WORD_1
	v_or_b32_sdwa v127, v127, v135 dst_sel:DWORD dst_unused:UNUSED_PAD src0_sel:BYTE_0 src1_sel:DWORD
	v_or_b32_sdwa v124, v125, v124 dst_sel:WORD_1 dst_unused:UNUSED_PAD src0_sel:BYTE_0 src1_sel:DWORD
	v_add_u32_e32 v126, 0x4218, v130
	v_or_b32_sdwa v135, v127, v124 dst_sel:DWORD dst_unused:UNUSED_PAD src0_sel:WORD_0 src1_sel:DWORD
	ds_read2_b32 v[124:125], v128 offset0:6 offset1:7
	ds_read2_b32 v[126:127], v126 offset1:1
	s_waitcnt lgkmcnt(1)
	v_ashrrev_i32_e32 v124, s21, v124
	s_waitcnt lgkmcnt(0)
	v_ashrrev_i32_e32 v126, s2, v126
	v_lshlrev_b32_e32 v126, 2, v126
	v_and_b32_e32 v128, 0x3030303, v124
	v_bfe_u32 v124, v124, 24, 2
	v_and_b32_e32 v126, 0x4040404, v126
	v_sub_u16_e32 v130, v128, v126
	v_sub_u16_sdwa v136, v128, v126 dst_sel:BYTE_1 dst_unused:UNUSED_PAD src0_sel:BYTE_1 src1_sel:BYTE_1
	v_sub_u16_sdwa v124, v124, v126 dst_sel:BYTE_1 dst_unused:UNUSED_PAD src0_sel:DWORD src1_sel:BYTE_3
	v_sub_u16_sdwa v126, v128, v126 dst_sel:DWORD dst_unused:UNUSED_PAD src0_sel:WORD_1 src1_sel:WORD_1
	v_or_b32_sdwa v130, v130, v136 dst_sel:DWORD dst_unused:UNUSED_PAD src0_sel:BYTE_0 src1_sel:DWORD
	v_or_b32_sdwa v124, v126, v124 dst_sel:WORD_1 dst_unused:UNUSED_PAD src0_sel:BYTE_0 src1_sel:DWORD
	v_ashrrev_i32_e32 v127, s2, v127
	v_or_b32_sdwa v126, v130, v124 dst_sel:DWORD dst_unused:UNUSED_PAD src0_sel:WORD_0 src1_sel:DWORD
	v_ashrrev_i32_e32 v124, s21, v125
	v_lshlrev_b32_e32 v127, 2, v127
	v_and_b32_e32 v125, 0x3030303, v124
	v_bfe_u32 v124, v124, 24, 2
	v_and_b32_e32 v127, 0x4040404, v127
	v_sub_u16_e32 v128, v125, v127
	v_sub_u16_sdwa v130, v125, v127 dst_sel:BYTE_1 dst_unused:UNUSED_PAD src0_sel:BYTE_1 src1_sel:BYTE_1
	v_sub_u16_sdwa v124, v124, v127 dst_sel:BYTE_1 dst_unused:UNUSED_PAD src0_sel:DWORD src1_sel:BYTE_3
	v_sub_u16_sdwa v125, v125, v127 dst_sel:DWORD dst_unused:UNUSED_PAD src0_sel:WORD_1 src1_sel:WORD_1
	v_or_b32_sdwa v128, v128, v130 dst_sel:DWORD dst_unused:UNUSED_PAD src0_sel:BYTE_0 src1_sel:DWORD
	v_or_b32_sdwa v124, v125, v124 dst_sel:WORD_1 dst_unused:UNUSED_PAD src0_sel:BYTE_0 src1_sel:DWORD
	v_or_b32_sdwa v125, v128, v124 dst_sel:DWORD dst_unused:UNUSED_PAD src0_sel:WORD_0 src1_sel:DWORD
	v_add3_u32 v124, v96, s20, v123
	v_add_u32_e32 v127, s36, v69
	ds_read_b32 v127, v127
	ds_read_u16 v124, v124 offset:25346
	v_mov_b32_e32 v128, 0
	v_dot4c_i32_i8_e32 v128, v129, v6
	v_dot4c_i32_i8_e32 v128, v131, v7
	;; [unrolled: 1-line block ×4, first 2 shown]
	s_waitcnt lgkmcnt(0)
	v_lshrrev_b16_e32 v129, 8, v124
	v_bfe_i32 v124, v124, 0, 8
	v_add_lshl_u32 v130, v71, s34, 2
	v_mul_lo_u32 v124, v128, v124
	v_mov_b32_e32 v128, 0
	v_dot4c_i32_i8_e32 v128, v134, v2
	v_dot4c_i32_i8_e32 v128, v135, v3
	;; [unrolled: 1-line block ×4, first 2 shown]
	v_bfe_i32 v125, v129, 0, 8
	v_add_u32_e32 v126, 0x4200, v130
	s_nop 0
	v_mad_u64_u32 v[124:125], s[38:39], v128, v125, v[124:125]
	v_cvt_f32_i32_e32 v124, v124
	v_mul_f32_e32 v125, v122, v127
	v_add_u32_e32 v128, s35, v73
	ds_read2_b32 v[126:127], v126 offset1:1
	v_fmac_f32_e32 v15, v125, v124
	ds_read2_b32 v[124:125], v128 offset1:1
	s_waitcnt lgkmcnt(1)
	v_ashrrev_i32_e32 v126, s2, v126
	v_lshlrev_b32_e32 v126, 2, v126
	s_waitcnt lgkmcnt(0)
	v_ashrrev_i32_e32 v124, s21, v124
	v_and_b32_e32 v129, 0x3030303, v124
	v_bfe_u32 v124, v124, 24, 2
	v_and_b32_e32 v126, 0x4040404, v126
	v_sub_u16_e32 v131, v129, v126
	v_sub_u16_sdwa v132, v129, v126 dst_sel:BYTE_1 dst_unused:UNUSED_PAD src0_sel:BYTE_1 src1_sel:BYTE_1
	v_sub_u16_sdwa v124, v124, v126 dst_sel:BYTE_1 dst_unused:UNUSED_PAD src0_sel:DWORD src1_sel:BYTE_3
	v_sub_u16_sdwa v126, v129, v126 dst_sel:DWORD dst_unused:UNUSED_PAD src0_sel:WORD_1 src1_sel:WORD_1
	v_or_b32_sdwa v131, v131, v132 dst_sel:DWORD dst_unused:UNUSED_PAD src0_sel:BYTE_0 src1_sel:DWORD
	v_or_b32_sdwa v124, v126, v124 dst_sel:WORD_1 dst_unused:UNUSED_PAD src0_sel:BYTE_0 src1_sel:DWORD
	v_ashrrev_i32_e32 v126, s2, v127
	v_or_b32_sdwa v129, v131, v124 dst_sel:DWORD dst_unused:UNUSED_PAD src0_sel:WORD_0 src1_sel:DWORD
	v_ashrrev_i32_e32 v124, s21, v125
	v_lshlrev_b32_e32 v126, 2, v126
	v_and_b32_e32 v125, 0x3030303, v124
	v_bfe_u32 v124, v124, 24, 2
	v_and_b32_e32 v126, 0x4040404, v126
	v_sub_u16_e32 v127, v125, v126
	v_sub_u16_sdwa v131, v125, v126 dst_sel:BYTE_1 dst_unused:UNUSED_PAD src0_sel:BYTE_1 src1_sel:BYTE_1
	v_sub_u16_sdwa v124, v124, v126 dst_sel:BYTE_1 dst_unused:UNUSED_PAD src0_sel:DWORD src1_sel:BYTE_3
	v_sub_u16_sdwa v125, v125, v126 dst_sel:DWORD dst_unused:UNUSED_PAD src0_sel:WORD_1 src1_sel:WORD_1
	v_or_b32_sdwa v127, v127, v131 dst_sel:DWORD dst_unused:UNUSED_PAD src0_sel:BYTE_0 src1_sel:DWORD
	v_or_b32_sdwa v124, v125, v124 dst_sel:WORD_1 dst_unused:UNUSED_PAD src0_sel:BYTE_0 src1_sel:DWORD
	v_add_u32_e32 v126, 0x4208, v130
	v_or_b32_sdwa v131, v127, v124 dst_sel:DWORD dst_unused:UNUSED_PAD src0_sel:WORD_0 src1_sel:DWORD
	ds_read2_b32 v[124:125], v128 offset0:2 offset1:3
	ds_read2_b32 v[126:127], v126 offset1:1
	s_waitcnt lgkmcnt(1)
	v_ashrrev_i32_e32 v124, s21, v124
	s_waitcnt lgkmcnt(0)
	v_ashrrev_i32_e32 v126, s2, v126
	v_lshlrev_b32_e32 v126, 2, v126
	v_and_b32_e32 v132, 0x3030303, v124
	v_bfe_u32 v124, v124, 24, 2
	v_and_b32_e32 v126, 0x4040404, v126
	v_sub_u16_e32 v133, v132, v126
	v_sub_u16_sdwa v134, v132, v126 dst_sel:BYTE_1 dst_unused:UNUSED_PAD src0_sel:BYTE_1 src1_sel:BYTE_1
	v_sub_u16_sdwa v124, v124, v126 dst_sel:BYTE_1 dst_unused:UNUSED_PAD src0_sel:DWORD src1_sel:BYTE_3
	v_sub_u16_sdwa v126, v132, v126 dst_sel:DWORD dst_unused:UNUSED_PAD src0_sel:WORD_1 src1_sel:WORD_1
	v_or_b32_sdwa v133, v133, v134 dst_sel:DWORD dst_unused:UNUSED_PAD src0_sel:BYTE_0 src1_sel:DWORD
	v_or_b32_sdwa v124, v126, v124 dst_sel:WORD_1 dst_unused:UNUSED_PAD src0_sel:BYTE_0 src1_sel:DWORD
	v_ashrrev_i32_e32 v126, s2, v127
	v_or_b32_sdwa v132, v133, v124 dst_sel:DWORD dst_unused:UNUSED_PAD src0_sel:WORD_0 src1_sel:DWORD
	v_ashrrev_i32_e32 v124, s21, v125
	v_lshlrev_b32_e32 v126, 2, v126
	v_and_b32_e32 v125, 0x3030303, v124
	v_bfe_u32 v124, v124, 24, 2
	v_and_b32_e32 v126, 0x4040404, v126
	v_sub_u16_e32 v127, v125, v126
	v_sub_u16_sdwa v133, v125, v126 dst_sel:BYTE_1 dst_unused:UNUSED_PAD src0_sel:BYTE_1 src1_sel:BYTE_1
	v_sub_u16_sdwa v124, v124, v126 dst_sel:BYTE_1 dst_unused:UNUSED_PAD src0_sel:DWORD src1_sel:BYTE_3
	v_sub_u16_sdwa v125, v125, v126 dst_sel:DWORD dst_unused:UNUSED_PAD src0_sel:WORD_1 src1_sel:WORD_1
	v_or_b32_sdwa v127, v127, v133 dst_sel:DWORD dst_unused:UNUSED_PAD src0_sel:BYTE_0 src1_sel:DWORD
	v_or_b32_sdwa v124, v125, v124 dst_sel:WORD_1 dst_unused:UNUSED_PAD src0_sel:BYTE_0 src1_sel:DWORD
	v_add_u32_e32 v126, 0x4210, v130
	v_or_b32_sdwa v133, v127, v124 dst_sel:DWORD dst_unused:UNUSED_PAD src0_sel:WORD_0 src1_sel:DWORD
	ds_read2_b32 v[124:125], v128 offset0:4 offset1:5
	ds_read2_b32 v[126:127], v126 offset1:1
	s_waitcnt lgkmcnt(1)
	v_ashrrev_i32_e32 v124, s21, v124
	s_waitcnt lgkmcnt(0)
	v_ashrrev_i32_e32 v126, s2, v126
	v_lshlrev_b32_e32 v126, 2, v126
	;; [unrolled: 31-line block ×3, first 2 shown]
	v_and_b32_e32 v128, 0x3030303, v124
	v_bfe_u32 v124, v124, 24, 2
	v_and_b32_e32 v126, 0x4040404, v126
	v_sub_u16_e32 v130, v128, v126
	v_sub_u16_sdwa v136, v128, v126 dst_sel:BYTE_1 dst_unused:UNUSED_PAD src0_sel:BYTE_1 src1_sel:BYTE_1
	v_sub_u16_sdwa v124, v124, v126 dst_sel:BYTE_1 dst_unused:UNUSED_PAD src0_sel:DWORD src1_sel:BYTE_3
	v_sub_u16_sdwa v126, v128, v126 dst_sel:DWORD dst_unused:UNUSED_PAD src0_sel:WORD_1 src1_sel:WORD_1
	v_or_b32_sdwa v130, v130, v136 dst_sel:DWORD dst_unused:UNUSED_PAD src0_sel:BYTE_0 src1_sel:DWORD
	v_or_b32_sdwa v124, v126, v124 dst_sel:WORD_1 dst_unused:UNUSED_PAD src0_sel:BYTE_0 src1_sel:DWORD
	v_ashrrev_i32_e32 v127, s2, v127
	v_or_b32_sdwa v126, v130, v124 dst_sel:DWORD dst_unused:UNUSED_PAD src0_sel:WORD_0 src1_sel:DWORD
	v_ashrrev_i32_e32 v124, s21, v125
	v_lshlrev_b32_e32 v127, 2, v127
	v_and_b32_e32 v125, 0x3030303, v124
	v_bfe_u32 v124, v124, 24, 2
	v_and_b32_e32 v127, 0x4040404, v127
	v_sub_u16_e32 v128, v125, v127
	v_sub_u16_sdwa v130, v125, v127 dst_sel:BYTE_1 dst_unused:UNUSED_PAD src0_sel:BYTE_1 src1_sel:BYTE_1
	v_sub_u16_sdwa v124, v124, v127 dst_sel:BYTE_1 dst_unused:UNUSED_PAD src0_sel:DWORD src1_sel:BYTE_3
	v_sub_u16_sdwa v125, v125, v127 dst_sel:DWORD dst_unused:UNUSED_PAD src0_sel:WORD_1 src1_sel:WORD_1
	v_or_b32_sdwa v128, v128, v130 dst_sel:DWORD dst_unused:UNUSED_PAD src0_sel:BYTE_0 src1_sel:DWORD
	v_or_b32_sdwa v124, v125, v124 dst_sel:WORD_1 dst_unused:UNUSED_PAD src0_sel:BYTE_0 src1_sel:DWORD
	v_or_b32_sdwa v125, v128, v124 dst_sel:DWORD dst_unused:UNUSED_PAD src0_sel:WORD_0 src1_sel:DWORD
	v_add3_u32 v124, v95, s20, v123
	v_add_u32_e32 v127, s36, v75
	ds_read_b32 v127, v127
	ds_read_u16 v124, v124 offset:26370
	v_mov_b32_e32 v128, 0
	v_dot4c_i32_i8_e32 v128, v129, v6
	v_dot4c_i32_i8_e32 v128, v131, v7
	;; [unrolled: 1-line block ×4, first 2 shown]
	s_waitcnt lgkmcnt(0)
	v_lshrrev_b16_e32 v129, 8, v124
	v_bfe_i32 v124, v124, 0, 8
	v_add_lshl_u32 v130, v77, s34, 2
	v_mul_lo_u32 v124, v128, v124
	v_mov_b32_e32 v128, 0
	v_dot4c_i32_i8_e32 v128, v134, v2
	v_dot4c_i32_i8_e32 v128, v135, v3
	;; [unrolled: 1-line block ×4, first 2 shown]
	v_bfe_i32 v125, v129, 0, 8
	v_add_u32_e32 v126, 0x4200, v130
	s_nop 0
	v_mad_u64_u32 v[124:125], s[38:39], v128, v125, v[124:125]
	v_cvt_f32_i32_e32 v124, v124
	v_mul_f32_e32 v125, v122, v127
	v_add_u32_e32 v128, s35, v79
	ds_read2_b32 v[126:127], v126 offset1:1
	v_fmac_f32_e32 v92, v125, v124
	ds_read2_b32 v[124:125], v128 offset1:1
	s_waitcnt lgkmcnt(1)
	v_ashrrev_i32_e32 v126, s2, v126
	v_lshlrev_b32_e32 v126, 2, v126
	s_waitcnt lgkmcnt(0)
	v_ashrrev_i32_e32 v124, s21, v124
	v_and_b32_e32 v129, 0x3030303, v124
	v_bfe_u32 v124, v124, 24, 2
	v_and_b32_e32 v126, 0x4040404, v126
	v_sub_u16_e32 v131, v129, v126
	v_sub_u16_sdwa v132, v129, v126 dst_sel:BYTE_1 dst_unused:UNUSED_PAD src0_sel:BYTE_1 src1_sel:BYTE_1
	v_sub_u16_sdwa v124, v124, v126 dst_sel:BYTE_1 dst_unused:UNUSED_PAD src0_sel:DWORD src1_sel:BYTE_3
	v_sub_u16_sdwa v126, v129, v126 dst_sel:DWORD dst_unused:UNUSED_PAD src0_sel:WORD_1 src1_sel:WORD_1
	v_or_b32_sdwa v131, v131, v132 dst_sel:DWORD dst_unused:UNUSED_PAD src0_sel:BYTE_0 src1_sel:DWORD
	v_or_b32_sdwa v124, v126, v124 dst_sel:WORD_1 dst_unused:UNUSED_PAD src0_sel:BYTE_0 src1_sel:DWORD
	v_ashrrev_i32_e32 v126, s2, v127
	v_or_b32_sdwa v129, v131, v124 dst_sel:DWORD dst_unused:UNUSED_PAD src0_sel:WORD_0 src1_sel:DWORD
	v_ashrrev_i32_e32 v124, s21, v125
	v_lshlrev_b32_e32 v126, 2, v126
	v_and_b32_e32 v125, 0x3030303, v124
	v_bfe_u32 v124, v124, 24, 2
	v_and_b32_e32 v126, 0x4040404, v126
	v_sub_u16_e32 v127, v125, v126
	v_sub_u16_sdwa v131, v125, v126 dst_sel:BYTE_1 dst_unused:UNUSED_PAD src0_sel:BYTE_1 src1_sel:BYTE_1
	v_sub_u16_sdwa v124, v124, v126 dst_sel:BYTE_1 dst_unused:UNUSED_PAD src0_sel:DWORD src1_sel:BYTE_3
	v_sub_u16_sdwa v125, v125, v126 dst_sel:DWORD dst_unused:UNUSED_PAD src0_sel:WORD_1 src1_sel:WORD_1
	v_or_b32_sdwa v127, v127, v131 dst_sel:DWORD dst_unused:UNUSED_PAD src0_sel:BYTE_0 src1_sel:DWORD
	v_or_b32_sdwa v124, v125, v124 dst_sel:WORD_1 dst_unused:UNUSED_PAD src0_sel:BYTE_0 src1_sel:DWORD
	v_add_u32_e32 v126, 0x4208, v130
	v_or_b32_sdwa v131, v127, v124 dst_sel:DWORD dst_unused:UNUSED_PAD src0_sel:WORD_0 src1_sel:DWORD
	ds_read2_b32 v[124:125], v128 offset0:2 offset1:3
	ds_read2_b32 v[126:127], v126 offset1:1
	s_waitcnt lgkmcnt(1)
	v_ashrrev_i32_e32 v124, s21, v124
	s_waitcnt lgkmcnt(0)
	v_ashrrev_i32_e32 v126, s2, v126
	v_lshlrev_b32_e32 v126, 2, v126
	v_and_b32_e32 v132, 0x3030303, v124
	v_bfe_u32 v124, v124, 24, 2
	v_and_b32_e32 v126, 0x4040404, v126
	v_sub_u16_e32 v133, v132, v126
	v_sub_u16_sdwa v134, v132, v126 dst_sel:BYTE_1 dst_unused:UNUSED_PAD src0_sel:BYTE_1 src1_sel:BYTE_1
	v_sub_u16_sdwa v124, v124, v126 dst_sel:BYTE_1 dst_unused:UNUSED_PAD src0_sel:DWORD src1_sel:BYTE_3
	v_sub_u16_sdwa v126, v132, v126 dst_sel:DWORD dst_unused:UNUSED_PAD src0_sel:WORD_1 src1_sel:WORD_1
	v_or_b32_sdwa v133, v133, v134 dst_sel:DWORD dst_unused:UNUSED_PAD src0_sel:BYTE_0 src1_sel:DWORD
	v_or_b32_sdwa v124, v126, v124 dst_sel:WORD_1 dst_unused:UNUSED_PAD src0_sel:BYTE_0 src1_sel:DWORD
	v_ashrrev_i32_e32 v126, s2, v127
	v_or_b32_sdwa v132, v133, v124 dst_sel:DWORD dst_unused:UNUSED_PAD src0_sel:WORD_0 src1_sel:DWORD
	v_ashrrev_i32_e32 v124, s21, v125
	v_lshlrev_b32_e32 v126, 2, v126
	v_and_b32_e32 v125, 0x3030303, v124
	v_bfe_u32 v124, v124, 24, 2
	v_and_b32_e32 v126, 0x4040404, v126
	v_sub_u16_e32 v127, v125, v126
	v_sub_u16_sdwa v133, v125, v126 dst_sel:BYTE_1 dst_unused:UNUSED_PAD src0_sel:BYTE_1 src1_sel:BYTE_1
	v_sub_u16_sdwa v124, v124, v126 dst_sel:BYTE_1 dst_unused:UNUSED_PAD src0_sel:DWORD src1_sel:BYTE_3
	v_sub_u16_sdwa v125, v125, v126 dst_sel:DWORD dst_unused:UNUSED_PAD src0_sel:WORD_1 src1_sel:WORD_1
	v_or_b32_sdwa v127, v127, v133 dst_sel:DWORD dst_unused:UNUSED_PAD src0_sel:BYTE_0 src1_sel:DWORD
	v_or_b32_sdwa v124, v125, v124 dst_sel:WORD_1 dst_unused:UNUSED_PAD src0_sel:BYTE_0 src1_sel:DWORD
	v_add_u32_e32 v126, 0x4210, v130
	v_or_b32_sdwa v133, v127, v124 dst_sel:DWORD dst_unused:UNUSED_PAD src0_sel:WORD_0 src1_sel:DWORD
	ds_read2_b32 v[124:125], v128 offset0:4 offset1:5
	ds_read2_b32 v[126:127], v126 offset1:1
	s_waitcnt lgkmcnt(1)
	v_ashrrev_i32_e32 v124, s21, v124
	s_waitcnt lgkmcnt(0)
	v_ashrrev_i32_e32 v126, s2, v126
	v_lshlrev_b32_e32 v126, 2, v126
	v_and_b32_e32 v134, 0x3030303, v124
	v_bfe_u32 v124, v124, 24, 2
	v_and_b32_e32 v126, 0x4040404, v126
	v_sub_u16_e32 v135, v134, v126
	v_sub_u16_sdwa v136, v134, v126 dst_sel:BYTE_1 dst_unused:UNUSED_PAD src0_sel:BYTE_1 src1_sel:BYTE_1
	v_sub_u16_sdwa v124, v124, v126 dst_sel:BYTE_1 dst_unused:UNUSED_PAD src0_sel:DWORD src1_sel:BYTE_3
	v_sub_u16_sdwa v126, v134, v126 dst_sel:DWORD dst_unused:UNUSED_PAD src0_sel:WORD_1 src1_sel:WORD_1
	v_or_b32_sdwa v135, v135, v136 dst_sel:DWORD dst_unused:UNUSED_PAD src0_sel:BYTE_0 src1_sel:DWORD
	v_or_b32_sdwa v124, v126, v124 dst_sel:WORD_1 dst_unused:UNUSED_PAD src0_sel:BYTE_0 src1_sel:DWORD
	v_ashrrev_i32_e32 v126, s2, v127
	v_or_b32_sdwa v134, v135, v124 dst_sel:DWORD dst_unused:UNUSED_PAD src0_sel:WORD_0 src1_sel:DWORD
	v_ashrrev_i32_e32 v124, s21, v125
	v_lshlrev_b32_e32 v126, 2, v126
	v_and_b32_e32 v125, 0x3030303, v124
	v_bfe_u32 v124, v124, 24, 2
	v_and_b32_e32 v126, 0x4040404, v126
	v_sub_u16_e32 v127, v125, v126
	v_sub_u16_sdwa v135, v125, v126 dst_sel:BYTE_1 dst_unused:UNUSED_PAD src0_sel:BYTE_1 src1_sel:BYTE_1
	v_sub_u16_sdwa v124, v124, v126 dst_sel:BYTE_1 dst_unused:UNUSED_PAD src0_sel:DWORD src1_sel:BYTE_3
	v_sub_u16_sdwa v125, v125, v126 dst_sel:DWORD dst_unused:UNUSED_PAD src0_sel:WORD_1 src1_sel:WORD_1
	v_or_b32_sdwa v127, v127, v135 dst_sel:DWORD dst_unused:UNUSED_PAD src0_sel:BYTE_0 src1_sel:DWORD
	v_or_b32_sdwa v124, v125, v124 dst_sel:WORD_1 dst_unused:UNUSED_PAD src0_sel:BYTE_0 src1_sel:DWORD
	v_add_u32_e32 v126, 0x4218, v130
	v_or_b32_sdwa v135, v127, v124 dst_sel:DWORD dst_unused:UNUSED_PAD src0_sel:WORD_0 src1_sel:DWORD
	ds_read2_b32 v[124:125], v128 offset0:6 offset1:7
	ds_read2_b32 v[126:127], v126 offset1:1
	s_waitcnt lgkmcnt(1)
	v_ashrrev_i32_e32 v124, s21, v124
	s_waitcnt lgkmcnt(0)
	v_ashrrev_i32_e32 v126, s2, v126
	v_lshlrev_b32_e32 v126, 2, v126
	v_and_b32_e32 v128, 0x3030303, v124
	v_bfe_u32 v124, v124, 24, 2
	v_and_b32_e32 v126, 0x4040404, v126
	v_sub_u16_e32 v130, v128, v126
	v_sub_u16_sdwa v136, v128, v126 dst_sel:BYTE_1 dst_unused:UNUSED_PAD src0_sel:BYTE_1 src1_sel:BYTE_1
	v_sub_u16_sdwa v124, v124, v126 dst_sel:BYTE_1 dst_unused:UNUSED_PAD src0_sel:DWORD src1_sel:BYTE_3
	v_sub_u16_sdwa v126, v128, v126 dst_sel:DWORD dst_unused:UNUSED_PAD src0_sel:WORD_1 src1_sel:WORD_1
	v_or_b32_sdwa v130, v130, v136 dst_sel:DWORD dst_unused:UNUSED_PAD src0_sel:BYTE_0 src1_sel:DWORD
	v_or_b32_sdwa v124, v126, v124 dst_sel:WORD_1 dst_unused:UNUSED_PAD src0_sel:BYTE_0 src1_sel:DWORD
	v_ashrrev_i32_e32 v127, s2, v127
	v_or_b32_sdwa v126, v130, v124 dst_sel:DWORD dst_unused:UNUSED_PAD src0_sel:WORD_0 src1_sel:DWORD
	v_ashrrev_i32_e32 v124, s21, v125
	v_lshlrev_b32_e32 v127, 2, v127
	v_and_b32_e32 v125, 0x3030303, v124
	v_bfe_u32 v124, v124, 24, 2
	v_and_b32_e32 v127, 0x4040404, v127
	v_sub_u16_e32 v128, v125, v127
	v_sub_u16_sdwa v130, v125, v127 dst_sel:BYTE_1 dst_unused:UNUSED_PAD src0_sel:BYTE_1 src1_sel:BYTE_1
	v_sub_u16_sdwa v124, v124, v127 dst_sel:BYTE_1 dst_unused:UNUSED_PAD src0_sel:DWORD src1_sel:BYTE_3
	v_sub_u16_sdwa v125, v125, v127 dst_sel:DWORD dst_unused:UNUSED_PAD src0_sel:WORD_1 src1_sel:WORD_1
	v_or_b32_sdwa v128, v128, v130 dst_sel:DWORD dst_unused:UNUSED_PAD src0_sel:BYTE_0 src1_sel:DWORD
	v_or_b32_sdwa v124, v125, v124 dst_sel:WORD_1 dst_unused:UNUSED_PAD src0_sel:BYTE_0 src1_sel:DWORD
	v_or_b32_sdwa v125, v128, v124 dst_sel:DWORD dst_unused:UNUSED_PAD src0_sel:WORD_0 src1_sel:DWORD
	v_add3_u32 v124, v94, s20, v123
	v_add_u32_e32 v127, s36, v81
	ds_read_b32 v127, v127
	ds_read_u16 v124, v124 offset:27394
	v_mov_b32_e32 v128, 0
	v_dot4c_i32_i8_e32 v128, v129, v6
	v_dot4c_i32_i8_e32 v128, v131, v7
	;; [unrolled: 1-line block ×4, first 2 shown]
	s_waitcnt lgkmcnt(0)
	v_lshrrev_b16_e32 v129, 8, v124
	v_bfe_i32 v124, v124, 0, 8
	v_add_lshl_u32 v130, v85, s34, 2
	v_mul_lo_u32 v124, v128, v124
	v_mov_b32_e32 v128, 0
	v_dot4c_i32_i8_e32 v128, v134, v2
	v_dot4c_i32_i8_e32 v128, v135, v3
	;; [unrolled: 1-line block ×4, first 2 shown]
	v_bfe_i32 v125, v129, 0, 8
	v_add_u32_e32 v126, 0x4200, v130
	v_add3_u32 v123, v93, s20, v123
	v_mad_u64_u32 v[124:125], s[38:39], v128, v125, v[124:125]
	v_cvt_f32_i32_e32 v124, v124
	v_mul_f32_e32 v125, v122, v127
	v_add_u32_e32 v128, s35, v86
	ds_read2_b32 v[126:127], v126 offset1:1
	v_fmac_f32_e32 v87, v125, v124
	ds_read2_b32 v[124:125], v128 offset1:1
	s_mov_b32 s20, s21
	s_waitcnt lgkmcnt(1)
	v_ashrrev_i32_e32 v126, s2, v126
	v_lshlrev_b32_e32 v126, 2, v126
	s_waitcnt lgkmcnt(0)
	v_ashrrev_i32_e32 v124, s21, v124
	v_and_b32_e32 v129, 0x3030303, v124
	v_bfe_u32 v124, v124, 24, 2
	v_and_b32_e32 v126, 0x4040404, v126
	v_sub_u16_e32 v131, v129, v126
	v_sub_u16_sdwa v132, v129, v126 dst_sel:BYTE_1 dst_unused:UNUSED_PAD src0_sel:BYTE_1 src1_sel:BYTE_1
	v_sub_u16_sdwa v124, v124, v126 dst_sel:BYTE_1 dst_unused:UNUSED_PAD src0_sel:DWORD src1_sel:BYTE_3
	v_sub_u16_sdwa v126, v129, v126 dst_sel:DWORD dst_unused:UNUSED_PAD src0_sel:WORD_1 src1_sel:WORD_1
	v_or_b32_sdwa v131, v131, v132 dst_sel:DWORD dst_unused:UNUSED_PAD src0_sel:BYTE_0 src1_sel:DWORD
	v_or_b32_sdwa v124, v126, v124 dst_sel:WORD_1 dst_unused:UNUSED_PAD src0_sel:BYTE_0 src1_sel:DWORD
	v_ashrrev_i32_e32 v126, s2, v127
	v_or_b32_sdwa v129, v131, v124 dst_sel:DWORD dst_unused:UNUSED_PAD src0_sel:WORD_0 src1_sel:DWORD
	v_ashrrev_i32_e32 v124, s21, v125
	v_lshlrev_b32_e32 v126, 2, v126
	v_and_b32_e32 v125, 0x3030303, v124
	v_bfe_u32 v124, v124, 24, 2
	v_and_b32_e32 v126, 0x4040404, v126
	v_sub_u16_e32 v127, v125, v126
	v_sub_u16_sdwa v131, v125, v126 dst_sel:BYTE_1 dst_unused:UNUSED_PAD src0_sel:BYTE_1 src1_sel:BYTE_1
	v_sub_u16_sdwa v124, v124, v126 dst_sel:BYTE_1 dst_unused:UNUSED_PAD src0_sel:DWORD src1_sel:BYTE_3
	v_sub_u16_sdwa v125, v125, v126 dst_sel:DWORD dst_unused:UNUSED_PAD src0_sel:WORD_1 src1_sel:WORD_1
	v_or_b32_sdwa v127, v127, v131 dst_sel:DWORD dst_unused:UNUSED_PAD src0_sel:BYTE_0 src1_sel:DWORD
	v_or_b32_sdwa v124, v125, v124 dst_sel:WORD_1 dst_unused:UNUSED_PAD src0_sel:BYTE_0 src1_sel:DWORD
	v_add_u32_e32 v126, 0x4208, v130
	v_or_b32_sdwa v131, v127, v124 dst_sel:DWORD dst_unused:UNUSED_PAD src0_sel:WORD_0 src1_sel:DWORD
	ds_read2_b32 v[124:125], v128 offset0:2 offset1:3
	ds_read2_b32 v[126:127], v126 offset1:1
	s_waitcnt lgkmcnt(1)
	v_ashrrev_i32_e32 v124, s21, v124
	s_waitcnt lgkmcnt(0)
	v_ashrrev_i32_e32 v126, s2, v126
	v_lshlrev_b32_e32 v126, 2, v126
	v_and_b32_e32 v132, 0x3030303, v124
	v_bfe_u32 v124, v124, 24, 2
	v_and_b32_e32 v126, 0x4040404, v126
	v_sub_u16_e32 v133, v132, v126
	v_sub_u16_sdwa v134, v132, v126 dst_sel:BYTE_1 dst_unused:UNUSED_PAD src0_sel:BYTE_1 src1_sel:BYTE_1
	v_sub_u16_sdwa v124, v124, v126 dst_sel:BYTE_1 dst_unused:UNUSED_PAD src0_sel:DWORD src1_sel:BYTE_3
	v_sub_u16_sdwa v126, v132, v126 dst_sel:DWORD dst_unused:UNUSED_PAD src0_sel:WORD_1 src1_sel:WORD_1
	v_or_b32_sdwa v133, v133, v134 dst_sel:DWORD dst_unused:UNUSED_PAD src0_sel:BYTE_0 src1_sel:DWORD
	v_or_b32_sdwa v124, v126, v124 dst_sel:WORD_1 dst_unused:UNUSED_PAD src0_sel:BYTE_0 src1_sel:DWORD
	v_ashrrev_i32_e32 v126, s2, v127
	v_or_b32_sdwa v132, v133, v124 dst_sel:DWORD dst_unused:UNUSED_PAD src0_sel:WORD_0 src1_sel:DWORD
	v_ashrrev_i32_e32 v124, s21, v125
	v_lshlrev_b32_e32 v126, 2, v126
	v_and_b32_e32 v125, 0x3030303, v124
	v_bfe_u32 v124, v124, 24, 2
	v_and_b32_e32 v126, 0x4040404, v126
	v_sub_u16_e32 v127, v125, v126
	v_sub_u16_sdwa v133, v125, v126 dst_sel:BYTE_1 dst_unused:UNUSED_PAD src0_sel:BYTE_1 src1_sel:BYTE_1
	v_sub_u16_sdwa v124, v124, v126 dst_sel:BYTE_1 dst_unused:UNUSED_PAD src0_sel:DWORD src1_sel:BYTE_3
	v_sub_u16_sdwa v125, v125, v126 dst_sel:DWORD dst_unused:UNUSED_PAD src0_sel:WORD_1 src1_sel:WORD_1
	v_or_b32_sdwa v127, v127, v133 dst_sel:DWORD dst_unused:UNUSED_PAD src0_sel:BYTE_0 src1_sel:DWORD
	v_or_b32_sdwa v124, v125, v124 dst_sel:WORD_1 dst_unused:UNUSED_PAD src0_sel:BYTE_0 src1_sel:DWORD
	v_add_u32_e32 v126, 0x4210, v130
	v_or_b32_sdwa v133, v127, v124 dst_sel:DWORD dst_unused:UNUSED_PAD src0_sel:WORD_0 src1_sel:DWORD
	ds_read2_b32 v[124:125], v128 offset0:4 offset1:5
	ds_read2_b32 v[126:127], v126 offset1:1
	s_waitcnt lgkmcnt(1)
	v_ashrrev_i32_e32 v124, s21, v124
	s_waitcnt lgkmcnt(0)
	v_ashrrev_i32_e32 v126, s2, v126
	v_lshlrev_b32_e32 v126, 2, v126
	;; [unrolled: 31-line block ×3, first 2 shown]
	v_and_b32_e32 v128, 0x3030303, v124
	v_bfe_u32 v124, v124, 24, 2
	v_and_b32_e32 v126, 0x4040404, v126
	v_ashrrev_i32_e32 v127, s2, v127
	v_sub_u16_e32 v130, v128, v126
	v_sub_u16_sdwa v136, v128, v126 dst_sel:BYTE_1 dst_unused:UNUSED_PAD src0_sel:BYTE_1 src1_sel:BYTE_1
	v_sub_u16_sdwa v124, v124, v126 dst_sel:BYTE_1 dst_unused:UNUSED_PAD src0_sel:DWORD src1_sel:BYTE_3
	v_sub_u16_sdwa v126, v128, v126 dst_sel:DWORD dst_unused:UNUSED_PAD src0_sel:WORD_1 src1_sel:WORD_1
	v_ashrrev_i32_e32 v125, s21, v125
	v_lshlrev_b32_e32 v127, 2, v127
	v_or_b32_sdwa v130, v130, v136 dst_sel:DWORD dst_unused:UNUSED_PAD src0_sel:BYTE_0 src1_sel:DWORD
	v_or_b32_sdwa v124, v126, v124 dst_sel:WORD_1 dst_unused:UNUSED_PAD src0_sel:BYTE_0 src1_sel:DWORD
	v_and_b32_e32 v126, 0x3030303, v125
	v_bfe_u32 v125, v125, 24, 2
	v_and_b32_e32 v127, 0x4040404, v127
	v_or_b32_sdwa v124, v130, v124 dst_sel:DWORD dst_unused:UNUSED_PAD src0_sel:WORD_0 src1_sel:DWORD
	v_sub_u16_e32 v128, v126, v127
	v_sub_u16_sdwa v130, v126, v127 dst_sel:BYTE_1 dst_unused:UNUSED_PAD src0_sel:BYTE_1 src1_sel:BYTE_1
	v_sub_u16_sdwa v125, v125, v127 dst_sel:BYTE_1 dst_unused:UNUSED_PAD src0_sel:DWORD src1_sel:BYTE_3
	v_sub_u16_sdwa v126, v126, v127 dst_sel:DWORD dst_unused:UNUSED_PAD src0_sel:WORD_1 src1_sel:WORD_1
	v_or_b32_sdwa v125, v126, v125 dst_sel:WORD_1 dst_unused:UNUSED_PAD src0_sel:BYTE_0 src1_sel:DWORD
	v_add_u32_e32 v126, s36, v88
	v_mov_b32_e32 v127, 0
	ds_read_b32 v126, v126
	v_dot4c_i32_i8_e32 v127, v129, v6
	ds_read_u16 v6, v123 offset:28418
	v_dot4c_i32_i8_e32 v127, v131, v7
	v_dot4c_i32_i8_e32 v127, v132, v8
	v_mov_b32_e32 v8, 0
	v_dot4c_i32_i8_e32 v8, v134, v2
	v_or_b32_sdwa v128, v128, v130 dst_sel:DWORD dst_unused:UNUSED_PAD src0_sel:BYTE_0 src1_sel:DWORD
	v_dot4c_i32_i8_e32 v8, v135, v3
	v_or_b32_sdwa v125, v128, v125 dst_sel:DWORD dst_unused:UNUSED_PAD src0_sel:WORD_0 src1_sel:DWORD
	v_dot4c_i32_i8_e32 v127, v133, v9
	s_waitcnt lgkmcnt(0)
	v_lshrrev_b16_e32 v7, 8, v6
	v_bfe_i32 v6, v6, 0, 8
	v_dot4c_i32_i8_e32 v8, v124, v4
	v_mul_lo_u32 v6, v127, v6
	v_dot4c_i32_i8_e32 v8, v125, v5
	v_bfe_i32 v2, v7, 0, 8
	s_add_i32 s2, s2, 1
	s_cmp_lt_u32 s21, 6
	v_mad_u64_u32 v[2:3], s[34:35], v8, v2, v[6:7]
	v_cvt_f32_i32_e32 v2, v2
	v_mul_f32_e32 v3, v122, v126
	v_fmac_f32_e32 v11, v3, v2
	s_cbranch_scc1 .LBB189_12
; %bb.13:                               ;   in Loop: Header=BB189_5 Depth=1
	s_or_b32 s2, s33, 0x80
	s_cmp_ge_i32 s2, s15
	s_barrier
	s_cbranch_scc1 .LBB189_4
; %bb.14:                               ;   in Loop: Header=BB189_5 Depth=1
	v_add_u32_e32 v2, s31, v89
	v_cmp_gt_i32_e64 s[2:3], s9, v2
	s_and_b64 s[20:21], s[0:1], s[2:3]
	s_and_saveexec_b64 s[2:3], s[20:21]
	s_cbranch_execz .LBB189_16
; %bb.15:                               ;   in Loop: Header=BB189_5 Depth=1
	v_add_u32_e32 v2, v84, v2
	v_mad_i64_i32 v[2:3], s[20:21], v2, 36, v[82:83]
	global_load_dword v2, v[2:3], off offset:4
	s_waitcnt vmcnt(0)
	ds_write_b32 v59, v2
.LBB189_16:                             ;   in Loop: Header=BB189_5 Depth=1
	s_or_b64 exec, exec, s[2:3]
	s_and_saveexec_b64 s[20:21], vcc
	s_cbranch_execz .LBB189_19
; %bb.17:                               ;   in Loop: Header=BB189_5 Depth=1
	v_or_b32_e32 v2, s31, v17
	v_or_b32_e32 v3, 4, v2
	v_cmp_gt_i32_e64 s[2:3], s9, v3
	s_and_b64 s[2:3], s[0:1], s[2:3]
	s_and_b64 exec, exec, s[2:3]
	s_cbranch_execz .LBB189_19
; %bb.18:                               ;   in Loop: Header=BB189_5 Depth=1
	v_ashrrev_i32_e32 v3, 31, v2
	v_add_co_u32_e64 v2, s[2:3], v84, v2
	v_addc_co_u32_e64 v4, s[2:3], v1, v3, s[2:3]
	v_mad_u64_u32 v[2:3], s[2:3], v2, 36, s[4:5]
	v_mad_i32_i24 v3, v4, 36, v3
	global_load_dword v2, v[2:3], off
	s_waitcnt vmcnt(0)
	v_cvt_f32_f16_e32 v2, v2
	ds_write_b32 v61, v2
.LBB189_19:                             ;   in Loop: Header=BB189_5 Depth=1
	s_or_b64 exec, exec, s[20:21]
	s_mov_b32 s2, 8
	s_mov_b32 s3, 0
	;; [unrolled: 1-line block ×3, first 2 shown]
	v_mov_b32_e32 v120, v97
	v_mov_b32_e32 v121, v98
	s_waitcnt lgkmcnt(0)
	s_barrier
.LBB189_20:                             ;   Parent Loop BB189_5 Depth=1
                                        ; =>  This Inner Loop Header: Depth=2
	s_add_i32 s21, s3, 8
	s_lshr_b32 s37, s21, 4
	s_and_b32 s36, s21, 0x3ffffff8
	s_lshl_b32 s35, s37, 3
	s_lshl_b32 s36, s36, 2
	v_add_lshl_u32 v129, v65, s35, 2
	v_add_u32_e32 v123, s36, v67
	v_add_u32_e32 v126, 0x4200, v129
	ds_read_b32 v122, v121
	ds_read_b128 v[6:9], v120
	ds_read_b128 v[2:5], v120 offset:16
	ds_read2_b32 v[124:125], v123 offset1:1
	ds_read2_b32 v[126:127], v126 offset1:1
	s_and_b32 s34, s2, -16
	s_lshl_b32 s37, s37, 2
	s_add_i32 s2, s2, 2
	s_waitcnt lgkmcnt(1)
	v_ashrrev_i32_e32 v124, s3, v124
	s_waitcnt lgkmcnt(0)
	v_ashrrev_i32_e32 v126, s20, v126
	v_lshlrev_b32_e32 v126, 2, v126
	v_and_b32_e32 v128, 0x3030303, v124
	v_bfe_u32 v124, v124, 24, 2
	v_and_b32_e32 v126, 0x4040404, v126
	v_sub_u16_e32 v130, v128, v126
	v_sub_u16_sdwa v131, v128, v126 dst_sel:BYTE_1 dst_unused:UNUSED_PAD src0_sel:BYTE_1 src1_sel:BYTE_1
	v_sub_u16_sdwa v124, v124, v126 dst_sel:BYTE_1 dst_unused:UNUSED_PAD src0_sel:DWORD src1_sel:BYTE_3
	v_sub_u16_sdwa v126, v128, v126 dst_sel:DWORD dst_unused:UNUSED_PAD src0_sel:WORD_1 src1_sel:WORD_1
	v_or_b32_sdwa v130, v130, v131 dst_sel:DWORD dst_unused:UNUSED_PAD src0_sel:BYTE_0 src1_sel:DWORD
	v_or_b32_sdwa v124, v126, v124 dst_sel:WORD_1 dst_unused:UNUSED_PAD src0_sel:BYTE_0 src1_sel:DWORD
	v_ashrrev_i32_e32 v126, s20, v127
	v_or_b32_sdwa v128, v130, v124 dst_sel:DWORD dst_unused:UNUSED_PAD src0_sel:WORD_0 src1_sel:DWORD
	v_ashrrev_i32_e32 v124, s3, v125
	v_lshlrev_b32_e32 v126, 2, v126
	v_and_b32_e32 v125, 0x3030303, v124
	v_bfe_u32 v124, v124, 24, 2
	v_and_b32_e32 v126, 0x4040404, v126
	v_sub_u16_e32 v127, v125, v126
	v_sub_u16_sdwa v130, v125, v126 dst_sel:BYTE_1 dst_unused:UNUSED_PAD src0_sel:BYTE_1 src1_sel:BYTE_1
	v_sub_u16_sdwa v124, v124, v126 dst_sel:BYTE_1 dst_unused:UNUSED_PAD src0_sel:DWORD src1_sel:BYTE_3
	v_sub_u16_sdwa v125, v125, v126 dst_sel:DWORD dst_unused:UNUSED_PAD src0_sel:WORD_1 src1_sel:WORD_1
	v_or_b32_sdwa v127, v127, v130 dst_sel:DWORD dst_unused:UNUSED_PAD src0_sel:BYTE_0 src1_sel:DWORD
	v_or_b32_sdwa v124, v125, v124 dst_sel:WORD_1 dst_unused:UNUSED_PAD src0_sel:BYTE_0 src1_sel:DWORD
	v_add_u32_e32 v126, 0x4208, v129
	v_or_b32_sdwa v130, v127, v124 dst_sel:DWORD dst_unused:UNUSED_PAD src0_sel:WORD_0 src1_sel:DWORD
	ds_read2_b32 v[124:125], v123 offset0:2 offset1:3
	ds_read2_b32 v[126:127], v126 offset1:1
	v_add_u32_e32 v121, 4, v121
	v_add_u32_e32 v120, 32, v120
	s_waitcnt lgkmcnt(1)
	v_ashrrev_i32_e32 v124, s3, v124
	s_waitcnt lgkmcnt(0)
	v_ashrrev_i32_e32 v126, s20, v126
	v_lshlrev_b32_e32 v126, 2, v126
	v_and_b32_e32 v131, 0x3030303, v124
	v_bfe_u32 v124, v124, 24, 2
	v_and_b32_e32 v126, 0x4040404, v126
	v_sub_u16_e32 v132, v131, v126
	v_sub_u16_sdwa v133, v131, v126 dst_sel:BYTE_1 dst_unused:UNUSED_PAD src0_sel:BYTE_1 src1_sel:BYTE_1
	v_sub_u16_sdwa v124, v124, v126 dst_sel:BYTE_1 dst_unused:UNUSED_PAD src0_sel:DWORD src1_sel:BYTE_3
	v_sub_u16_sdwa v126, v131, v126 dst_sel:DWORD dst_unused:UNUSED_PAD src0_sel:WORD_1 src1_sel:WORD_1
	v_or_b32_sdwa v132, v132, v133 dst_sel:DWORD dst_unused:UNUSED_PAD src0_sel:BYTE_0 src1_sel:DWORD
	v_or_b32_sdwa v124, v126, v124 dst_sel:WORD_1 dst_unused:UNUSED_PAD src0_sel:BYTE_0 src1_sel:DWORD
	v_ashrrev_i32_e32 v126, s20, v127
	v_or_b32_sdwa v131, v132, v124 dst_sel:DWORD dst_unused:UNUSED_PAD src0_sel:WORD_0 src1_sel:DWORD
	v_ashrrev_i32_e32 v124, s3, v125
	v_lshlrev_b32_e32 v126, 2, v126
	v_and_b32_e32 v125, 0x3030303, v124
	v_bfe_u32 v124, v124, 24, 2
	v_and_b32_e32 v126, 0x4040404, v126
	v_sub_u16_e32 v127, v125, v126
	v_sub_u16_sdwa v132, v125, v126 dst_sel:BYTE_1 dst_unused:UNUSED_PAD src0_sel:BYTE_1 src1_sel:BYTE_1
	v_sub_u16_sdwa v124, v124, v126 dst_sel:BYTE_1 dst_unused:UNUSED_PAD src0_sel:DWORD src1_sel:BYTE_3
	v_sub_u16_sdwa v125, v125, v126 dst_sel:DWORD dst_unused:UNUSED_PAD src0_sel:WORD_1 src1_sel:WORD_1
	v_or_b32_sdwa v127, v127, v132 dst_sel:DWORD dst_unused:UNUSED_PAD src0_sel:BYTE_0 src1_sel:DWORD
	v_or_b32_sdwa v124, v125, v124 dst_sel:WORD_1 dst_unused:UNUSED_PAD src0_sel:BYTE_0 src1_sel:DWORD
	v_add_u32_e32 v126, 0x4210, v129
	v_or_b32_sdwa v132, v127, v124 dst_sel:DWORD dst_unused:UNUSED_PAD src0_sel:WORD_0 src1_sel:DWORD
	ds_read2_b32 v[124:125], v123 offset0:4 offset1:5
	ds_read2_b32 v[126:127], v126 offset1:1
	s_waitcnt lgkmcnt(1)
	v_ashrrev_i32_e32 v124, s3, v124
	s_waitcnt lgkmcnt(0)
	v_ashrrev_i32_e32 v126, s20, v126
	v_lshlrev_b32_e32 v126, 2, v126
	v_and_b32_e32 v133, 0x3030303, v124
	v_bfe_u32 v124, v124, 24, 2
	v_and_b32_e32 v126, 0x4040404, v126
	v_sub_u16_e32 v134, v133, v126
	v_sub_u16_sdwa v135, v133, v126 dst_sel:BYTE_1 dst_unused:UNUSED_PAD src0_sel:BYTE_1 src1_sel:BYTE_1
	v_sub_u16_sdwa v124, v124, v126 dst_sel:BYTE_1 dst_unused:UNUSED_PAD src0_sel:DWORD src1_sel:BYTE_3
	v_sub_u16_sdwa v126, v133, v126 dst_sel:DWORD dst_unused:UNUSED_PAD src0_sel:WORD_1 src1_sel:WORD_1
	v_or_b32_sdwa v134, v134, v135 dst_sel:DWORD dst_unused:UNUSED_PAD src0_sel:BYTE_0 src1_sel:DWORD
	v_or_b32_sdwa v124, v126, v124 dst_sel:WORD_1 dst_unused:UNUSED_PAD src0_sel:BYTE_0 src1_sel:DWORD
	v_ashrrev_i32_e32 v126, s20, v127
	v_or_b32_sdwa v133, v134, v124 dst_sel:DWORD dst_unused:UNUSED_PAD src0_sel:WORD_0 src1_sel:DWORD
	v_ashrrev_i32_e32 v124, s3, v125
	v_lshlrev_b32_e32 v126, 2, v126
	v_and_b32_e32 v125, 0x3030303, v124
	v_bfe_u32 v124, v124, 24, 2
	v_and_b32_e32 v126, 0x4040404, v126
	v_sub_u16_e32 v127, v125, v126
	v_sub_u16_sdwa v134, v125, v126 dst_sel:BYTE_1 dst_unused:UNUSED_PAD src0_sel:BYTE_1 src1_sel:BYTE_1
	v_sub_u16_sdwa v124, v124, v126 dst_sel:BYTE_1 dst_unused:UNUSED_PAD src0_sel:DWORD src1_sel:BYTE_3
	v_sub_u16_sdwa v125, v125, v126 dst_sel:DWORD dst_unused:UNUSED_PAD src0_sel:WORD_1 src1_sel:WORD_1
	v_or_b32_sdwa v127, v127, v134 dst_sel:DWORD dst_unused:UNUSED_PAD src0_sel:BYTE_0 src1_sel:DWORD
	v_or_b32_sdwa v124, v125, v124 dst_sel:WORD_1 dst_unused:UNUSED_PAD src0_sel:BYTE_0 src1_sel:DWORD
	v_add_u32_e32 v126, 0x4218, v129
	v_or_b32_sdwa v134, v127, v124 dst_sel:DWORD dst_unused:UNUSED_PAD src0_sel:WORD_0 src1_sel:DWORD
	ds_read2_b32 v[124:125], v123 offset0:6 offset1:7
	ds_read2_b32 v[126:127], v126 offset1:1
	s_waitcnt lgkmcnt(1)
	v_ashrrev_i32_e32 v123, s3, v124
	s_waitcnt lgkmcnt(0)
	v_ashrrev_i32_e32 v126, s20, v126
	v_lshlrev_b32_e32 v126, 2, v126
	v_and_b32_e32 v124, 0x3030303, v123
	v_bfe_u32 v123, v123, 24, 2
	v_and_b32_e32 v126, 0x4040404, v126
	v_sub_u16_e32 v129, v124, v126
	v_sub_u16_sdwa v135, v124, v126 dst_sel:BYTE_1 dst_unused:UNUSED_PAD src0_sel:BYTE_1 src1_sel:BYTE_1
	v_sub_u16_sdwa v123, v123, v126 dst_sel:BYTE_1 dst_unused:UNUSED_PAD src0_sel:DWORD src1_sel:BYTE_3
	v_sub_u16_sdwa v124, v124, v126 dst_sel:DWORD dst_unused:UNUSED_PAD src0_sel:WORD_1 src1_sel:WORD_1
	v_or_b32_sdwa v129, v129, v135 dst_sel:DWORD dst_unused:UNUSED_PAD src0_sel:BYTE_0 src1_sel:DWORD
	v_or_b32_sdwa v123, v124, v123 dst_sel:WORD_1 dst_unused:UNUSED_PAD src0_sel:BYTE_0 src1_sel:DWORD
	v_or_b32_sdwa v126, v129, v123 dst_sel:DWORD dst_unused:UNUSED_PAD src0_sel:WORD_0 src1_sel:DWORD
	v_ashrrev_i32_e32 v123, s3, v125
	v_ashrrev_i32_e32 v125, s20, v127
	v_lshlrev_b32_e32 v125, 2, v125
	v_and_b32_e32 v124, 0x3030303, v123
	v_bfe_u32 v123, v123, 24, 2
	v_and_b32_e32 v125, 0x4040404, v125
	v_sub_u16_e32 v127, v124, v125
	v_sub_u16_sdwa v129, v124, v125 dst_sel:BYTE_1 dst_unused:UNUSED_PAD src0_sel:BYTE_1 src1_sel:BYTE_1
	v_sub_u16_sdwa v123, v123, v125 dst_sel:BYTE_1 dst_unused:UNUSED_PAD src0_sel:DWORD src1_sel:BYTE_3
	v_sub_u16_sdwa v124, v124, v125 dst_sel:DWORD dst_unused:UNUSED_PAD src0_sel:WORD_1 src1_sel:WORD_1
	v_or_b32_sdwa v127, v127, v129 dst_sel:DWORD dst_unused:UNUSED_PAD src0_sel:BYTE_0 src1_sel:DWORD
	v_or_b32_sdwa v123, v124, v123 dst_sel:WORD_1 dst_unused:UNUSED_PAD src0_sel:BYTE_0 src1_sel:DWORD
	v_or_b32_sdwa v125, v127, v123 dst_sel:DWORD dst_unused:UNUSED_PAD src0_sel:WORD_0 src1_sel:DWORD
	v_add_u32_e32 v123, s3, v63
	v_add3_u32 v124, v102, s34, v123
	v_add_u32_e32 v127, s37, v69
	ds_read_b32 v127, v127
	ds_read_u16 v124, v124
	v_mov_b32_e32 v129, 0
	v_dot4c_i32_i8_e32 v129, v128, v6
	v_dot4c_i32_i8_e32 v129, v130, v7
	;; [unrolled: 1-line block ×4, first 2 shown]
	s_waitcnt lgkmcnt(0)
	v_lshrrev_b16_e32 v128, 8, v124
	v_bfe_i32 v124, v124, 0, 8
	v_add_lshl_u32 v130, v71, s35, 2
	v_mul_lo_u32 v124, v129, v124
	v_mov_b32_e32 v129, 0
	v_dot4c_i32_i8_e32 v129, v133, v2
	v_dot4c_i32_i8_e32 v129, v134, v3
	;; [unrolled: 1-line block ×4, first 2 shown]
	v_bfe_i32 v125, v128, 0, 8
	v_add_u32_e32 v128, s36, v73
	v_add_u32_e32 v126, 0x4200, v130
	v_mad_u64_u32 v[124:125], s[38:39], v129, v125, v[124:125]
	v_cvt_f32_i32_e32 v124, v124
	v_mul_f32_e32 v125, v122, v127
	ds_read2_b32 v[126:127], v126 offset1:1
	v_fmac_f32_e32 v15, v125, v124
	ds_read2_b32 v[124:125], v128 offset1:1
	s_waitcnt lgkmcnt(1)
	v_ashrrev_i32_e32 v126, s20, v126
	v_lshlrev_b32_e32 v126, 2, v126
	v_and_b32_e32 v126, 0x4040404, v126
	s_waitcnt lgkmcnt(0)
	v_ashrrev_i32_e32 v124, s3, v124
	v_and_b32_e32 v129, 0x3030303, v124
	v_bfe_u32 v124, v124, 24, 2
	v_sub_u16_e32 v131, v129, v126
	v_sub_u16_sdwa v132, v129, v126 dst_sel:BYTE_1 dst_unused:UNUSED_PAD src0_sel:BYTE_1 src1_sel:BYTE_1
	v_sub_u16_sdwa v124, v124, v126 dst_sel:BYTE_1 dst_unused:UNUSED_PAD src0_sel:DWORD src1_sel:BYTE_3
	v_sub_u16_sdwa v126, v129, v126 dst_sel:DWORD dst_unused:UNUSED_PAD src0_sel:WORD_1 src1_sel:WORD_1
	v_or_b32_sdwa v131, v131, v132 dst_sel:DWORD dst_unused:UNUSED_PAD src0_sel:BYTE_0 src1_sel:DWORD
	v_or_b32_sdwa v124, v126, v124 dst_sel:WORD_1 dst_unused:UNUSED_PAD src0_sel:BYTE_0 src1_sel:DWORD
	v_ashrrev_i32_e32 v126, s20, v127
	v_or_b32_sdwa v129, v131, v124 dst_sel:DWORD dst_unused:UNUSED_PAD src0_sel:WORD_0 src1_sel:DWORD
	v_ashrrev_i32_e32 v124, s3, v125
	v_lshlrev_b32_e32 v126, 2, v126
	v_and_b32_e32 v125, 0x3030303, v124
	v_bfe_u32 v124, v124, 24, 2
	v_and_b32_e32 v126, 0x4040404, v126
	v_sub_u16_e32 v127, v125, v126
	v_sub_u16_sdwa v131, v125, v126 dst_sel:BYTE_1 dst_unused:UNUSED_PAD src0_sel:BYTE_1 src1_sel:BYTE_1
	v_sub_u16_sdwa v124, v124, v126 dst_sel:BYTE_1 dst_unused:UNUSED_PAD src0_sel:DWORD src1_sel:BYTE_3
	v_sub_u16_sdwa v125, v125, v126 dst_sel:DWORD dst_unused:UNUSED_PAD src0_sel:WORD_1 src1_sel:WORD_1
	v_or_b32_sdwa v127, v127, v131 dst_sel:DWORD dst_unused:UNUSED_PAD src0_sel:BYTE_0 src1_sel:DWORD
	v_or_b32_sdwa v124, v125, v124 dst_sel:WORD_1 dst_unused:UNUSED_PAD src0_sel:BYTE_0 src1_sel:DWORD
	v_add_u32_e32 v126, 0x4208, v130
	v_or_b32_sdwa v131, v127, v124 dst_sel:DWORD dst_unused:UNUSED_PAD src0_sel:WORD_0 src1_sel:DWORD
	ds_read2_b32 v[124:125], v128 offset0:2 offset1:3
	ds_read2_b32 v[126:127], v126 offset1:1
	s_waitcnt lgkmcnt(1)
	v_ashrrev_i32_e32 v124, s3, v124
	s_waitcnt lgkmcnt(0)
	v_ashrrev_i32_e32 v126, s20, v126
	v_lshlrev_b32_e32 v126, 2, v126
	v_and_b32_e32 v132, 0x3030303, v124
	v_bfe_u32 v124, v124, 24, 2
	v_and_b32_e32 v126, 0x4040404, v126
	v_sub_u16_e32 v133, v132, v126
	v_sub_u16_sdwa v134, v132, v126 dst_sel:BYTE_1 dst_unused:UNUSED_PAD src0_sel:BYTE_1 src1_sel:BYTE_1
	v_sub_u16_sdwa v124, v124, v126 dst_sel:BYTE_1 dst_unused:UNUSED_PAD src0_sel:DWORD src1_sel:BYTE_3
	v_sub_u16_sdwa v126, v132, v126 dst_sel:DWORD dst_unused:UNUSED_PAD src0_sel:WORD_1 src1_sel:WORD_1
	v_or_b32_sdwa v133, v133, v134 dst_sel:DWORD dst_unused:UNUSED_PAD src0_sel:BYTE_0 src1_sel:DWORD
	v_or_b32_sdwa v124, v126, v124 dst_sel:WORD_1 dst_unused:UNUSED_PAD src0_sel:BYTE_0 src1_sel:DWORD
	v_ashrrev_i32_e32 v126, s20, v127
	v_or_b32_sdwa v132, v133, v124 dst_sel:DWORD dst_unused:UNUSED_PAD src0_sel:WORD_0 src1_sel:DWORD
	v_ashrrev_i32_e32 v124, s3, v125
	v_lshlrev_b32_e32 v126, 2, v126
	v_and_b32_e32 v125, 0x3030303, v124
	v_bfe_u32 v124, v124, 24, 2
	v_and_b32_e32 v126, 0x4040404, v126
	v_sub_u16_e32 v127, v125, v126
	v_sub_u16_sdwa v133, v125, v126 dst_sel:BYTE_1 dst_unused:UNUSED_PAD src0_sel:BYTE_1 src1_sel:BYTE_1
	v_sub_u16_sdwa v124, v124, v126 dst_sel:BYTE_1 dst_unused:UNUSED_PAD src0_sel:DWORD src1_sel:BYTE_3
	v_sub_u16_sdwa v125, v125, v126 dst_sel:DWORD dst_unused:UNUSED_PAD src0_sel:WORD_1 src1_sel:WORD_1
	v_or_b32_sdwa v127, v127, v133 dst_sel:DWORD dst_unused:UNUSED_PAD src0_sel:BYTE_0 src1_sel:DWORD
	v_or_b32_sdwa v124, v125, v124 dst_sel:WORD_1 dst_unused:UNUSED_PAD src0_sel:BYTE_0 src1_sel:DWORD
	v_add_u32_e32 v126, 0x4210, v130
	v_or_b32_sdwa v133, v127, v124 dst_sel:DWORD dst_unused:UNUSED_PAD src0_sel:WORD_0 src1_sel:DWORD
	ds_read2_b32 v[124:125], v128 offset0:4 offset1:5
	ds_read2_b32 v[126:127], v126 offset1:1
	s_waitcnt lgkmcnt(1)
	v_ashrrev_i32_e32 v124, s3, v124
	s_waitcnt lgkmcnt(0)
	v_ashrrev_i32_e32 v126, s20, v126
	v_lshlrev_b32_e32 v126, 2, v126
	v_and_b32_e32 v134, 0x3030303, v124
	v_bfe_u32 v124, v124, 24, 2
	v_and_b32_e32 v126, 0x4040404, v126
	;; [unrolled: 31-line block ×3, first 2 shown]
	v_sub_u16_e32 v130, v128, v126
	v_sub_u16_sdwa v136, v128, v126 dst_sel:BYTE_1 dst_unused:UNUSED_PAD src0_sel:BYTE_1 src1_sel:BYTE_1
	v_sub_u16_sdwa v124, v124, v126 dst_sel:BYTE_1 dst_unused:UNUSED_PAD src0_sel:DWORD src1_sel:BYTE_3
	v_sub_u16_sdwa v126, v128, v126 dst_sel:DWORD dst_unused:UNUSED_PAD src0_sel:WORD_1 src1_sel:WORD_1
	v_or_b32_sdwa v130, v130, v136 dst_sel:DWORD dst_unused:UNUSED_PAD src0_sel:BYTE_0 src1_sel:DWORD
	v_or_b32_sdwa v124, v126, v124 dst_sel:WORD_1 dst_unused:UNUSED_PAD src0_sel:BYTE_0 src1_sel:DWORD
	v_ashrrev_i32_e32 v127, s20, v127
	v_or_b32_sdwa v126, v130, v124 dst_sel:DWORD dst_unused:UNUSED_PAD src0_sel:WORD_0 src1_sel:DWORD
	v_ashrrev_i32_e32 v124, s3, v125
	v_lshlrev_b32_e32 v127, 2, v127
	v_and_b32_e32 v125, 0x3030303, v124
	v_bfe_u32 v124, v124, 24, 2
	v_and_b32_e32 v127, 0x4040404, v127
	v_sub_u16_e32 v128, v125, v127
	v_sub_u16_sdwa v130, v125, v127 dst_sel:BYTE_1 dst_unused:UNUSED_PAD src0_sel:BYTE_1 src1_sel:BYTE_1
	v_sub_u16_sdwa v124, v124, v127 dst_sel:BYTE_1 dst_unused:UNUSED_PAD src0_sel:DWORD src1_sel:BYTE_3
	v_sub_u16_sdwa v125, v125, v127 dst_sel:DWORD dst_unused:UNUSED_PAD src0_sel:WORD_1 src1_sel:WORD_1
	v_or_b32_sdwa v128, v128, v130 dst_sel:DWORD dst_unused:UNUSED_PAD src0_sel:BYTE_0 src1_sel:DWORD
	v_or_b32_sdwa v124, v125, v124 dst_sel:WORD_1 dst_unused:UNUSED_PAD src0_sel:BYTE_0 src1_sel:DWORD
	v_or_b32_sdwa v125, v128, v124 dst_sel:DWORD dst_unused:UNUSED_PAD src0_sel:WORD_0 src1_sel:DWORD
	v_add3_u32 v124, v101, s34, v123
	v_add_u32_e32 v127, s37, v75
	ds_read_b32 v127, v127
	ds_read_u16 v124, v124
	v_mov_b32_e32 v128, 0
	v_dot4c_i32_i8_e32 v128, v129, v6
	v_dot4c_i32_i8_e32 v128, v131, v7
	v_dot4c_i32_i8_e32 v128, v132, v8
	v_dot4c_i32_i8_e32 v128, v133, v9
	s_waitcnt lgkmcnt(0)
	v_lshrrev_b16_e32 v129, 8, v124
	v_bfe_i32 v124, v124, 0, 8
	v_add_lshl_u32 v130, v77, s35, 2
	v_mul_lo_u32 v124, v128, v124
	v_mov_b32_e32 v128, 0
	v_dot4c_i32_i8_e32 v128, v134, v2
	v_dot4c_i32_i8_e32 v128, v135, v3
	v_dot4c_i32_i8_e32 v128, v126, v4
	v_dot4c_i32_i8_e32 v128, v125, v5
	v_bfe_i32 v125, v129, 0, 8
	v_add_u32_e32 v126, 0x4200, v130
	s_nop 0
	v_mad_u64_u32 v[124:125], s[38:39], v128, v125, v[124:125]
	v_cvt_f32_i32_e32 v124, v124
	v_mul_f32_e32 v125, v122, v127
	v_add_u32_e32 v128, s36, v79
	ds_read2_b32 v[126:127], v126 offset1:1
	v_fmac_f32_e32 v92, v125, v124
	ds_read2_b32 v[124:125], v128 offset1:1
	s_waitcnt lgkmcnt(1)
	v_ashrrev_i32_e32 v126, s20, v126
	v_lshlrev_b32_e32 v126, 2, v126
	s_waitcnt lgkmcnt(0)
	v_ashrrev_i32_e32 v124, s3, v124
	v_and_b32_e32 v129, 0x3030303, v124
	v_bfe_u32 v124, v124, 24, 2
	v_and_b32_e32 v126, 0x4040404, v126
	v_sub_u16_e32 v131, v129, v126
	v_sub_u16_sdwa v132, v129, v126 dst_sel:BYTE_1 dst_unused:UNUSED_PAD src0_sel:BYTE_1 src1_sel:BYTE_1
	v_sub_u16_sdwa v124, v124, v126 dst_sel:BYTE_1 dst_unused:UNUSED_PAD src0_sel:DWORD src1_sel:BYTE_3
	v_sub_u16_sdwa v126, v129, v126 dst_sel:DWORD dst_unused:UNUSED_PAD src0_sel:WORD_1 src1_sel:WORD_1
	v_or_b32_sdwa v131, v131, v132 dst_sel:DWORD dst_unused:UNUSED_PAD src0_sel:BYTE_0 src1_sel:DWORD
	v_or_b32_sdwa v124, v126, v124 dst_sel:WORD_1 dst_unused:UNUSED_PAD src0_sel:BYTE_0 src1_sel:DWORD
	v_ashrrev_i32_e32 v126, s20, v127
	v_or_b32_sdwa v129, v131, v124 dst_sel:DWORD dst_unused:UNUSED_PAD src0_sel:WORD_0 src1_sel:DWORD
	v_ashrrev_i32_e32 v124, s3, v125
	v_lshlrev_b32_e32 v126, 2, v126
	v_and_b32_e32 v125, 0x3030303, v124
	v_bfe_u32 v124, v124, 24, 2
	v_and_b32_e32 v126, 0x4040404, v126
	v_sub_u16_e32 v127, v125, v126
	v_sub_u16_sdwa v131, v125, v126 dst_sel:BYTE_1 dst_unused:UNUSED_PAD src0_sel:BYTE_1 src1_sel:BYTE_1
	v_sub_u16_sdwa v124, v124, v126 dst_sel:BYTE_1 dst_unused:UNUSED_PAD src0_sel:DWORD src1_sel:BYTE_3
	v_sub_u16_sdwa v125, v125, v126 dst_sel:DWORD dst_unused:UNUSED_PAD src0_sel:WORD_1 src1_sel:WORD_1
	v_or_b32_sdwa v127, v127, v131 dst_sel:DWORD dst_unused:UNUSED_PAD src0_sel:BYTE_0 src1_sel:DWORD
	v_or_b32_sdwa v124, v125, v124 dst_sel:WORD_1 dst_unused:UNUSED_PAD src0_sel:BYTE_0 src1_sel:DWORD
	v_add_u32_e32 v126, 0x4208, v130
	v_or_b32_sdwa v131, v127, v124 dst_sel:DWORD dst_unused:UNUSED_PAD src0_sel:WORD_0 src1_sel:DWORD
	ds_read2_b32 v[124:125], v128 offset0:2 offset1:3
	ds_read2_b32 v[126:127], v126 offset1:1
	s_waitcnt lgkmcnt(1)
	v_ashrrev_i32_e32 v124, s3, v124
	s_waitcnt lgkmcnt(0)
	v_ashrrev_i32_e32 v126, s20, v126
	v_lshlrev_b32_e32 v126, 2, v126
	v_and_b32_e32 v132, 0x3030303, v124
	v_bfe_u32 v124, v124, 24, 2
	v_and_b32_e32 v126, 0x4040404, v126
	v_sub_u16_e32 v133, v132, v126
	v_sub_u16_sdwa v134, v132, v126 dst_sel:BYTE_1 dst_unused:UNUSED_PAD src0_sel:BYTE_1 src1_sel:BYTE_1
	v_sub_u16_sdwa v124, v124, v126 dst_sel:BYTE_1 dst_unused:UNUSED_PAD src0_sel:DWORD src1_sel:BYTE_3
	v_sub_u16_sdwa v126, v132, v126 dst_sel:DWORD dst_unused:UNUSED_PAD src0_sel:WORD_1 src1_sel:WORD_1
	v_or_b32_sdwa v133, v133, v134 dst_sel:DWORD dst_unused:UNUSED_PAD src0_sel:BYTE_0 src1_sel:DWORD
	v_or_b32_sdwa v124, v126, v124 dst_sel:WORD_1 dst_unused:UNUSED_PAD src0_sel:BYTE_0 src1_sel:DWORD
	v_ashrrev_i32_e32 v126, s20, v127
	v_or_b32_sdwa v132, v133, v124 dst_sel:DWORD dst_unused:UNUSED_PAD src0_sel:WORD_0 src1_sel:DWORD
	v_ashrrev_i32_e32 v124, s3, v125
	v_lshlrev_b32_e32 v126, 2, v126
	v_and_b32_e32 v125, 0x3030303, v124
	v_bfe_u32 v124, v124, 24, 2
	v_and_b32_e32 v126, 0x4040404, v126
	v_sub_u16_e32 v127, v125, v126
	v_sub_u16_sdwa v133, v125, v126 dst_sel:BYTE_1 dst_unused:UNUSED_PAD src0_sel:BYTE_1 src1_sel:BYTE_1
	v_sub_u16_sdwa v124, v124, v126 dst_sel:BYTE_1 dst_unused:UNUSED_PAD src0_sel:DWORD src1_sel:BYTE_3
	v_sub_u16_sdwa v125, v125, v126 dst_sel:DWORD dst_unused:UNUSED_PAD src0_sel:WORD_1 src1_sel:WORD_1
	v_or_b32_sdwa v127, v127, v133 dst_sel:DWORD dst_unused:UNUSED_PAD src0_sel:BYTE_0 src1_sel:DWORD
	v_or_b32_sdwa v124, v125, v124 dst_sel:WORD_1 dst_unused:UNUSED_PAD src0_sel:BYTE_0 src1_sel:DWORD
	v_add_u32_e32 v126, 0x4210, v130
	v_or_b32_sdwa v133, v127, v124 dst_sel:DWORD dst_unused:UNUSED_PAD src0_sel:WORD_0 src1_sel:DWORD
	ds_read2_b32 v[124:125], v128 offset0:4 offset1:5
	ds_read2_b32 v[126:127], v126 offset1:1
	s_waitcnt lgkmcnt(1)
	v_ashrrev_i32_e32 v124, s3, v124
	s_waitcnt lgkmcnt(0)
	v_ashrrev_i32_e32 v126, s20, v126
	v_lshlrev_b32_e32 v126, 2, v126
	;; [unrolled: 31-line block ×3, first 2 shown]
	v_and_b32_e32 v128, 0x3030303, v124
	v_bfe_u32 v124, v124, 24, 2
	v_and_b32_e32 v126, 0x4040404, v126
	v_sub_u16_e32 v130, v128, v126
	v_sub_u16_sdwa v136, v128, v126 dst_sel:BYTE_1 dst_unused:UNUSED_PAD src0_sel:BYTE_1 src1_sel:BYTE_1
	v_sub_u16_sdwa v124, v124, v126 dst_sel:BYTE_1 dst_unused:UNUSED_PAD src0_sel:DWORD src1_sel:BYTE_3
	v_sub_u16_sdwa v126, v128, v126 dst_sel:DWORD dst_unused:UNUSED_PAD src0_sel:WORD_1 src1_sel:WORD_1
	v_or_b32_sdwa v130, v130, v136 dst_sel:DWORD dst_unused:UNUSED_PAD src0_sel:BYTE_0 src1_sel:DWORD
	v_or_b32_sdwa v124, v126, v124 dst_sel:WORD_1 dst_unused:UNUSED_PAD src0_sel:BYTE_0 src1_sel:DWORD
	v_ashrrev_i32_e32 v127, s20, v127
	v_or_b32_sdwa v126, v130, v124 dst_sel:DWORD dst_unused:UNUSED_PAD src0_sel:WORD_0 src1_sel:DWORD
	v_ashrrev_i32_e32 v124, s3, v125
	v_lshlrev_b32_e32 v127, 2, v127
	v_and_b32_e32 v125, 0x3030303, v124
	v_bfe_u32 v124, v124, 24, 2
	v_and_b32_e32 v127, 0x4040404, v127
	v_sub_u16_e32 v128, v125, v127
	v_sub_u16_sdwa v130, v125, v127 dst_sel:BYTE_1 dst_unused:UNUSED_PAD src0_sel:BYTE_1 src1_sel:BYTE_1
	v_sub_u16_sdwa v124, v124, v127 dst_sel:BYTE_1 dst_unused:UNUSED_PAD src0_sel:DWORD src1_sel:BYTE_3
	v_sub_u16_sdwa v125, v125, v127 dst_sel:DWORD dst_unused:UNUSED_PAD src0_sel:WORD_1 src1_sel:WORD_1
	v_or_b32_sdwa v128, v128, v130 dst_sel:DWORD dst_unused:UNUSED_PAD src0_sel:BYTE_0 src1_sel:DWORD
	v_or_b32_sdwa v124, v125, v124 dst_sel:WORD_1 dst_unused:UNUSED_PAD src0_sel:BYTE_0 src1_sel:DWORD
	v_or_b32_sdwa v125, v128, v124 dst_sel:DWORD dst_unused:UNUSED_PAD src0_sel:WORD_0 src1_sel:DWORD
	v_add3_u32 v124, v100, s34, v123
	v_add_u32_e32 v127, s37, v81
	ds_read_b32 v127, v127
	ds_read_u16 v124, v124
	v_mov_b32_e32 v128, 0
	v_dot4c_i32_i8_e32 v128, v129, v6
	v_dot4c_i32_i8_e32 v128, v131, v7
	;; [unrolled: 1-line block ×4, first 2 shown]
	s_waitcnt lgkmcnt(0)
	v_lshrrev_b16_e32 v129, 8, v124
	v_bfe_i32 v124, v124, 0, 8
	v_add_lshl_u32 v130, v85, s35, 2
	v_mul_lo_u32 v124, v128, v124
	v_mov_b32_e32 v128, 0
	v_dot4c_i32_i8_e32 v128, v134, v2
	v_dot4c_i32_i8_e32 v128, v135, v3
	;; [unrolled: 1-line block ×4, first 2 shown]
	v_bfe_i32 v125, v129, 0, 8
	v_add_u32_e32 v126, 0x4200, v130
	v_add3_u32 v123, v99, s34, v123
	v_mad_u64_u32 v[124:125], s[38:39], v128, v125, v[124:125]
	v_cvt_f32_i32_e32 v124, v124
	v_mul_f32_e32 v125, v122, v127
	v_add_u32_e32 v128, s36, v86
	ds_read2_b32 v[126:127], v126 offset1:1
	v_fmac_f32_e32 v87, v125, v124
	ds_read2_b32 v[124:125], v128 offset1:1
	s_waitcnt lgkmcnt(1)
	v_ashrrev_i32_e32 v126, s20, v126
	v_lshlrev_b32_e32 v126, 2, v126
	s_waitcnt lgkmcnt(0)
	v_ashrrev_i32_e32 v124, s3, v124
	v_and_b32_e32 v129, 0x3030303, v124
	v_bfe_u32 v124, v124, 24, 2
	v_and_b32_e32 v126, 0x4040404, v126
	v_sub_u16_e32 v131, v129, v126
	v_sub_u16_sdwa v132, v129, v126 dst_sel:BYTE_1 dst_unused:UNUSED_PAD src0_sel:BYTE_1 src1_sel:BYTE_1
	v_sub_u16_sdwa v124, v124, v126 dst_sel:BYTE_1 dst_unused:UNUSED_PAD src0_sel:DWORD src1_sel:BYTE_3
	v_sub_u16_sdwa v126, v129, v126 dst_sel:DWORD dst_unused:UNUSED_PAD src0_sel:WORD_1 src1_sel:WORD_1
	v_or_b32_sdwa v131, v131, v132 dst_sel:DWORD dst_unused:UNUSED_PAD src0_sel:BYTE_0 src1_sel:DWORD
	v_or_b32_sdwa v124, v126, v124 dst_sel:WORD_1 dst_unused:UNUSED_PAD src0_sel:BYTE_0 src1_sel:DWORD
	v_ashrrev_i32_e32 v126, s20, v127
	v_or_b32_sdwa v129, v131, v124 dst_sel:DWORD dst_unused:UNUSED_PAD src0_sel:WORD_0 src1_sel:DWORD
	v_ashrrev_i32_e32 v124, s3, v125
	v_lshlrev_b32_e32 v126, 2, v126
	v_and_b32_e32 v125, 0x3030303, v124
	v_bfe_u32 v124, v124, 24, 2
	v_and_b32_e32 v126, 0x4040404, v126
	v_sub_u16_e32 v127, v125, v126
	v_sub_u16_sdwa v131, v125, v126 dst_sel:BYTE_1 dst_unused:UNUSED_PAD src0_sel:BYTE_1 src1_sel:BYTE_1
	v_sub_u16_sdwa v124, v124, v126 dst_sel:BYTE_1 dst_unused:UNUSED_PAD src0_sel:DWORD src1_sel:BYTE_3
	v_sub_u16_sdwa v125, v125, v126 dst_sel:DWORD dst_unused:UNUSED_PAD src0_sel:WORD_1 src1_sel:WORD_1
	v_or_b32_sdwa v127, v127, v131 dst_sel:DWORD dst_unused:UNUSED_PAD src0_sel:BYTE_0 src1_sel:DWORD
	v_or_b32_sdwa v124, v125, v124 dst_sel:WORD_1 dst_unused:UNUSED_PAD src0_sel:BYTE_0 src1_sel:DWORD
	v_add_u32_e32 v126, 0x4208, v130
	v_or_b32_sdwa v131, v127, v124 dst_sel:DWORD dst_unused:UNUSED_PAD src0_sel:WORD_0 src1_sel:DWORD
	ds_read2_b32 v[124:125], v128 offset0:2 offset1:3
	ds_read2_b32 v[126:127], v126 offset1:1
	s_waitcnt lgkmcnt(1)
	v_ashrrev_i32_e32 v124, s3, v124
	s_waitcnt lgkmcnt(0)
	v_ashrrev_i32_e32 v126, s20, v126
	v_lshlrev_b32_e32 v126, 2, v126
	v_and_b32_e32 v132, 0x3030303, v124
	v_bfe_u32 v124, v124, 24, 2
	v_and_b32_e32 v126, 0x4040404, v126
	v_sub_u16_e32 v133, v132, v126
	v_sub_u16_sdwa v134, v132, v126 dst_sel:BYTE_1 dst_unused:UNUSED_PAD src0_sel:BYTE_1 src1_sel:BYTE_1
	v_sub_u16_sdwa v124, v124, v126 dst_sel:BYTE_1 dst_unused:UNUSED_PAD src0_sel:DWORD src1_sel:BYTE_3
	v_sub_u16_sdwa v126, v132, v126 dst_sel:DWORD dst_unused:UNUSED_PAD src0_sel:WORD_1 src1_sel:WORD_1
	v_or_b32_sdwa v133, v133, v134 dst_sel:DWORD dst_unused:UNUSED_PAD src0_sel:BYTE_0 src1_sel:DWORD
	v_or_b32_sdwa v124, v126, v124 dst_sel:WORD_1 dst_unused:UNUSED_PAD src0_sel:BYTE_0 src1_sel:DWORD
	v_ashrrev_i32_e32 v126, s20, v127
	v_or_b32_sdwa v132, v133, v124 dst_sel:DWORD dst_unused:UNUSED_PAD src0_sel:WORD_0 src1_sel:DWORD
	v_ashrrev_i32_e32 v124, s3, v125
	v_lshlrev_b32_e32 v126, 2, v126
	v_and_b32_e32 v125, 0x3030303, v124
	v_bfe_u32 v124, v124, 24, 2
	v_and_b32_e32 v126, 0x4040404, v126
	v_sub_u16_e32 v127, v125, v126
	v_sub_u16_sdwa v133, v125, v126 dst_sel:BYTE_1 dst_unused:UNUSED_PAD src0_sel:BYTE_1 src1_sel:BYTE_1
	v_sub_u16_sdwa v124, v124, v126 dst_sel:BYTE_1 dst_unused:UNUSED_PAD src0_sel:DWORD src1_sel:BYTE_3
	v_sub_u16_sdwa v125, v125, v126 dst_sel:DWORD dst_unused:UNUSED_PAD src0_sel:WORD_1 src1_sel:WORD_1
	v_or_b32_sdwa v127, v127, v133 dst_sel:DWORD dst_unused:UNUSED_PAD src0_sel:BYTE_0 src1_sel:DWORD
	v_or_b32_sdwa v124, v125, v124 dst_sel:WORD_1 dst_unused:UNUSED_PAD src0_sel:BYTE_0 src1_sel:DWORD
	v_add_u32_e32 v126, 0x4210, v130
	v_or_b32_sdwa v133, v127, v124 dst_sel:DWORD dst_unused:UNUSED_PAD src0_sel:WORD_0 src1_sel:DWORD
	ds_read2_b32 v[124:125], v128 offset0:4 offset1:5
	ds_read2_b32 v[126:127], v126 offset1:1
	s_waitcnt lgkmcnt(1)
	v_ashrrev_i32_e32 v124, s3, v124
	s_waitcnt lgkmcnt(0)
	v_ashrrev_i32_e32 v126, s20, v126
	v_lshlrev_b32_e32 v126, 2, v126
	;; [unrolled: 31-line block ×3, first 2 shown]
	v_and_b32_e32 v128, 0x3030303, v124
	v_bfe_u32 v124, v124, 24, 2
	v_and_b32_e32 v126, 0x4040404, v126
	v_ashrrev_i32_e32 v127, s20, v127
	v_sub_u16_e32 v130, v128, v126
	v_sub_u16_sdwa v136, v128, v126 dst_sel:BYTE_1 dst_unused:UNUSED_PAD src0_sel:BYTE_1 src1_sel:BYTE_1
	v_sub_u16_sdwa v124, v124, v126 dst_sel:BYTE_1 dst_unused:UNUSED_PAD src0_sel:DWORD src1_sel:BYTE_3
	v_sub_u16_sdwa v126, v128, v126 dst_sel:DWORD dst_unused:UNUSED_PAD src0_sel:WORD_1 src1_sel:WORD_1
	v_ashrrev_i32_e32 v125, s3, v125
	v_lshlrev_b32_e32 v127, 2, v127
	v_or_b32_sdwa v130, v130, v136 dst_sel:DWORD dst_unused:UNUSED_PAD src0_sel:BYTE_0 src1_sel:DWORD
	v_or_b32_sdwa v124, v126, v124 dst_sel:WORD_1 dst_unused:UNUSED_PAD src0_sel:BYTE_0 src1_sel:DWORD
	v_and_b32_e32 v126, 0x3030303, v125
	v_bfe_u32 v125, v125, 24, 2
	v_and_b32_e32 v127, 0x4040404, v127
	v_or_b32_sdwa v124, v130, v124 dst_sel:DWORD dst_unused:UNUSED_PAD src0_sel:WORD_0 src1_sel:DWORD
	v_sub_u16_e32 v128, v126, v127
	v_sub_u16_sdwa v130, v126, v127 dst_sel:BYTE_1 dst_unused:UNUSED_PAD src0_sel:BYTE_1 src1_sel:BYTE_1
	v_sub_u16_sdwa v125, v125, v127 dst_sel:BYTE_1 dst_unused:UNUSED_PAD src0_sel:DWORD src1_sel:BYTE_3
	v_sub_u16_sdwa v126, v126, v127 dst_sel:DWORD dst_unused:UNUSED_PAD src0_sel:WORD_1 src1_sel:WORD_1
	v_or_b32_sdwa v125, v126, v125 dst_sel:WORD_1 dst_unused:UNUSED_PAD src0_sel:BYTE_0 src1_sel:DWORD
	v_add_u32_e32 v126, s37, v88
	v_mov_b32_e32 v127, 0
	ds_read_b32 v126, v126
	v_dot4c_i32_i8_e32 v127, v129, v6
	ds_read_u16 v6, v123
	v_dot4c_i32_i8_e32 v127, v131, v7
	v_dot4c_i32_i8_e32 v127, v132, v8
	v_mov_b32_e32 v8, 0
	v_dot4c_i32_i8_e32 v8, v134, v2
	v_or_b32_sdwa v128, v128, v130 dst_sel:DWORD dst_unused:UNUSED_PAD src0_sel:BYTE_0 src1_sel:DWORD
	v_dot4c_i32_i8_e32 v8, v135, v3
	v_or_b32_sdwa v125, v128, v125 dst_sel:DWORD dst_unused:UNUSED_PAD src0_sel:WORD_0 src1_sel:DWORD
	v_dot4c_i32_i8_e32 v127, v133, v9
	s_waitcnt lgkmcnt(0)
	v_lshrrev_b16_e32 v7, 8, v6
	v_bfe_i32 v6, v6, 0, 8
	v_dot4c_i32_i8_e32 v8, v124, v4
	v_mul_lo_u32 v6, v127, v6
	v_dot4c_i32_i8_e32 v8, v125, v5
	v_bfe_i32 v2, v7, 0, 8
	s_add_i32 s3, s3, 2
	s_add_i32 s20, s20, 1
	v_mad_u64_u32 v[2:3], s[34:35], v8, v2, v[6:7]
	v_cvt_f32_i32_e32 v2, v2
	v_mul_f32_e32 v3, v122, v126
	s_cmp_lt_u32 s21, 14
	v_fmac_f32_e32 v11, v3, v2
	s_cbranch_scc1 .LBB189_20
; %bb.21:                               ;   in Loop: Header=BB189_5 Depth=1
	s_or_b32 s2, s33, 0x100
	s_cmp_ge_i32 s2, s15
	s_barrier
	s_cbranch_scc1 .LBB189_4
; %bb.22:                               ;   in Loop: Header=BB189_5 Depth=1
	v_add_u32_e32 v2, s31, v90
	v_cmp_gt_i32_e64 s[2:3], s9, v2
	s_and_b64 s[20:21], s[0:1], s[2:3]
	s_and_saveexec_b64 s[2:3], s[20:21]
	s_cbranch_execz .LBB189_24
; %bb.23:                               ;   in Loop: Header=BB189_5 Depth=1
	v_add_u32_e32 v2, v84, v2
	v_mad_i64_i32 v[2:3], s[20:21], v2, 36, v[82:83]
	global_load_dword v2, v[2:3], off offset:4
	s_waitcnt vmcnt(0)
	ds_write_b32 v59, v2
.LBB189_24:                             ;   in Loop: Header=BB189_5 Depth=1
	s_or_b64 exec, exec, s[2:3]
	s_and_saveexec_b64 s[20:21], vcc
	s_cbranch_execz .LBB189_27
; %bb.25:                               ;   in Loop: Header=BB189_5 Depth=1
	v_or_b32_e32 v2, s31, v17
	v_or_b32_e32 v3, 8, v2
	v_cmp_gt_i32_e64 s[2:3], s9, v3
	s_and_b64 s[2:3], s[0:1], s[2:3]
	s_and_b64 exec, exec, s[2:3]
	s_cbranch_execz .LBB189_27
; %bb.26:                               ;   in Loop: Header=BB189_5 Depth=1
	v_ashrrev_i32_e32 v3, 31, v2
	v_add_co_u32_e64 v2, s[2:3], v84, v2
	v_addc_co_u32_e64 v4, s[2:3], v1, v3, s[2:3]
	v_mad_u64_u32 v[2:3], s[2:3], v2, 36, s[16:17]
	v_mad_i32_i24 v3, v4, 36, v3
	global_load_dword v2, v[2:3], off
	s_waitcnt vmcnt(0)
	v_cvt_f32_f16_e32 v2, v2
	ds_write_b32 v61, v2
.LBB189_27:                             ;   in Loop: Header=BB189_5 Depth=1
	s_or_b64 exec, exec, s[20:21]
	s_mov_b32 s2, 16
	s_mov_b32 s35, 14
	;; [unrolled: 1-line block ×3, first 2 shown]
	v_mov_b32_e32 v120, v97
	v_mov_b32_e32 v121, v98
	s_waitcnt lgkmcnt(0)
	s_barrier
.LBB189_28:                             ;   Parent Loop BB189_5 Depth=1
                                        ; =>  This Inner Loop Header: Depth=2
	s_add_i32 s20, s35, 2
	s_lshr_b32 s38, s20, 4
	s_and_b32 s36, s20, 0x3ffffff8
	s_lshl_b32 s34, s38, 3
	s_lshl_b32 s36, s36, 2
	v_add_lshl_u32 v129, v65, s34, 2
	v_add_u32_e32 v123, s36, v67
	v_add_u32_e32 v126, 0x4200, v129
	ds_read_b32 v122, v121
	ds_read_b128 v[6:9], v120
	ds_read_b128 v[2:5], v120 offset:16
	ds_read2_b32 v[124:125], v123 offset1:1
	ds_read2_b32 v[126:127], v126 offset1:1
	s_add_i32 s21, s35, -14
	s_and_b32 s37, s2, -16
	s_add_i32 s35, s35, s37
	s_waitcnt lgkmcnt(1)
	v_ashrrev_i32_e32 v124, s21, v124
	s_waitcnt lgkmcnt(0)
	v_ashrrev_i32_e32 v126, s3, v126
	v_lshlrev_b32_e32 v126, 2, v126
	v_and_b32_e32 v128, 0x3030303, v124
	v_bfe_u32 v124, v124, 24, 2
	v_and_b32_e32 v126, 0x4040404, v126
	v_sub_u16_e32 v130, v128, v126
	v_sub_u16_sdwa v131, v128, v126 dst_sel:BYTE_1 dst_unused:UNUSED_PAD src0_sel:BYTE_1 src1_sel:BYTE_1
	v_sub_u16_sdwa v124, v124, v126 dst_sel:BYTE_1 dst_unused:UNUSED_PAD src0_sel:DWORD src1_sel:BYTE_3
	v_sub_u16_sdwa v126, v128, v126 dst_sel:DWORD dst_unused:UNUSED_PAD src0_sel:WORD_1 src1_sel:WORD_1
	v_or_b32_sdwa v130, v130, v131 dst_sel:DWORD dst_unused:UNUSED_PAD src0_sel:BYTE_0 src1_sel:DWORD
	v_or_b32_sdwa v124, v126, v124 dst_sel:WORD_1 dst_unused:UNUSED_PAD src0_sel:BYTE_0 src1_sel:DWORD
	v_ashrrev_i32_e32 v126, s3, v127
	v_or_b32_sdwa v128, v130, v124 dst_sel:DWORD dst_unused:UNUSED_PAD src0_sel:WORD_0 src1_sel:DWORD
	v_ashrrev_i32_e32 v124, s21, v125
	v_lshlrev_b32_e32 v126, 2, v126
	v_and_b32_e32 v125, 0x3030303, v124
	v_bfe_u32 v124, v124, 24, 2
	v_and_b32_e32 v126, 0x4040404, v126
	v_sub_u16_e32 v127, v125, v126
	v_sub_u16_sdwa v130, v125, v126 dst_sel:BYTE_1 dst_unused:UNUSED_PAD src0_sel:BYTE_1 src1_sel:BYTE_1
	v_sub_u16_sdwa v124, v124, v126 dst_sel:BYTE_1 dst_unused:UNUSED_PAD src0_sel:DWORD src1_sel:BYTE_3
	v_sub_u16_sdwa v125, v125, v126 dst_sel:DWORD dst_unused:UNUSED_PAD src0_sel:WORD_1 src1_sel:WORD_1
	v_or_b32_sdwa v127, v127, v130 dst_sel:DWORD dst_unused:UNUSED_PAD src0_sel:BYTE_0 src1_sel:DWORD
	v_or_b32_sdwa v124, v125, v124 dst_sel:WORD_1 dst_unused:UNUSED_PAD src0_sel:BYTE_0 src1_sel:DWORD
	v_add_u32_e32 v126, 0x4208, v129
	v_or_b32_sdwa v130, v127, v124 dst_sel:DWORD dst_unused:UNUSED_PAD src0_sel:WORD_0 src1_sel:DWORD
	ds_read2_b32 v[124:125], v123 offset0:2 offset1:3
	ds_read2_b32 v[126:127], v126 offset1:1
	s_lshl_b32 s37, s38, 2
	s_add_i32 s2, s2, 2
	v_add_u32_e32 v121, 4, v121
	s_waitcnt lgkmcnt(1)
	v_ashrrev_i32_e32 v124, s21, v124
	s_waitcnt lgkmcnt(0)
	v_ashrrev_i32_e32 v126, s3, v126
	v_lshlrev_b32_e32 v126, 2, v126
	v_and_b32_e32 v131, 0x3030303, v124
	v_bfe_u32 v124, v124, 24, 2
	v_and_b32_e32 v126, 0x4040404, v126
	v_sub_u16_e32 v132, v131, v126
	v_sub_u16_sdwa v133, v131, v126 dst_sel:BYTE_1 dst_unused:UNUSED_PAD src0_sel:BYTE_1 src1_sel:BYTE_1
	v_sub_u16_sdwa v124, v124, v126 dst_sel:BYTE_1 dst_unused:UNUSED_PAD src0_sel:DWORD src1_sel:BYTE_3
	v_sub_u16_sdwa v126, v131, v126 dst_sel:DWORD dst_unused:UNUSED_PAD src0_sel:WORD_1 src1_sel:WORD_1
	v_or_b32_sdwa v132, v132, v133 dst_sel:DWORD dst_unused:UNUSED_PAD src0_sel:BYTE_0 src1_sel:DWORD
	v_or_b32_sdwa v124, v126, v124 dst_sel:WORD_1 dst_unused:UNUSED_PAD src0_sel:BYTE_0 src1_sel:DWORD
	v_ashrrev_i32_e32 v126, s3, v127
	v_or_b32_sdwa v131, v132, v124 dst_sel:DWORD dst_unused:UNUSED_PAD src0_sel:WORD_0 src1_sel:DWORD
	v_ashrrev_i32_e32 v124, s21, v125
	v_lshlrev_b32_e32 v126, 2, v126
	v_and_b32_e32 v125, 0x3030303, v124
	v_bfe_u32 v124, v124, 24, 2
	v_and_b32_e32 v126, 0x4040404, v126
	v_sub_u16_e32 v127, v125, v126
	v_sub_u16_sdwa v132, v125, v126 dst_sel:BYTE_1 dst_unused:UNUSED_PAD src0_sel:BYTE_1 src1_sel:BYTE_1
	v_sub_u16_sdwa v124, v124, v126 dst_sel:BYTE_1 dst_unused:UNUSED_PAD src0_sel:DWORD src1_sel:BYTE_3
	v_sub_u16_sdwa v125, v125, v126 dst_sel:DWORD dst_unused:UNUSED_PAD src0_sel:WORD_1 src1_sel:WORD_1
	v_or_b32_sdwa v127, v127, v132 dst_sel:DWORD dst_unused:UNUSED_PAD src0_sel:BYTE_0 src1_sel:DWORD
	v_or_b32_sdwa v124, v125, v124 dst_sel:WORD_1 dst_unused:UNUSED_PAD src0_sel:BYTE_0 src1_sel:DWORD
	v_add_u32_e32 v126, 0x4210, v129
	v_or_b32_sdwa v132, v127, v124 dst_sel:DWORD dst_unused:UNUSED_PAD src0_sel:WORD_0 src1_sel:DWORD
	ds_read2_b32 v[124:125], v123 offset0:4 offset1:5
	ds_read2_b32 v[126:127], v126 offset1:1
	v_add_u32_e32 v120, 32, v120
	s_waitcnt lgkmcnt(1)
	v_ashrrev_i32_e32 v124, s21, v124
	s_waitcnt lgkmcnt(0)
	v_ashrrev_i32_e32 v126, s3, v126
	v_lshlrev_b32_e32 v126, 2, v126
	v_and_b32_e32 v133, 0x3030303, v124
	v_bfe_u32 v124, v124, 24, 2
	v_and_b32_e32 v126, 0x4040404, v126
	v_sub_u16_e32 v134, v133, v126
	v_sub_u16_sdwa v135, v133, v126 dst_sel:BYTE_1 dst_unused:UNUSED_PAD src0_sel:BYTE_1 src1_sel:BYTE_1
	v_sub_u16_sdwa v124, v124, v126 dst_sel:BYTE_1 dst_unused:UNUSED_PAD src0_sel:DWORD src1_sel:BYTE_3
	v_sub_u16_sdwa v126, v133, v126 dst_sel:DWORD dst_unused:UNUSED_PAD src0_sel:WORD_1 src1_sel:WORD_1
	v_or_b32_sdwa v134, v134, v135 dst_sel:DWORD dst_unused:UNUSED_PAD src0_sel:BYTE_0 src1_sel:DWORD
	v_or_b32_sdwa v124, v126, v124 dst_sel:WORD_1 dst_unused:UNUSED_PAD src0_sel:BYTE_0 src1_sel:DWORD
	v_ashrrev_i32_e32 v126, s3, v127
	v_or_b32_sdwa v133, v134, v124 dst_sel:DWORD dst_unused:UNUSED_PAD src0_sel:WORD_0 src1_sel:DWORD
	v_ashrrev_i32_e32 v124, s21, v125
	v_lshlrev_b32_e32 v126, 2, v126
	v_and_b32_e32 v125, 0x3030303, v124
	v_bfe_u32 v124, v124, 24, 2
	v_and_b32_e32 v126, 0x4040404, v126
	v_sub_u16_e32 v127, v125, v126
	v_sub_u16_sdwa v134, v125, v126 dst_sel:BYTE_1 dst_unused:UNUSED_PAD src0_sel:BYTE_1 src1_sel:BYTE_1
	v_sub_u16_sdwa v124, v124, v126 dst_sel:BYTE_1 dst_unused:UNUSED_PAD src0_sel:DWORD src1_sel:BYTE_3
	v_sub_u16_sdwa v125, v125, v126 dst_sel:DWORD dst_unused:UNUSED_PAD src0_sel:WORD_1 src1_sel:WORD_1
	v_or_b32_sdwa v127, v127, v134 dst_sel:DWORD dst_unused:UNUSED_PAD src0_sel:BYTE_0 src1_sel:DWORD
	v_or_b32_sdwa v124, v125, v124 dst_sel:WORD_1 dst_unused:UNUSED_PAD src0_sel:BYTE_0 src1_sel:DWORD
	v_add_u32_e32 v126, 0x4218, v129
	v_or_b32_sdwa v134, v127, v124 dst_sel:DWORD dst_unused:UNUSED_PAD src0_sel:WORD_0 src1_sel:DWORD
	ds_read2_b32 v[124:125], v123 offset0:6 offset1:7
	ds_read2_b32 v[126:127], v126 offset1:1
	s_waitcnt lgkmcnt(1)
	v_ashrrev_i32_e32 v123, s21, v124
	s_waitcnt lgkmcnt(0)
	v_ashrrev_i32_e32 v126, s3, v126
	v_lshlrev_b32_e32 v126, 2, v126
	v_and_b32_e32 v124, 0x3030303, v123
	v_bfe_u32 v123, v123, 24, 2
	v_and_b32_e32 v126, 0x4040404, v126
	v_sub_u16_e32 v129, v124, v126
	v_sub_u16_sdwa v135, v124, v126 dst_sel:BYTE_1 dst_unused:UNUSED_PAD src0_sel:BYTE_1 src1_sel:BYTE_1
	v_sub_u16_sdwa v123, v123, v126 dst_sel:BYTE_1 dst_unused:UNUSED_PAD src0_sel:DWORD src1_sel:BYTE_3
	v_sub_u16_sdwa v124, v124, v126 dst_sel:DWORD dst_unused:UNUSED_PAD src0_sel:WORD_1 src1_sel:WORD_1
	v_ashrrev_i32_e32 v126, s3, v127
	v_or_b32_sdwa v123, v124, v123 dst_sel:WORD_1 dst_unused:UNUSED_PAD src0_sel:BYTE_0 src1_sel:DWORD
	v_ashrrev_i32_e32 v124, s21, v125
	v_lshlrev_b32_e32 v126, 2, v126
	v_or_b32_sdwa v129, v129, v135 dst_sel:DWORD dst_unused:UNUSED_PAD src0_sel:BYTE_0 src1_sel:DWORD
	v_and_b32_e32 v125, 0x3030303, v124
	v_bfe_u32 v124, v124, 24, 2
	v_and_b32_e32 v126, 0x4040404, v126
	v_or_b32_sdwa v123, v129, v123 dst_sel:DWORD dst_unused:UNUSED_PAD src0_sel:WORD_0 src1_sel:DWORD
	v_sub_u16_e32 v127, v125, v126
	v_sub_u16_sdwa v129, v125, v126 dst_sel:BYTE_1 dst_unused:UNUSED_PAD src0_sel:BYTE_1 src1_sel:BYTE_1
	v_sub_u16_sdwa v124, v124, v126 dst_sel:BYTE_1 dst_unused:UNUSED_PAD src0_sel:DWORD src1_sel:BYTE_3
	v_sub_u16_sdwa v125, v125, v126 dst_sel:DWORD dst_unused:UNUSED_PAD src0_sel:WORD_1 src1_sel:WORD_1
	v_or_b32_sdwa v127, v127, v129 dst_sel:DWORD dst_unused:UNUSED_PAD src0_sel:BYTE_0 src1_sel:DWORD
	v_or_b32_sdwa v124, v125, v124 dst_sel:WORD_1 dst_unused:UNUSED_PAD src0_sel:BYTE_0 src1_sel:DWORD
	v_or_b32_sdwa v125, v127, v124 dst_sel:DWORD dst_unused:UNUSED_PAD src0_sel:WORD_0 src1_sel:DWORD
	v_add_u32_e32 v124, s35, v106
	v_add_u32_e32 v126, s37, v69
	ds_read_b32 v126, v126
	ds_read_u16 v124, v124 offset:25330
	v_mov_b32_e32 v127, 0
	v_dot4c_i32_i8_e32 v127, v128, v6
	v_dot4c_i32_i8_e32 v127, v130, v7
	;; [unrolled: 1-line block ×4, first 2 shown]
	s_waitcnt lgkmcnt(0)
	v_lshrrev_b16_e32 v128, 8, v124
	v_bfe_i32 v124, v124, 0, 8
	v_add_lshl_u32 v129, v71, s34, 2
	v_mul_lo_u32 v124, v127, v124
	v_mov_b32_e32 v127, 0
	v_dot4c_i32_i8_e32 v127, v133, v2
	v_dot4c_i32_i8_e32 v127, v134, v3
	;; [unrolled: 1-line block ×4, first 2 shown]
	v_bfe_i32 v123, v128, 0, 8
                                        ; kill: def $vgpr125 killed $sgpr0 killed $exec
	s_nop 1
	v_mad_u64_u32 v[124:125], s[38:39], v127, v123, v[124:125]
	v_cvt_f32_i32_e32 v124, v124
	v_mul_f32_e32 v123, v122, v126
	v_add_u32_e32 v126, 0x4200, v129
	ds_read2_b32 v[126:127], v126 offset1:1
	v_fmac_f32_e32 v15, v123, v124
	v_add_u32_e32 v123, s36, v73
	ds_read2_b32 v[124:125], v123 offset1:1
	s_waitcnt lgkmcnt(1)
	v_ashrrev_i32_e32 v126, s3, v126
	v_lshlrev_b32_e32 v126, 2, v126
	v_and_b32_e32 v126, 0x4040404, v126
	s_waitcnt lgkmcnt(0)
	v_ashrrev_i32_e32 v124, s21, v124
	v_and_b32_e32 v128, 0x3030303, v124
	v_bfe_u32 v124, v124, 24, 2
	v_sub_u16_e32 v130, v128, v126
	v_sub_u16_sdwa v131, v128, v126 dst_sel:BYTE_1 dst_unused:UNUSED_PAD src0_sel:BYTE_1 src1_sel:BYTE_1
	v_sub_u16_sdwa v124, v124, v126 dst_sel:BYTE_1 dst_unused:UNUSED_PAD src0_sel:DWORD src1_sel:BYTE_3
	v_sub_u16_sdwa v126, v128, v126 dst_sel:DWORD dst_unused:UNUSED_PAD src0_sel:WORD_1 src1_sel:WORD_1
	v_or_b32_sdwa v130, v130, v131 dst_sel:DWORD dst_unused:UNUSED_PAD src0_sel:BYTE_0 src1_sel:DWORD
	v_or_b32_sdwa v124, v126, v124 dst_sel:WORD_1 dst_unused:UNUSED_PAD src0_sel:BYTE_0 src1_sel:DWORD
	v_ashrrev_i32_e32 v126, s3, v127
	v_or_b32_sdwa v128, v130, v124 dst_sel:DWORD dst_unused:UNUSED_PAD src0_sel:WORD_0 src1_sel:DWORD
	v_ashrrev_i32_e32 v124, s21, v125
	v_lshlrev_b32_e32 v126, 2, v126
	v_and_b32_e32 v125, 0x3030303, v124
	v_bfe_u32 v124, v124, 24, 2
	v_and_b32_e32 v126, 0x4040404, v126
	v_sub_u16_e32 v127, v125, v126
	v_sub_u16_sdwa v130, v125, v126 dst_sel:BYTE_1 dst_unused:UNUSED_PAD src0_sel:BYTE_1 src1_sel:BYTE_1
	v_sub_u16_sdwa v124, v124, v126 dst_sel:BYTE_1 dst_unused:UNUSED_PAD src0_sel:DWORD src1_sel:BYTE_3
	v_sub_u16_sdwa v125, v125, v126 dst_sel:DWORD dst_unused:UNUSED_PAD src0_sel:WORD_1 src1_sel:WORD_1
	v_or_b32_sdwa v127, v127, v130 dst_sel:DWORD dst_unused:UNUSED_PAD src0_sel:BYTE_0 src1_sel:DWORD
	v_or_b32_sdwa v124, v125, v124 dst_sel:WORD_1 dst_unused:UNUSED_PAD src0_sel:BYTE_0 src1_sel:DWORD
	v_add_u32_e32 v126, 0x4208, v129
	v_or_b32_sdwa v130, v127, v124 dst_sel:DWORD dst_unused:UNUSED_PAD src0_sel:WORD_0 src1_sel:DWORD
	ds_read2_b32 v[124:125], v123 offset0:2 offset1:3
	ds_read2_b32 v[126:127], v126 offset1:1
	s_waitcnt lgkmcnt(1)
	v_ashrrev_i32_e32 v124, s21, v124
	s_waitcnt lgkmcnt(0)
	v_ashrrev_i32_e32 v126, s3, v126
	v_lshlrev_b32_e32 v126, 2, v126
	v_and_b32_e32 v131, 0x3030303, v124
	v_bfe_u32 v124, v124, 24, 2
	v_and_b32_e32 v126, 0x4040404, v126
	v_sub_u16_e32 v132, v131, v126
	v_sub_u16_sdwa v133, v131, v126 dst_sel:BYTE_1 dst_unused:UNUSED_PAD src0_sel:BYTE_1 src1_sel:BYTE_1
	v_sub_u16_sdwa v124, v124, v126 dst_sel:BYTE_1 dst_unused:UNUSED_PAD src0_sel:DWORD src1_sel:BYTE_3
	v_sub_u16_sdwa v126, v131, v126 dst_sel:DWORD dst_unused:UNUSED_PAD src0_sel:WORD_1 src1_sel:WORD_1
	v_or_b32_sdwa v132, v132, v133 dst_sel:DWORD dst_unused:UNUSED_PAD src0_sel:BYTE_0 src1_sel:DWORD
	v_or_b32_sdwa v124, v126, v124 dst_sel:WORD_1 dst_unused:UNUSED_PAD src0_sel:BYTE_0 src1_sel:DWORD
	v_ashrrev_i32_e32 v126, s3, v127
	v_or_b32_sdwa v131, v132, v124 dst_sel:DWORD dst_unused:UNUSED_PAD src0_sel:WORD_0 src1_sel:DWORD
	v_ashrrev_i32_e32 v124, s21, v125
	v_lshlrev_b32_e32 v126, 2, v126
	v_and_b32_e32 v125, 0x3030303, v124
	v_bfe_u32 v124, v124, 24, 2
	v_and_b32_e32 v126, 0x4040404, v126
	v_sub_u16_e32 v127, v125, v126
	v_sub_u16_sdwa v132, v125, v126 dst_sel:BYTE_1 dst_unused:UNUSED_PAD src0_sel:BYTE_1 src1_sel:BYTE_1
	v_sub_u16_sdwa v124, v124, v126 dst_sel:BYTE_1 dst_unused:UNUSED_PAD src0_sel:DWORD src1_sel:BYTE_3
	v_sub_u16_sdwa v125, v125, v126 dst_sel:DWORD dst_unused:UNUSED_PAD src0_sel:WORD_1 src1_sel:WORD_1
	v_or_b32_sdwa v127, v127, v132 dst_sel:DWORD dst_unused:UNUSED_PAD src0_sel:BYTE_0 src1_sel:DWORD
	v_or_b32_sdwa v124, v125, v124 dst_sel:WORD_1 dst_unused:UNUSED_PAD src0_sel:BYTE_0 src1_sel:DWORD
	v_add_u32_e32 v126, 0x4210, v129
	v_or_b32_sdwa v132, v127, v124 dst_sel:DWORD dst_unused:UNUSED_PAD src0_sel:WORD_0 src1_sel:DWORD
	ds_read2_b32 v[124:125], v123 offset0:4 offset1:5
	ds_read2_b32 v[126:127], v126 offset1:1
	s_waitcnt lgkmcnt(1)
	v_ashrrev_i32_e32 v124, s21, v124
	s_waitcnt lgkmcnt(0)
	v_ashrrev_i32_e32 v126, s3, v126
	v_lshlrev_b32_e32 v126, 2, v126
	v_and_b32_e32 v133, 0x3030303, v124
	v_bfe_u32 v124, v124, 24, 2
	v_and_b32_e32 v126, 0x4040404, v126
	;; [unrolled: 31-line block ×3, first 2 shown]
	v_sub_u16_e32 v129, v124, v126
	v_sub_u16_sdwa v135, v124, v126 dst_sel:BYTE_1 dst_unused:UNUSED_PAD src0_sel:BYTE_1 src1_sel:BYTE_1
	v_sub_u16_sdwa v123, v123, v126 dst_sel:BYTE_1 dst_unused:UNUSED_PAD src0_sel:DWORD src1_sel:BYTE_3
	v_sub_u16_sdwa v124, v124, v126 dst_sel:DWORD dst_unused:UNUSED_PAD src0_sel:WORD_1 src1_sel:WORD_1
	v_ashrrev_i32_e32 v126, s3, v127
	v_or_b32_sdwa v123, v124, v123 dst_sel:WORD_1 dst_unused:UNUSED_PAD src0_sel:BYTE_0 src1_sel:DWORD
	v_ashrrev_i32_e32 v124, s21, v125
	v_lshlrev_b32_e32 v126, 2, v126
	v_or_b32_sdwa v129, v129, v135 dst_sel:DWORD dst_unused:UNUSED_PAD src0_sel:BYTE_0 src1_sel:DWORD
	v_and_b32_e32 v125, 0x3030303, v124
	v_bfe_u32 v124, v124, 24, 2
	v_and_b32_e32 v126, 0x4040404, v126
	v_or_b32_sdwa v123, v129, v123 dst_sel:DWORD dst_unused:UNUSED_PAD src0_sel:WORD_0 src1_sel:DWORD
	v_sub_u16_e32 v127, v125, v126
	v_sub_u16_sdwa v129, v125, v126 dst_sel:BYTE_1 dst_unused:UNUSED_PAD src0_sel:BYTE_1 src1_sel:BYTE_1
	v_sub_u16_sdwa v124, v124, v126 dst_sel:BYTE_1 dst_unused:UNUSED_PAD src0_sel:DWORD src1_sel:BYTE_3
	v_sub_u16_sdwa v125, v125, v126 dst_sel:DWORD dst_unused:UNUSED_PAD src0_sel:WORD_1 src1_sel:WORD_1
	v_or_b32_sdwa v127, v127, v129 dst_sel:DWORD dst_unused:UNUSED_PAD src0_sel:BYTE_0 src1_sel:DWORD
	v_or_b32_sdwa v124, v125, v124 dst_sel:WORD_1 dst_unused:UNUSED_PAD src0_sel:BYTE_0 src1_sel:DWORD
	v_or_b32_sdwa v125, v127, v124 dst_sel:DWORD dst_unused:UNUSED_PAD src0_sel:WORD_0 src1_sel:DWORD
	v_add_u32_e32 v124, s35, v105
	v_add_u32_e32 v126, s37, v75
	ds_read_b32 v126, v126
	ds_read_u16 v124, v124 offset:26354
	v_mov_b32_e32 v127, 0
	v_dot4c_i32_i8_e32 v127, v128, v6
	v_dot4c_i32_i8_e32 v127, v130, v7
	;; [unrolled: 1-line block ×4, first 2 shown]
	s_waitcnt lgkmcnt(0)
	v_lshrrev_b16_e32 v128, 8, v124
	v_bfe_i32 v124, v124, 0, 8
	v_add_lshl_u32 v129, v77, s34, 2
	v_mul_lo_u32 v124, v127, v124
	v_mov_b32_e32 v127, 0
	v_dot4c_i32_i8_e32 v127, v133, v2
	v_dot4c_i32_i8_e32 v127, v134, v3
	;; [unrolled: 1-line block ×4, first 2 shown]
	v_bfe_i32 v123, v128, 0, 8
                                        ; kill: def $vgpr125 killed $sgpr0 killed $exec
	s_nop 1
	v_mad_u64_u32 v[124:125], s[38:39], v127, v123, v[124:125]
	v_cvt_f32_i32_e32 v124, v124
	v_mul_f32_e32 v123, v122, v126
	v_add_u32_e32 v126, 0x4200, v129
	ds_read2_b32 v[126:127], v126 offset1:1
	v_fmac_f32_e32 v92, v123, v124
	v_add_u32_e32 v123, s36, v79
	ds_read2_b32 v[124:125], v123 offset1:1
	s_waitcnt lgkmcnt(1)
	v_ashrrev_i32_e32 v126, s3, v126
	v_lshlrev_b32_e32 v126, 2, v126
	v_and_b32_e32 v126, 0x4040404, v126
	s_waitcnt lgkmcnt(0)
	v_ashrrev_i32_e32 v124, s21, v124
	v_and_b32_e32 v128, 0x3030303, v124
	v_bfe_u32 v124, v124, 24, 2
	v_sub_u16_e32 v130, v128, v126
	v_sub_u16_sdwa v131, v128, v126 dst_sel:BYTE_1 dst_unused:UNUSED_PAD src0_sel:BYTE_1 src1_sel:BYTE_1
	v_sub_u16_sdwa v124, v124, v126 dst_sel:BYTE_1 dst_unused:UNUSED_PAD src0_sel:DWORD src1_sel:BYTE_3
	v_sub_u16_sdwa v126, v128, v126 dst_sel:DWORD dst_unused:UNUSED_PAD src0_sel:WORD_1 src1_sel:WORD_1
	v_or_b32_sdwa v130, v130, v131 dst_sel:DWORD dst_unused:UNUSED_PAD src0_sel:BYTE_0 src1_sel:DWORD
	v_or_b32_sdwa v124, v126, v124 dst_sel:WORD_1 dst_unused:UNUSED_PAD src0_sel:BYTE_0 src1_sel:DWORD
	v_ashrrev_i32_e32 v126, s3, v127
	v_or_b32_sdwa v128, v130, v124 dst_sel:DWORD dst_unused:UNUSED_PAD src0_sel:WORD_0 src1_sel:DWORD
	v_ashrrev_i32_e32 v124, s21, v125
	v_lshlrev_b32_e32 v126, 2, v126
	v_and_b32_e32 v125, 0x3030303, v124
	v_bfe_u32 v124, v124, 24, 2
	v_and_b32_e32 v126, 0x4040404, v126
	v_sub_u16_e32 v127, v125, v126
	v_sub_u16_sdwa v130, v125, v126 dst_sel:BYTE_1 dst_unused:UNUSED_PAD src0_sel:BYTE_1 src1_sel:BYTE_1
	v_sub_u16_sdwa v124, v124, v126 dst_sel:BYTE_1 dst_unused:UNUSED_PAD src0_sel:DWORD src1_sel:BYTE_3
	v_sub_u16_sdwa v125, v125, v126 dst_sel:DWORD dst_unused:UNUSED_PAD src0_sel:WORD_1 src1_sel:WORD_1
	v_or_b32_sdwa v127, v127, v130 dst_sel:DWORD dst_unused:UNUSED_PAD src0_sel:BYTE_0 src1_sel:DWORD
	v_or_b32_sdwa v124, v125, v124 dst_sel:WORD_1 dst_unused:UNUSED_PAD src0_sel:BYTE_0 src1_sel:DWORD
	v_add_u32_e32 v126, 0x4208, v129
	v_or_b32_sdwa v130, v127, v124 dst_sel:DWORD dst_unused:UNUSED_PAD src0_sel:WORD_0 src1_sel:DWORD
	ds_read2_b32 v[124:125], v123 offset0:2 offset1:3
	ds_read2_b32 v[126:127], v126 offset1:1
	s_waitcnt lgkmcnt(1)
	v_ashrrev_i32_e32 v124, s21, v124
	s_waitcnt lgkmcnt(0)
	v_ashrrev_i32_e32 v126, s3, v126
	v_lshlrev_b32_e32 v126, 2, v126
	v_and_b32_e32 v131, 0x3030303, v124
	v_bfe_u32 v124, v124, 24, 2
	v_and_b32_e32 v126, 0x4040404, v126
	v_sub_u16_e32 v132, v131, v126
	v_sub_u16_sdwa v133, v131, v126 dst_sel:BYTE_1 dst_unused:UNUSED_PAD src0_sel:BYTE_1 src1_sel:BYTE_1
	v_sub_u16_sdwa v124, v124, v126 dst_sel:BYTE_1 dst_unused:UNUSED_PAD src0_sel:DWORD src1_sel:BYTE_3
	v_sub_u16_sdwa v126, v131, v126 dst_sel:DWORD dst_unused:UNUSED_PAD src0_sel:WORD_1 src1_sel:WORD_1
	v_or_b32_sdwa v132, v132, v133 dst_sel:DWORD dst_unused:UNUSED_PAD src0_sel:BYTE_0 src1_sel:DWORD
	v_or_b32_sdwa v124, v126, v124 dst_sel:WORD_1 dst_unused:UNUSED_PAD src0_sel:BYTE_0 src1_sel:DWORD
	v_ashrrev_i32_e32 v126, s3, v127
	v_or_b32_sdwa v131, v132, v124 dst_sel:DWORD dst_unused:UNUSED_PAD src0_sel:WORD_0 src1_sel:DWORD
	v_ashrrev_i32_e32 v124, s21, v125
	v_lshlrev_b32_e32 v126, 2, v126
	v_and_b32_e32 v125, 0x3030303, v124
	v_bfe_u32 v124, v124, 24, 2
	v_and_b32_e32 v126, 0x4040404, v126
	v_sub_u16_e32 v127, v125, v126
	v_sub_u16_sdwa v132, v125, v126 dst_sel:BYTE_1 dst_unused:UNUSED_PAD src0_sel:BYTE_1 src1_sel:BYTE_1
	v_sub_u16_sdwa v124, v124, v126 dst_sel:BYTE_1 dst_unused:UNUSED_PAD src0_sel:DWORD src1_sel:BYTE_3
	v_sub_u16_sdwa v125, v125, v126 dst_sel:DWORD dst_unused:UNUSED_PAD src0_sel:WORD_1 src1_sel:WORD_1
	v_or_b32_sdwa v127, v127, v132 dst_sel:DWORD dst_unused:UNUSED_PAD src0_sel:BYTE_0 src1_sel:DWORD
	v_or_b32_sdwa v124, v125, v124 dst_sel:WORD_1 dst_unused:UNUSED_PAD src0_sel:BYTE_0 src1_sel:DWORD
	v_add_u32_e32 v126, 0x4210, v129
	v_or_b32_sdwa v132, v127, v124 dst_sel:DWORD dst_unused:UNUSED_PAD src0_sel:WORD_0 src1_sel:DWORD
	ds_read2_b32 v[124:125], v123 offset0:4 offset1:5
	ds_read2_b32 v[126:127], v126 offset1:1
	s_waitcnt lgkmcnt(1)
	v_ashrrev_i32_e32 v124, s21, v124
	s_waitcnt lgkmcnt(0)
	v_ashrrev_i32_e32 v126, s3, v126
	v_lshlrev_b32_e32 v126, 2, v126
	v_and_b32_e32 v133, 0x3030303, v124
	v_bfe_u32 v124, v124, 24, 2
	v_and_b32_e32 v126, 0x4040404, v126
	v_sub_u16_e32 v134, v133, v126
	v_sub_u16_sdwa v135, v133, v126 dst_sel:BYTE_1 dst_unused:UNUSED_PAD src0_sel:BYTE_1 src1_sel:BYTE_1
	v_sub_u16_sdwa v124, v124, v126 dst_sel:BYTE_1 dst_unused:UNUSED_PAD src0_sel:DWORD src1_sel:BYTE_3
	v_sub_u16_sdwa v126, v133, v126 dst_sel:DWORD dst_unused:UNUSED_PAD src0_sel:WORD_1 src1_sel:WORD_1
	v_or_b32_sdwa v134, v134, v135 dst_sel:DWORD dst_unused:UNUSED_PAD src0_sel:BYTE_0 src1_sel:DWORD
	v_or_b32_sdwa v124, v126, v124 dst_sel:WORD_1 dst_unused:UNUSED_PAD src0_sel:BYTE_0 src1_sel:DWORD
	v_ashrrev_i32_e32 v126, s3, v127
	v_or_b32_sdwa v133, v134, v124 dst_sel:DWORD dst_unused:UNUSED_PAD src0_sel:WORD_0 src1_sel:DWORD
	v_ashrrev_i32_e32 v124, s21, v125
	v_lshlrev_b32_e32 v126, 2, v126
	v_and_b32_e32 v125, 0x3030303, v124
	v_bfe_u32 v124, v124, 24, 2
	v_and_b32_e32 v126, 0x4040404, v126
	v_sub_u16_e32 v127, v125, v126
	v_sub_u16_sdwa v134, v125, v126 dst_sel:BYTE_1 dst_unused:UNUSED_PAD src0_sel:BYTE_1 src1_sel:BYTE_1
	v_sub_u16_sdwa v124, v124, v126 dst_sel:BYTE_1 dst_unused:UNUSED_PAD src0_sel:DWORD src1_sel:BYTE_3
	v_sub_u16_sdwa v125, v125, v126 dst_sel:DWORD dst_unused:UNUSED_PAD src0_sel:WORD_1 src1_sel:WORD_1
	v_or_b32_sdwa v127, v127, v134 dst_sel:DWORD dst_unused:UNUSED_PAD src0_sel:BYTE_0 src1_sel:DWORD
	v_or_b32_sdwa v124, v125, v124 dst_sel:WORD_1 dst_unused:UNUSED_PAD src0_sel:BYTE_0 src1_sel:DWORD
	v_add_u32_e32 v126, 0x4218, v129
	v_or_b32_sdwa v134, v127, v124 dst_sel:DWORD dst_unused:UNUSED_PAD src0_sel:WORD_0 src1_sel:DWORD
	ds_read2_b32 v[124:125], v123 offset0:6 offset1:7
	ds_read2_b32 v[126:127], v126 offset1:1
	s_waitcnt lgkmcnt(1)
	v_ashrrev_i32_e32 v123, s21, v124
	s_waitcnt lgkmcnt(0)
	v_ashrrev_i32_e32 v126, s3, v126
	v_lshlrev_b32_e32 v126, 2, v126
	v_and_b32_e32 v124, 0x3030303, v123
	v_bfe_u32 v123, v123, 24, 2
	v_and_b32_e32 v126, 0x4040404, v126
	v_sub_u16_e32 v129, v124, v126
	v_sub_u16_sdwa v135, v124, v126 dst_sel:BYTE_1 dst_unused:UNUSED_PAD src0_sel:BYTE_1 src1_sel:BYTE_1
	v_sub_u16_sdwa v123, v123, v126 dst_sel:BYTE_1 dst_unused:UNUSED_PAD src0_sel:DWORD src1_sel:BYTE_3
	v_sub_u16_sdwa v124, v124, v126 dst_sel:DWORD dst_unused:UNUSED_PAD src0_sel:WORD_1 src1_sel:WORD_1
	v_ashrrev_i32_e32 v126, s3, v127
	v_or_b32_sdwa v123, v124, v123 dst_sel:WORD_1 dst_unused:UNUSED_PAD src0_sel:BYTE_0 src1_sel:DWORD
	v_ashrrev_i32_e32 v124, s21, v125
	v_lshlrev_b32_e32 v126, 2, v126
	v_or_b32_sdwa v129, v129, v135 dst_sel:DWORD dst_unused:UNUSED_PAD src0_sel:BYTE_0 src1_sel:DWORD
	v_and_b32_e32 v125, 0x3030303, v124
	v_bfe_u32 v124, v124, 24, 2
	v_and_b32_e32 v126, 0x4040404, v126
	v_or_b32_sdwa v123, v129, v123 dst_sel:DWORD dst_unused:UNUSED_PAD src0_sel:WORD_0 src1_sel:DWORD
	v_sub_u16_e32 v127, v125, v126
	v_sub_u16_sdwa v129, v125, v126 dst_sel:BYTE_1 dst_unused:UNUSED_PAD src0_sel:BYTE_1 src1_sel:BYTE_1
	v_sub_u16_sdwa v124, v124, v126 dst_sel:BYTE_1 dst_unused:UNUSED_PAD src0_sel:DWORD src1_sel:BYTE_3
	v_sub_u16_sdwa v125, v125, v126 dst_sel:DWORD dst_unused:UNUSED_PAD src0_sel:WORD_1 src1_sel:WORD_1
	v_or_b32_sdwa v127, v127, v129 dst_sel:DWORD dst_unused:UNUSED_PAD src0_sel:BYTE_0 src1_sel:DWORD
	v_or_b32_sdwa v124, v125, v124 dst_sel:WORD_1 dst_unused:UNUSED_PAD src0_sel:BYTE_0 src1_sel:DWORD
	v_or_b32_sdwa v125, v127, v124 dst_sel:DWORD dst_unused:UNUSED_PAD src0_sel:WORD_0 src1_sel:DWORD
	v_add_u32_e32 v124, s35, v104
	v_add_u32_e32 v126, s37, v81
	ds_read_b32 v126, v126
	ds_read_u16 v124, v124 offset:27378
	v_mov_b32_e32 v127, 0
	v_dot4c_i32_i8_e32 v127, v128, v6
	v_dot4c_i32_i8_e32 v127, v130, v7
	;; [unrolled: 1-line block ×4, first 2 shown]
	s_waitcnt lgkmcnt(0)
	v_lshrrev_b16_e32 v128, 8, v124
	v_bfe_i32 v124, v124, 0, 8
	v_add_lshl_u32 v129, v85, s34, 2
	v_mul_lo_u32 v124, v127, v124
	v_mov_b32_e32 v127, 0
	v_dot4c_i32_i8_e32 v127, v133, v2
	v_dot4c_i32_i8_e32 v127, v134, v3
	;; [unrolled: 1-line block ×4, first 2 shown]
	v_bfe_i32 v123, v128, 0, 8
                                        ; kill: def $vgpr125 killed $sgpr0 killed $exec
	s_nop 1
	v_mad_u64_u32 v[124:125], s[38:39], v127, v123, v[124:125]
	v_cvt_f32_i32_e32 v124, v124
	v_mul_f32_e32 v123, v122, v126
	v_add_u32_e32 v126, 0x4200, v129
	ds_read2_b32 v[126:127], v126 offset1:1
	v_fmac_f32_e32 v87, v123, v124
	v_add_u32_e32 v123, s36, v86
	ds_read2_b32 v[124:125], v123 offset1:1
	s_waitcnt lgkmcnt(1)
	v_ashrrev_i32_e32 v126, s3, v126
	v_lshlrev_b32_e32 v126, 2, v126
	v_and_b32_e32 v126, 0x4040404, v126
	s_waitcnt lgkmcnt(0)
	v_ashrrev_i32_e32 v124, s21, v124
	v_and_b32_e32 v128, 0x3030303, v124
	v_bfe_u32 v124, v124, 24, 2
	v_sub_u16_e32 v130, v128, v126
	v_sub_u16_sdwa v131, v128, v126 dst_sel:BYTE_1 dst_unused:UNUSED_PAD src0_sel:BYTE_1 src1_sel:BYTE_1
	v_sub_u16_sdwa v124, v124, v126 dst_sel:BYTE_1 dst_unused:UNUSED_PAD src0_sel:DWORD src1_sel:BYTE_3
	v_sub_u16_sdwa v126, v128, v126 dst_sel:DWORD dst_unused:UNUSED_PAD src0_sel:WORD_1 src1_sel:WORD_1
	v_or_b32_sdwa v130, v130, v131 dst_sel:DWORD dst_unused:UNUSED_PAD src0_sel:BYTE_0 src1_sel:DWORD
	v_or_b32_sdwa v124, v126, v124 dst_sel:WORD_1 dst_unused:UNUSED_PAD src0_sel:BYTE_0 src1_sel:DWORD
	v_ashrrev_i32_e32 v126, s3, v127
	v_or_b32_sdwa v128, v130, v124 dst_sel:DWORD dst_unused:UNUSED_PAD src0_sel:WORD_0 src1_sel:DWORD
	v_ashrrev_i32_e32 v124, s21, v125
	v_lshlrev_b32_e32 v126, 2, v126
	v_and_b32_e32 v125, 0x3030303, v124
	v_bfe_u32 v124, v124, 24, 2
	v_and_b32_e32 v126, 0x4040404, v126
	v_sub_u16_e32 v127, v125, v126
	v_sub_u16_sdwa v130, v125, v126 dst_sel:BYTE_1 dst_unused:UNUSED_PAD src0_sel:BYTE_1 src1_sel:BYTE_1
	v_sub_u16_sdwa v124, v124, v126 dst_sel:BYTE_1 dst_unused:UNUSED_PAD src0_sel:DWORD src1_sel:BYTE_3
	v_sub_u16_sdwa v125, v125, v126 dst_sel:DWORD dst_unused:UNUSED_PAD src0_sel:WORD_1 src1_sel:WORD_1
	v_or_b32_sdwa v127, v127, v130 dst_sel:DWORD dst_unused:UNUSED_PAD src0_sel:BYTE_0 src1_sel:DWORD
	v_or_b32_sdwa v124, v125, v124 dst_sel:WORD_1 dst_unused:UNUSED_PAD src0_sel:BYTE_0 src1_sel:DWORD
	v_add_u32_e32 v126, 0x4208, v129
	v_or_b32_sdwa v130, v127, v124 dst_sel:DWORD dst_unused:UNUSED_PAD src0_sel:WORD_0 src1_sel:DWORD
	ds_read2_b32 v[124:125], v123 offset0:2 offset1:3
	ds_read2_b32 v[126:127], v126 offset1:1
	s_waitcnt lgkmcnt(1)
	v_ashrrev_i32_e32 v124, s21, v124
	s_waitcnt lgkmcnt(0)
	v_ashrrev_i32_e32 v126, s3, v126
	v_lshlrev_b32_e32 v126, 2, v126
	v_and_b32_e32 v131, 0x3030303, v124
	v_bfe_u32 v124, v124, 24, 2
	v_and_b32_e32 v126, 0x4040404, v126
	v_sub_u16_e32 v132, v131, v126
	v_sub_u16_sdwa v133, v131, v126 dst_sel:BYTE_1 dst_unused:UNUSED_PAD src0_sel:BYTE_1 src1_sel:BYTE_1
	v_sub_u16_sdwa v124, v124, v126 dst_sel:BYTE_1 dst_unused:UNUSED_PAD src0_sel:DWORD src1_sel:BYTE_3
	v_sub_u16_sdwa v126, v131, v126 dst_sel:DWORD dst_unused:UNUSED_PAD src0_sel:WORD_1 src1_sel:WORD_1
	v_or_b32_sdwa v132, v132, v133 dst_sel:DWORD dst_unused:UNUSED_PAD src0_sel:BYTE_0 src1_sel:DWORD
	v_or_b32_sdwa v124, v126, v124 dst_sel:WORD_1 dst_unused:UNUSED_PAD src0_sel:BYTE_0 src1_sel:DWORD
	v_ashrrev_i32_e32 v126, s3, v127
	v_or_b32_sdwa v131, v132, v124 dst_sel:DWORD dst_unused:UNUSED_PAD src0_sel:WORD_0 src1_sel:DWORD
	v_ashrrev_i32_e32 v124, s21, v125
	v_lshlrev_b32_e32 v126, 2, v126
	v_and_b32_e32 v125, 0x3030303, v124
	v_bfe_u32 v124, v124, 24, 2
	v_and_b32_e32 v126, 0x4040404, v126
	v_sub_u16_e32 v127, v125, v126
	v_sub_u16_sdwa v132, v125, v126 dst_sel:BYTE_1 dst_unused:UNUSED_PAD src0_sel:BYTE_1 src1_sel:BYTE_1
	v_sub_u16_sdwa v124, v124, v126 dst_sel:BYTE_1 dst_unused:UNUSED_PAD src0_sel:DWORD src1_sel:BYTE_3
	v_sub_u16_sdwa v125, v125, v126 dst_sel:DWORD dst_unused:UNUSED_PAD src0_sel:WORD_1 src1_sel:WORD_1
	v_or_b32_sdwa v127, v127, v132 dst_sel:DWORD dst_unused:UNUSED_PAD src0_sel:BYTE_0 src1_sel:DWORD
	v_or_b32_sdwa v124, v125, v124 dst_sel:WORD_1 dst_unused:UNUSED_PAD src0_sel:BYTE_0 src1_sel:DWORD
	v_add_u32_e32 v126, 0x4210, v129
	v_or_b32_sdwa v132, v127, v124 dst_sel:DWORD dst_unused:UNUSED_PAD src0_sel:WORD_0 src1_sel:DWORD
	ds_read2_b32 v[124:125], v123 offset0:4 offset1:5
	ds_read2_b32 v[126:127], v126 offset1:1
	s_waitcnt lgkmcnt(1)
	v_ashrrev_i32_e32 v124, s21, v124
	s_waitcnt lgkmcnt(0)
	v_ashrrev_i32_e32 v126, s3, v126
	v_lshlrev_b32_e32 v126, 2, v126
	v_and_b32_e32 v133, 0x3030303, v124
	v_bfe_u32 v124, v124, 24, 2
	v_and_b32_e32 v126, 0x4040404, v126
	;; [unrolled: 31-line block ×3, first 2 shown]
	v_sub_u16_e32 v129, v124, v126
	v_sub_u16_sdwa v135, v124, v126 dst_sel:BYTE_1 dst_unused:UNUSED_PAD src0_sel:BYTE_1 src1_sel:BYTE_1
	v_sub_u16_sdwa v123, v123, v126 dst_sel:BYTE_1 dst_unused:UNUSED_PAD src0_sel:DWORD src1_sel:BYTE_3
	v_sub_u16_sdwa v124, v124, v126 dst_sel:DWORD dst_unused:UNUSED_PAD src0_sel:WORD_1 src1_sel:WORD_1
	v_ashrrev_i32_e32 v126, s3, v127
	v_or_b32_sdwa v123, v124, v123 dst_sel:WORD_1 dst_unused:UNUSED_PAD src0_sel:BYTE_0 src1_sel:DWORD
	v_ashrrev_i32_e32 v124, s21, v125
	v_lshlrev_b32_e32 v126, 2, v126
	v_or_b32_sdwa v129, v129, v135 dst_sel:DWORD dst_unused:UNUSED_PAD src0_sel:BYTE_0 src1_sel:DWORD
	v_and_b32_e32 v125, 0x3030303, v124
	v_bfe_u32 v124, v124, 24, 2
	v_and_b32_e32 v126, 0x4040404, v126
	v_or_b32_sdwa v123, v129, v123 dst_sel:DWORD dst_unused:UNUSED_PAD src0_sel:WORD_0 src1_sel:DWORD
	v_sub_u16_e32 v127, v125, v126
	v_sub_u16_sdwa v129, v125, v126 dst_sel:BYTE_1 dst_unused:UNUSED_PAD src0_sel:BYTE_1 src1_sel:BYTE_1
	v_sub_u16_sdwa v124, v124, v126 dst_sel:BYTE_1 dst_unused:UNUSED_PAD src0_sel:DWORD src1_sel:BYTE_3
	v_sub_u16_sdwa v125, v125, v126 dst_sel:DWORD dst_unused:UNUSED_PAD src0_sel:WORD_1 src1_sel:WORD_1
	v_or_b32_sdwa v127, v127, v129 dst_sel:DWORD dst_unused:UNUSED_PAD src0_sel:BYTE_0 src1_sel:DWORD
	v_or_b32_sdwa v124, v125, v124 dst_sel:WORD_1 dst_unused:UNUSED_PAD src0_sel:BYTE_0 src1_sel:DWORD
	v_or_b32_sdwa v124, v127, v124 dst_sel:DWORD dst_unused:UNUSED_PAD src0_sel:WORD_0 src1_sel:DWORD
	v_add_u32_e32 v125, s35, v103
	v_add_u32_e32 v126, s37, v88
	v_mov_b32_e32 v127, 0
	ds_read_b32 v126, v126
	v_dot4c_i32_i8_e32 v127, v128, v6
	ds_read_u16 v6, v125 offset:28402
	v_dot4c_i32_i8_e32 v127, v130, v7
	v_dot4c_i32_i8_e32 v127, v131, v8
	v_mov_b32_e32 v8, 0
	v_dot4c_i32_i8_e32 v8, v133, v2
	v_dot4c_i32_i8_e32 v8, v134, v3
	v_dot4c_i32_i8_e32 v127, v132, v9
	s_waitcnt lgkmcnt(0)
	v_lshrrev_b16_e32 v7, 8, v6
	v_bfe_i32 v6, v6, 0, 8
	v_dot4c_i32_i8_e32 v8, v123, v4
	v_mul_lo_u32 v6, v127, v6
	v_dot4c_i32_i8_e32 v8, v124, v5
	v_bfe_i32 v2, v7, 0, 8
	s_add_i32 s3, s3, 1
	s_cmp_lt_u32 s20, 22
	v_mad_u64_u32 v[2:3], s[34:35], v8, v2, v[6:7]
	v_cvt_f32_i32_e32 v2, v2
	v_mul_f32_e32 v3, v122, v126
	s_mov_b32 s35, s20
	v_fmac_f32_e32 v11, v3, v2
	s_cbranch_scc1 .LBB189_28
; %bb.29:                               ;   in Loop: Header=BB189_5 Depth=1
	s_or_b32 s2, s33, 0x180
	s_cmp_ge_i32 s2, s15
	s_barrier
	s_cbranch_scc1 .LBB189_4
; %bb.30:                               ;   in Loop: Header=BB189_5 Depth=1
	v_add_u32_e32 v2, s31, v91
	v_cmp_gt_i32_e64 s[2:3], s9, v2
	s_and_b64 s[20:21], s[0:1], s[2:3]
	s_and_saveexec_b64 s[2:3], s[20:21]
	s_cbranch_execz .LBB189_32
; %bb.31:                               ;   in Loop: Header=BB189_5 Depth=1
	v_add_u32_e32 v2, v84, v2
	v_mad_i64_i32 v[2:3], s[20:21], v2, 36, v[82:83]
	global_load_dword v2, v[2:3], off offset:4
	s_waitcnt vmcnt(0)
	ds_write_b32 v59, v2
.LBB189_32:                             ;   in Loop: Header=BB189_5 Depth=1
	s_or_b64 exec, exec, s[2:3]
	s_and_saveexec_b64 s[20:21], vcc
	s_cbranch_execz .LBB189_35
; %bb.33:                               ;   in Loop: Header=BB189_5 Depth=1
	v_or_b32_e32 v2, s31, v17
	v_or_b32_e32 v3, 12, v2
	v_cmp_gt_i32_e64 s[2:3], s9, v3
	s_and_b64 s[2:3], s[0:1], s[2:3]
	s_and_b64 exec, exec, s[2:3]
	s_cbranch_execz .LBB189_35
; %bb.34:                               ;   in Loop: Header=BB189_5 Depth=1
	v_ashrrev_i32_e32 v3, 31, v2
	v_add_co_u32_e64 v2, s[2:3], v84, v2
	v_addc_co_u32_e64 v4, s[2:3], v1, v3, s[2:3]
	v_mad_u64_u32 v[2:3], s[2:3], v2, 36, s[18:19]
	v_mad_i32_i24 v3, v4, 36, v3
	global_load_dword v2, v[2:3], off
	s_waitcnt vmcnt(0)
	v_cvt_f32_f16_e32 v2, v2
	ds_write_b32 v61, v2
.LBB189_35:                             ;   in Loop: Header=BB189_5 Depth=1
	s_or_b64 exec, exec, s[20:21]
	s_mov_b32 s2, 24
	s_mov_b32 s33, 22
	;; [unrolled: 1-line block ×3, first 2 shown]
	v_mov_b32_e32 v120, v97
	v_mov_b32_e32 v121, v98
	s_waitcnt lgkmcnt(0)
	s_barrier
.LBB189_36:                             ;   Parent Loop BB189_5 Depth=1
                                        ; =>  This Inner Loop Header: Depth=2
	s_add_i32 s20, s33, 2
	s_lshr_b32 s36, s20, 4
	s_and_b32 s34, s20, 0x3ffffff8
	s_lshl_b32 s31, s36, 3
	s_lshl_b32 s34, s34, 2
	v_add_lshl_u32 v129, v65, s31, 2
	v_add_u32_e32 v123, s34, v67
	v_add_u32_e32 v126, 0x4200, v129
	ds_read_b32 v122, v121
	ds_read_b128 v[6:9], v120
	ds_read_b128 v[2:5], v120 offset:16
	ds_read2_b32 v[124:125], v123 offset1:1
	ds_read2_b32 v[126:127], v126 offset1:1
	s_sub_i32 s21, s33, 22
	s_and_b32 s35, s2, -16
	s_add_i32 s33, s33, s35
	s_waitcnt lgkmcnt(1)
	v_ashrrev_i32_e32 v124, s21, v124
	s_waitcnt lgkmcnt(0)
	v_ashrrev_i32_e32 v126, s3, v126
	v_lshlrev_b32_e32 v126, 2, v126
	v_and_b32_e32 v128, 0x3030303, v124
	v_bfe_u32 v124, v124, 24, 2
	v_and_b32_e32 v126, 0x4040404, v126
	v_sub_u16_e32 v130, v128, v126
	v_sub_u16_sdwa v131, v128, v126 dst_sel:BYTE_1 dst_unused:UNUSED_PAD src0_sel:BYTE_1 src1_sel:BYTE_1
	v_sub_u16_sdwa v124, v124, v126 dst_sel:BYTE_1 dst_unused:UNUSED_PAD src0_sel:DWORD src1_sel:BYTE_3
	v_sub_u16_sdwa v126, v128, v126 dst_sel:DWORD dst_unused:UNUSED_PAD src0_sel:WORD_1 src1_sel:WORD_1
	v_or_b32_sdwa v130, v130, v131 dst_sel:DWORD dst_unused:UNUSED_PAD src0_sel:BYTE_0 src1_sel:DWORD
	v_or_b32_sdwa v124, v126, v124 dst_sel:WORD_1 dst_unused:UNUSED_PAD src0_sel:BYTE_0 src1_sel:DWORD
	v_ashrrev_i32_e32 v126, s3, v127
	v_or_b32_sdwa v128, v130, v124 dst_sel:DWORD dst_unused:UNUSED_PAD src0_sel:WORD_0 src1_sel:DWORD
	v_ashrrev_i32_e32 v124, s21, v125
	v_lshlrev_b32_e32 v126, 2, v126
	v_and_b32_e32 v125, 0x3030303, v124
	v_bfe_u32 v124, v124, 24, 2
	v_and_b32_e32 v126, 0x4040404, v126
	v_sub_u16_e32 v127, v125, v126
	v_sub_u16_sdwa v130, v125, v126 dst_sel:BYTE_1 dst_unused:UNUSED_PAD src0_sel:BYTE_1 src1_sel:BYTE_1
	v_sub_u16_sdwa v124, v124, v126 dst_sel:BYTE_1 dst_unused:UNUSED_PAD src0_sel:DWORD src1_sel:BYTE_3
	v_sub_u16_sdwa v125, v125, v126 dst_sel:DWORD dst_unused:UNUSED_PAD src0_sel:WORD_1 src1_sel:WORD_1
	v_or_b32_sdwa v127, v127, v130 dst_sel:DWORD dst_unused:UNUSED_PAD src0_sel:BYTE_0 src1_sel:DWORD
	v_or_b32_sdwa v124, v125, v124 dst_sel:WORD_1 dst_unused:UNUSED_PAD src0_sel:BYTE_0 src1_sel:DWORD
	v_add_u32_e32 v126, 0x4208, v129
	v_or_b32_sdwa v130, v127, v124 dst_sel:DWORD dst_unused:UNUSED_PAD src0_sel:WORD_0 src1_sel:DWORD
	ds_read2_b32 v[124:125], v123 offset0:2 offset1:3
	ds_read2_b32 v[126:127], v126 offset1:1
	s_lshl_b32 s35, s36, 2
	s_add_i32 s2, s2, 2
	v_add_u32_e32 v121, 4, v121
	s_waitcnt lgkmcnt(1)
	v_ashrrev_i32_e32 v124, s21, v124
	s_waitcnt lgkmcnt(0)
	v_ashrrev_i32_e32 v126, s3, v126
	v_lshlrev_b32_e32 v126, 2, v126
	v_and_b32_e32 v131, 0x3030303, v124
	v_bfe_u32 v124, v124, 24, 2
	v_and_b32_e32 v126, 0x4040404, v126
	v_sub_u16_e32 v132, v131, v126
	v_sub_u16_sdwa v133, v131, v126 dst_sel:BYTE_1 dst_unused:UNUSED_PAD src0_sel:BYTE_1 src1_sel:BYTE_1
	v_sub_u16_sdwa v124, v124, v126 dst_sel:BYTE_1 dst_unused:UNUSED_PAD src0_sel:DWORD src1_sel:BYTE_3
	v_sub_u16_sdwa v126, v131, v126 dst_sel:DWORD dst_unused:UNUSED_PAD src0_sel:WORD_1 src1_sel:WORD_1
	v_or_b32_sdwa v132, v132, v133 dst_sel:DWORD dst_unused:UNUSED_PAD src0_sel:BYTE_0 src1_sel:DWORD
	v_or_b32_sdwa v124, v126, v124 dst_sel:WORD_1 dst_unused:UNUSED_PAD src0_sel:BYTE_0 src1_sel:DWORD
	v_ashrrev_i32_e32 v126, s3, v127
	v_or_b32_sdwa v131, v132, v124 dst_sel:DWORD dst_unused:UNUSED_PAD src0_sel:WORD_0 src1_sel:DWORD
	v_ashrrev_i32_e32 v124, s21, v125
	v_lshlrev_b32_e32 v126, 2, v126
	v_and_b32_e32 v125, 0x3030303, v124
	v_bfe_u32 v124, v124, 24, 2
	v_and_b32_e32 v126, 0x4040404, v126
	v_sub_u16_e32 v127, v125, v126
	v_sub_u16_sdwa v132, v125, v126 dst_sel:BYTE_1 dst_unused:UNUSED_PAD src0_sel:BYTE_1 src1_sel:BYTE_1
	v_sub_u16_sdwa v124, v124, v126 dst_sel:BYTE_1 dst_unused:UNUSED_PAD src0_sel:DWORD src1_sel:BYTE_3
	v_sub_u16_sdwa v125, v125, v126 dst_sel:DWORD dst_unused:UNUSED_PAD src0_sel:WORD_1 src1_sel:WORD_1
	v_or_b32_sdwa v127, v127, v132 dst_sel:DWORD dst_unused:UNUSED_PAD src0_sel:BYTE_0 src1_sel:DWORD
	v_or_b32_sdwa v124, v125, v124 dst_sel:WORD_1 dst_unused:UNUSED_PAD src0_sel:BYTE_0 src1_sel:DWORD
	v_add_u32_e32 v126, 0x4210, v129
	v_or_b32_sdwa v132, v127, v124 dst_sel:DWORD dst_unused:UNUSED_PAD src0_sel:WORD_0 src1_sel:DWORD
	ds_read2_b32 v[124:125], v123 offset0:4 offset1:5
	ds_read2_b32 v[126:127], v126 offset1:1
	v_add_u32_e32 v120, 32, v120
	s_waitcnt lgkmcnt(1)
	v_ashrrev_i32_e32 v124, s21, v124
	s_waitcnt lgkmcnt(0)
	v_ashrrev_i32_e32 v126, s3, v126
	v_lshlrev_b32_e32 v126, 2, v126
	v_and_b32_e32 v133, 0x3030303, v124
	v_bfe_u32 v124, v124, 24, 2
	v_and_b32_e32 v126, 0x4040404, v126
	v_sub_u16_e32 v134, v133, v126
	v_sub_u16_sdwa v135, v133, v126 dst_sel:BYTE_1 dst_unused:UNUSED_PAD src0_sel:BYTE_1 src1_sel:BYTE_1
	v_sub_u16_sdwa v124, v124, v126 dst_sel:BYTE_1 dst_unused:UNUSED_PAD src0_sel:DWORD src1_sel:BYTE_3
	v_sub_u16_sdwa v126, v133, v126 dst_sel:DWORD dst_unused:UNUSED_PAD src0_sel:WORD_1 src1_sel:WORD_1
	v_or_b32_sdwa v134, v134, v135 dst_sel:DWORD dst_unused:UNUSED_PAD src0_sel:BYTE_0 src1_sel:DWORD
	v_or_b32_sdwa v124, v126, v124 dst_sel:WORD_1 dst_unused:UNUSED_PAD src0_sel:BYTE_0 src1_sel:DWORD
	v_ashrrev_i32_e32 v126, s3, v127
	v_or_b32_sdwa v133, v134, v124 dst_sel:DWORD dst_unused:UNUSED_PAD src0_sel:WORD_0 src1_sel:DWORD
	v_ashrrev_i32_e32 v124, s21, v125
	v_lshlrev_b32_e32 v126, 2, v126
	v_and_b32_e32 v125, 0x3030303, v124
	v_bfe_u32 v124, v124, 24, 2
	v_and_b32_e32 v126, 0x4040404, v126
	v_sub_u16_e32 v127, v125, v126
	v_sub_u16_sdwa v134, v125, v126 dst_sel:BYTE_1 dst_unused:UNUSED_PAD src0_sel:BYTE_1 src1_sel:BYTE_1
	v_sub_u16_sdwa v124, v124, v126 dst_sel:BYTE_1 dst_unused:UNUSED_PAD src0_sel:DWORD src1_sel:BYTE_3
	v_sub_u16_sdwa v125, v125, v126 dst_sel:DWORD dst_unused:UNUSED_PAD src0_sel:WORD_1 src1_sel:WORD_1
	v_or_b32_sdwa v127, v127, v134 dst_sel:DWORD dst_unused:UNUSED_PAD src0_sel:BYTE_0 src1_sel:DWORD
	v_or_b32_sdwa v124, v125, v124 dst_sel:WORD_1 dst_unused:UNUSED_PAD src0_sel:BYTE_0 src1_sel:DWORD
	v_add_u32_e32 v126, 0x4218, v129
	v_or_b32_sdwa v134, v127, v124 dst_sel:DWORD dst_unused:UNUSED_PAD src0_sel:WORD_0 src1_sel:DWORD
	ds_read2_b32 v[124:125], v123 offset0:6 offset1:7
	ds_read2_b32 v[126:127], v126 offset1:1
	s_waitcnt lgkmcnt(1)
	v_ashrrev_i32_e32 v123, s21, v124
	s_waitcnt lgkmcnt(0)
	v_ashrrev_i32_e32 v126, s3, v126
	v_lshlrev_b32_e32 v126, 2, v126
	v_and_b32_e32 v124, 0x3030303, v123
	v_bfe_u32 v123, v123, 24, 2
	v_and_b32_e32 v126, 0x4040404, v126
	v_sub_u16_e32 v129, v124, v126
	v_sub_u16_sdwa v135, v124, v126 dst_sel:BYTE_1 dst_unused:UNUSED_PAD src0_sel:BYTE_1 src1_sel:BYTE_1
	v_sub_u16_sdwa v123, v123, v126 dst_sel:BYTE_1 dst_unused:UNUSED_PAD src0_sel:DWORD src1_sel:BYTE_3
	v_sub_u16_sdwa v124, v124, v126 dst_sel:DWORD dst_unused:UNUSED_PAD src0_sel:WORD_1 src1_sel:WORD_1
	v_ashrrev_i32_e32 v126, s3, v127
	v_or_b32_sdwa v123, v124, v123 dst_sel:WORD_1 dst_unused:UNUSED_PAD src0_sel:BYTE_0 src1_sel:DWORD
	v_ashrrev_i32_e32 v124, s21, v125
	v_lshlrev_b32_e32 v126, 2, v126
	v_or_b32_sdwa v129, v129, v135 dst_sel:DWORD dst_unused:UNUSED_PAD src0_sel:BYTE_0 src1_sel:DWORD
	v_and_b32_e32 v125, 0x3030303, v124
	v_bfe_u32 v124, v124, 24, 2
	v_and_b32_e32 v126, 0x4040404, v126
	v_or_b32_sdwa v123, v129, v123 dst_sel:DWORD dst_unused:UNUSED_PAD src0_sel:WORD_0 src1_sel:DWORD
	v_sub_u16_e32 v127, v125, v126
	v_sub_u16_sdwa v129, v125, v126 dst_sel:BYTE_1 dst_unused:UNUSED_PAD src0_sel:BYTE_1 src1_sel:BYTE_1
	v_sub_u16_sdwa v124, v124, v126 dst_sel:BYTE_1 dst_unused:UNUSED_PAD src0_sel:DWORD src1_sel:BYTE_3
	v_sub_u16_sdwa v125, v125, v126 dst_sel:DWORD dst_unused:UNUSED_PAD src0_sel:WORD_1 src1_sel:WORD_1
	v_or_b32_sdwa v127, v127, v129 dst_sel:DWORD dst_unused:UNUSED_PAD src0_sel:BYTE_0 src1_sel:DWORD
	v_or_b32_sdwa v124, v125, v124 dst_sel:WORD_1 dst_unused:UNUSED_PAD src0_sel:BYTE_0 src1_sel:DWORD
	v_or_b32_sdwa v125, v127, v124 dst_sel:DWORD dst_unused:UNUSED_PAD src0_sel:WORD_0 src1_sel:DWORD
	v_add_u32_e32 v124, s33, v106
	v_add_u32_e32 v126, s35, v69
	ds_read_b32 v126, v126
	ds_read_u16 v124, v124 offset:25330
	v_mov_b32_e32 v127, 0
	v_dot4c_i32_i8_e32 v127, v128, v6
	v_dot4c_i32_i8_e32 v127, v130, v7
	;; [unrolled: 1-line block ×4, first 2 shown]
	s_waitcnt lgkmcnt(0)
	v_lshrrev_b16_e32 v128, 8, v124
	v_bfe_i32 v124, v124, 0, 8
	v_add_lshl_u32 v129, v71, s31, 2
	v_mul_lo_u32 v124, v127, v124
	v_mov_b32_e32 v127, 0
	v_dot4c_i32_i8_e32 v127, v133, v2
	v_dot4c_i32_i8_e32 v127, v134, v3
	;; [unrolled: 1-line block ×4, first 2 shown]
	v_bfe_i32 v123, v128, 0, 8
                                        ; kill: def $vgpr125 killed $sgpr0 killed $exec
	s_nop 1
	v_mad_u64_u32 v[124:125], s[36:37], v127, v123, v[124:125]
	v_cvt_f32_i32_e32 v124, v124
	v_mul_f32_e32 v123, v122, v126
	v_add_u32_e32 v126, 0x4200, v129
	ds_read2_b32 v[126:127], v126 offset1:1
	v_fmac_f32_e32 v15, v123, v124
	v_add_u32_e32 v123, s34, v73
	ds_read2_b32 v[124:125], v123 offset1:1
	s_waitcnt lgkmcnt(1)
	v_ashrrev_i32_e32 v126, s3, v126
	v_lshlrev_b32_e32 v126, 2, v126
	v_and_b32_e32 v126, 0x4040404, v126
	s_waitcnt lgkmcnt(0)
	v_ashrrev_i32_e32 v124, s21, v124
	v_and_b32_e32 v128, 0x3030303, v124
	v_bfe_u32 v124, v124, 24, 2
	v_sub_u16_e32 v130, v128, v126
	v_sub_u16_sdwa v131, v128, v126 dst_sel:BYTE_1 dst_unused:UNUSED_PAD src0_sel:BYTE_1 src1_sel:BYTE_1
	v_sub_u16_sdwa v124, v124, v126 dst_sel:BYTE_1 dst_unused:UNUSED_PAD src0_sel:DWORD src1_sel:BYTE_3
	v_sub_u16_sdwa v126, v128, v126 dst_sel:DWORD dst_unused:UNUSED_PAD src0_sel:WORD_1 src1_sel:WORD_1
	v_or_b32_sdwa v130, v130, v131 dst_sel:DWORD dst_unused:UNUSED_PAD src0_sel:BYTE_0 src1_sel:DWORD
	v_or_b32_sdwa v124, v126, v124 dst_sel:WORD_1 dst_unused:UNUSED_PAD src0_sel:BYTE_0 src1_sel:DWORD
	v_ashrrev_i32_e32 v126, s3, v127
	v_or_b32_sdwa v128, v130, v124 dst_sel:DWORD dst_unused:UNUSED_PAD src0_sel:WORD_0 src1_sel:DWORD
	v_ashrrev_i32_e32 v124, s21, v125
	v_lshlrev_b32_e32 v126, 2, v126
	v_and_b32_e32 v125, 0x3030303, v124
	v_bfe_u32 v124, v124, 24, 2
	v_and_b32_e32 v126, 0x4040404, v126
	v_sub_u16_e32 v127, v125, v126
	v_sub_u16_sdwa v130, v125, v126 dst_sel:BYTE_1 dst_unused:UNUSED_PAD src0_sel:BYTE_1 src1_sel:BYTE_1
	v_sub_u16_sdwa v124, v124, v126 dst_sel:BYTE_1 dst_unused:UNUSED_PAD src0_sel:DWORD src1_sel:BYTE_3
	v_sub_u16_sdwa v125, v125, v126 dst_sel:DWORD dst_unused:UNUSED_PAD src0_sel:WORD_1 src1_sel:WORD_1
	v_or_b32_sdwa v127, v127, v130 dst_sel:DWORD dst_unused:UNUSED_PAD src0_sel:BYTE_0 src1_sel:DWORD
	v_or_b32_sdwa v124, v125, v124 dst_sel:WORD_1 dst_unused:UNUSED_PAD src0_sel:BYTE_0 src1_sel:DWORD
	v_add_u32_e32 v126, 0x4208, v129
	v_or_b32_sdwa v130, v127, v124 dst_sel:DWORD dst_unused:UNUSED_PAD src0_sel:WORD_0 src1_sel:DWORD
	ds_read2_b32 v[124:125], v123 offset0:2 offset1:3
	ds_read2_b32 v[126:127], v126 offset1:1
	s_waitcnt lgkmcnt(1)
	v_ashrrev_i32_e32 v124, s21, v124
	s_waitcnt lgkmcnt(0)
	v_ashrrev_i32_e32 v126, s3, v126
	v_lshlrev_b32_e32 v126, 2, v126
	v_and_b32_e32 v131, 0x3030303, v124
	v_bfe_u32 v124, v124, 24, 2
	v_and_b32_e32 v126, 0x4040404, v126
	v_sub_u16_e32 v132, v131, v126
	v_sub_u16_sdwa v133, v131, v126 dst_sel:BYTE_1 dst_unused:UNUSED_PAD src0_sel:BYTE_1 src1_sel:BYTE_1
	v_sub_u16_sdwa v124, v124, v126 dst_sel:BYTE_1 dst_unused:UNUSED_PAD src0_sel:DWORD src1_sel:BYTE_3
	v_sub_u16_sdwa v126, v131, v126 dst_sel:DWORD dst_unused:UNUSED_PAD src0_sel:WORD_1 src1_sel:WORD_1
	v_or_b32_sdwa v132, v132, v133 dst_sel:DWORD dst_unused:UNUSED_PAD src0_sel:BYTE_0 src1_sel:DWORD
	v_or_b32_sdwa v124, v126, v124 dst_sel:WORD_1 dst_unused:UNUSED_PAD src0_sel:BYTE_0 src1_sel:DWORD
	v_ashrrev_i32_e32 v126, s3, v127
	v_or_b32_sdwa v131, v132, v124 dst_sel:DWORD dst_unused:UNUSED_PAD src0_sel:WORD_0 src1_sel:DWORD
	v_ashrrev_i32_e32 v124, s21, v125
	v_lshlrev_b32_e32 v126, 2, v126
	v_and_b32_e32 v125, 0x3030303, v124
	v_bfe_u32 v124, v124, 24, 2
	v_and_b32_e32 v126, 0x4040404, v126
	v_sub_u16_e32 v127, v125, v126
	v_sub_u16_sdwa v132, v125, v126 dst_sel:BYTE_1 dst_unused:UNUSED_PAD src0_sel:BYTE_1 src1_sel:BYTE_1
	v_sub_u16_sdwa v124, v124, v126 dst_sel:BYTE_1 dst_unused:UNUSED_PAD src0_sel:DWORD src1_sel:BYTE_3
	v_sub_u16_sdwa v125, v125, v126 dst_sel:DWORD dst_unused:UNUSED_PAD src0_sel:WORD_1 src1_sel:WORD_1
	v_or_b32_sdwa v127, v127, v132 dst_sel:DWORD dst_unused:UNUSED_PAD src0_sel:BYTE_0 src1_sel:DWORD
	v_or_b32_sdwa v124, v125, v124 dst_sel:WORD_1 dst_unused:UNUSED_PAD src0_sel:BYTE_0 src1_sel:DWORD
	v_add_u32_e32 v126, 0x4210, v129
	v_or_b32_sdwa v132, v127, v124 dst_sel:DWORD dst_unused:UNUSED_PAD src0_sel:WORD_0 src1_sel:DWORD
	ds_read2_b32 v[124:125], v123 offset0:4 offset1:5
	ds_read2_b32 v[126:127], v126 offset1:1
	s_waitcnt lgkmcnt(1)
	v_ashrrev_i32_e32 v124, s21, v124
	s_waitcnt lgkmcnt(0)
	v_ashrrev_i32_e32 v126, s3, v126
	v_lshlrev_b32_e32 v126, 2, v126
	v_and_b32_e32 v133, 0x3030303, v124
	v_bfe_u32 v124, v124, 24, 2
	v_and_b32_e32 v126, 0x4040404, v126
	v_sub_u16_e32 v134, v133, v126
	v_sub_u16_sdwa v135, v133, v126 dst_sel:BYTE_1 dst_unused:UNUSED_PAD src0_sel:BYTE_1 src1_sel:BYTE_1
	v_sub_u16_sdwa v124, v124, v126 dst_sel:BYTE_1 dst_unused:UNUSED_PAD src0_sel:DWORD src1_sel:BYTE_3
	v_sub_u16_sdwa v126, v133, v126 dst_sel:DWORD dst_unused:UNUSED_PAD src0_sel:WORD_1 src1_sel:WORD_1
	v_or_b32_sdwa v134, v134, v135 dst_sel:DWORD dst_unused:UNUSED_PAD src0_sel:BYTE_0 src1_sel:DWORD
	v_or_b32_sdwa v124, v126, v124 dst_sel:WORD_1 dst_unused:UNUSED_PAD src0_sel:BYTE_0 src1_sel:DWORD
	v_ashrrev_i32_e32 v126, s3, v127
	v_or_b32_sdwa v133, v134, v124 dst_sel:DWORD dst_unused:UNUSED_PAD src0_sel:WORD_0 src1_sel:DWORD
	v_ashrrev_i32_e32 v124, s21, v125
	v_lshlrev_b32_e32 v126, 2, v126
	v_and_b32_e32 v125, 0x3030303, v124
	v_bfe_u32 v124, v124, 24, 2
	v_and_b32_e32 v126, 0x4040404, v126
	v_sub_u16_e32 v127, v125, v126
	v_sub_u16_sdwa v134, v125, v126 dst_sel:BYTE_1 dst_unused:UNUSED_PAD src0_sel:BYTE_1 src1_sel:BYTE_1
	v_sub_u16_sdwa v124, v124, v126 dst_sel:BYTE_1 dst_unused:UNUSED_PAD src0_sel:DWORD src1_sel:BYTE_3
	v_sub_u16_sdwa v125, v125, v126 dst_sel:DWORD dst_unused:UNUSED_PAD src0_sel:WORD_1 src1_sel:WORD_1
	v_or_b32_sdwa v127, v127, v134 dst_sel:DWORD dst_unused:UNUSED_PAD src0_sel:BYTE_0 src1_sel:DWORD
	v_or_b32_sdwa v124, v125, v124 dst_sel:WORD_1 dst_unused:UNUSED_PAD src0_sel:BYTE_0 src1_sel:DWORD
	v_add_u32_e32 v126, 0x4218, v129
	v_or_b32_sdwa v134, v127, v124 dst_sel:DWORD dst_unused:UNUSED_PAD src0_sel:WORD_0 src1_sel:DWORD
	ds_read2_b32 v[124:125], v123 offset0:6 offset1:7
	ds_read2_b32 v[126:127], v126 offset1:1
	s_waitcnt lgkmcnt(1)
	v_ashrrev_i32_e32 v123, s21, v124
	s_waitcnt lgkmcnt(0)
	v_ashrrev_i32_e32 v126, s3, v126
	v_lshlrev_b32_e32 v126, 2, v126
	v_and_b32_e32 v124, 0x3030303, v123
	v_bfe_u32 v123, v123, 24, 2
	v_and_b32_e32 v126, 0x4040404, v126
	v_sub_u16_e32 v129, v124, v126
	v_sub_u16_sdwa v135, v124, v126 dst_sel:BYTE_1 dst_unused:UNUSED_PAD src0_sel:BYTE_1 src1_sel:BYTE_1
	v_sub_u16_sdwa v123, v123, v126 dst_sel:BYTE_1 dst_unused:UNUSED_PAD src0_sel:DWORD src1_sel:BYTE_3
	v_sub_u16_sdwa v124, v124, v126 dst_sel:DWORD dst_unused:UNUSED_PAD src0_sel:WORD_1 src1_sel:WORD_1
	v_ashrrev_i32_e32 v126, s3, v127
	v_or_b32_sdwa v123, v124, v123 dst_sel:WORD_1 dst_unused:UNUSED_PAD src0_sel:BYTE_0 src1_sel:DWORD
	v_ashrrev_i32_e32 v124, s21, v125
	v_lshlrev_b32_e32 v126, 2, v126
	v_or_b32_sdwa v129, v129, v135 dst_sel:DWORD dst_unused:UNUSED_PAD src0_sel:BYTE_0 src1_sel:DWORD
	v_and_b32_e32 v125, 0x3030303, v124
	v_bfe_u32 v124, v124, 24, 2
	v_and_b32_e32 v126, 0x4040404, v126
	v_or_b32_sdwa v123, v129, v123 dst_sel:DWORD dst_unused:UNUSED_PAD src0_sel:WORD_0 src1_sel:DWORD
	v_sub_u16_e32 v127, v125, v126
	v_sub_u16_sdwa v129, v125, v126 dst_sel:BYTE_1 dst_unused:UNUSED_PAD src0_sel:BYTE_1 src1_sel:BYTE_1
	v_sub_u16_sdwa v124, v124, v126 dst_sel:BYTE_1 dst_unused:UNUSED_PAD src0_sel:DWORD src1_sel:BYTE_3
	v_sub_u16_sdwa v125, v125, v126 dst_sel:DWORD dst_unused:UNUSED_PAD src0_sel:WORD_1 src1_sel:WORD_1
	v_or_b32_sdwa v127, v127, v129 dst_sel:DWORD dst_unused:UNUSED_PAD src0_sel:BYTE_0 src1_sel:DWORD
	v_or_b32_sdwa v124, v125, v124 dst_sel:WORD_1 dst_unused:UNUSED_PAD src0_sel:BYTE_0 src1_sel:DWORD
	v_or_b32_sdwa v125, v127, v124 dst_sel:DWORD dst_unused:UNUSED_PAD src0_sel:WORD_0 src1_sel:DWORD
	v_add_u32_e32 v124, s33, v105
	v_add_u32_e32 v126, s35, v75
	ds_read_b32 v126, v126
	ds_read_u16 v124, v124 offset:26354
	v_mov_b32_e32 v127, 0
	v_dot4c_i32_i8_e32 v127, v128, v6
	v_dot4c_i32_i8_e32 v127, v130, v7
	v_dot4c_i32_i8_e32 v127, v131, v8
	v_dot4c_i32_i8_e32 v127, v132, v9
	s_waitcnt lgkmcnt(0)
	v_lshrrev_b16_e32 v128, 8, v124
	v_bfe_i32 v124, v124, 0, 8
	v_add_lshl_u32 v129, v77, s31, 2
	v_mul_lo_u32 v124, v127, v124
	v_mov_b32_e32 v127, 0
	v_dot4c_i32_i8_e32 v127, v133, v2
	v_dot4c_i32_i8_e32 v127, v134, v3
	;; [unrolled: 1-line block ×4, first 2 shown]
	v_bfe_i32 v123, v128, 0, 8
                                        ; kill: def $vgpr125 killed $sgpr0 killed $exec
	s_nop 1
	v_mad_u64_u32 v[124:125], s[36:37], v127, v123, v[124:125]
	v_cvt_f32_i32_e32 v124, v124
	v_mul_f32_e32 v123, v122, v126
	v_add_u32_e32 v126, 0x4200, v129
	ds_read2_b32 v[126:127], v126 offset1:1
	v_fmac_f32_e32 v92, v123, v124
	v_add_u32_e32 v123, s34, v79
	ds_read2_b32 v[124:125], v123 offset1:1
	s_waitcnt lgkmcnt(1)
	v_ashrrev_i32_e32 v126, s3, v126
	v_lshlrev_b32_e32 v126, 2, v126
	v_and_b32_e32 v126, 0x4040404, v126
	s_waitcnt lgkmcnt(0)
	v_ashrrev_i32_e32 v124, s21, v124
	v_and_b32_e32 v128, 0x3030303, v124
	v_bfe_u32 v124, v124, 24, 2
	v_sub_u16_e32 v130, v128, v126
	v_sub_u16_sdwa v131, v128, v126 dst_sel:BYTE_1 dst_unused:UNUSED_PAD src0_sel:BYTE_1 src1_sel:BYTE_1
	v_sub_u16_sdwa v124, v124, v126 dst_sel:BYTE_1 dst_unused:UNUSED_PAD src0_sel:DWORD src1_sel:BYTE_3
	v_sub_u16_sdwa v126, v128, v126 dst_sel:DWORD dst_unused:UNUSED_PAD src0_sel:WORD_1 src1_sel:WORD_1
	v_or_b32_sdwa v130, v130, v131 dst_sel:DWORD dst_unused:UNUSED_PAD src0_sel:BYTE_0 src1_sel:DWORD
	v_or_b32_sdwa v124, v126, v124 dst_sel:WORD_1 dst_unused:UNUSED_PAD src0_sel:BYTE_0 src1_sel:DWORD
	v_ashrrev_i32_e32 v126, s3, v127
	v_or_b32_sdwa v128, v130, v124 dst_sel:DWORD dst_unused:UNUSED_PAD src0_sel:WORD_0 src1_sel:DWORD
	v_ashrrev_i32_e32 v124, s21, v125
	v_lshlrev_b32_e32 v126, 2, v126
	v_and_b32_e32 v125, 0x3030303, v124
	v_bfe_u32 v124, v124, 24, 2
	v_and_b32_e32 v126, 0x4040404, v126
	v_sub_u16_e32 v127, v125, v126
	v_sub_u16_sdwa v130, v125, v126 dst_sel:BYTE_1 dst_unused:UNUSED_PAD src0_sel:BYTE_1 src1_sel:BYTE_1
	v_sub_u16_sdwa v124, v124, v126 dst_sel:BYTE_1 dst_unused:UNUSED_PAD src0_sel:DWORD src1_sel:BYTE_3
	v_sub_u16_sdwa v125, v125, v126 dst_sel:DWORD dst_unused:UNUSED_PAD src0_sel:WORD_1 src1_sel:WORD_1
	v_or_b32_sdwa v127, v127, v130 dst_sel:DWORD dst_unused:UNUSED_PAD src0_sel:BYTE_0 src1_sel:DWORD
	v_or_b32_sdwa v124, v125, v124 dst_sel:WORD_1 dst_unused:UNUSED_PAD src0_sel:BYTE_0 src1_sel:DWORD
	v_add_u32_e32 v126, 0x4208, v129
	v_or_b32_sdwa v130, v127, v124 dst_sel:DWORD dst_unused:UNUSED_PAD src0_sel:WORD_0 src1_sel:DWORD
	ds_read2_b32 v[124:125], v123 offset0:2 offset1:3
	ds_read2_b32 v[126:127], v126 offset1:1
	s_waitcnt lgkmcnt(1)
	v_ashrrev_i32_e32 v124, s21, v124
	s_waitcnt lgkmcnt(0)
	v_ashrrev_i32_e32 v126, s3, v126
	v_lshlrev_b32_e32 v126, 2, v126
	v_and_b32_e32 v131, 0x3030303, v124
	v_bfe_u32 v124, v124, 24, 2
	v_and_b32_e32 v126, 0x4040404, v126
	v_sub_u16_e32 v132, v131, v126
	v_sub_u16_sdwa v133, v131, v126 dst_sel:BYTE_1 dst_unused:UNUSED_PAD src0_sel:BYTE_1 src1_sel:BYTE_1
	v_sub_u16_sdwa v124, v124, v126 dst_sel:BYTE_1 dst_unused:UNUSED_PAD src0_sel:DWORD src1_sel:BYTE_3
	v_sub_u16_sdwa v126, v131, v126 dst_sel:DWORD dst_unused:UNUSED_PAD src0_sel:WORD_1 src1_sel:WORD_1
	v_or_b32_sdwa v132, v132, v133 dst_sel:DWORD dst_unused:UNUSED_PAD src0_sel:BYTE_0 src1_sel:DWORD
	v_or_b32_sdwa v124, v126, v124 dst_sel:WORD_1 dst_unused:UNUSED_PAD src0_sel:BYTE_0 src1_sel:DWORD
	v_ashrrev_i32_e32 v126, s3, v127
	v_or_b32_sdwa v131, v132, v124 dst_sel:DWORD dst_unused:UNUSED_PAD src0_sel:WORD_0 src1_sel:DWORD
	v_ashrrev_i32_e32 v124, s21, v125
	v_lshlrev_b32_e32 v126, 2, v126
	v_and_b32_e32 v125, 0x3030303, v124
	v_bfe_u32 v124, v124, 24, 2
	v_and_b32_e32 v126, 0x4040404, v126
	v_sub_u16_e32 v127, v125, v126
	v_sub_u16_sdwa v132, v125, v126 dst_sel:BYTE_1 dst_unused:UNUSED_PAD src0_sel:BYTE_1 src1_sel:BYTE_1
	v_sub_u16_sdwa v124, v124, v126 dst_sel:BYTE_1 dst_unused:UNUSED_PAD src0_sel:DWORD src1_sel:BYTE_3
	v_sub_u16_sdwa v125, v125, v126 dst_sel:DWORD dst_unused:UNUSED_PAD src0_sel:WORD_1 src1_sel:WORD_1
	v_or_b32_sdwa v127, v127, v132 dst_sel:DWORD dst_unused:UNUSED_PAD src0_sel:BYTE_0 src1_sel:DWORD
	v_or_b32_sdwa v124, v125, v124 dst_sel:WORD_1 dst_unused:UNUSED_PAD src0_sel:BYTE_0 src1_sel:DWORD
	v_add_u32_e32 v126, 0x4210, v129
	v_or_b32_sdwa v132, v127, v124 dst_sel:DWORD dst_unused:UNUSED_PAD src0_sel:WORD_0 src1_sel:DWORD
	ds_read2_b32 v[124:125], v123 offset0:4 offset1:5
	ds_read2_b32 v[126:127], v126 offset1:1
	s_waitcnt lgkmcnt(1)
	v_ashrrev_i32_e32 v124, s21, v124
	s_waitcnt lgkmcnt(0)
	v_ashrrev_i32_e32 v126, s3, v126
	v_lshlrev_b32_e32 v126, 2, v126
	v_and_b32_e32 v133, 0x3030303, v124
	v_bfe_u32 v124, v124, 24, 2
	v_and_b32_e32 v126, 0x4040404, v126
	;; [unrolled: 31-line block ×3, first 2 shown]
	v_sub_u16_e32 v129, v124, v126
	v_sub_u16_sdwa v135, v124, v126 dst_sel:BYTE_1 dst_unused:UNUSED_PAD src0_sel:BYTE_1 src1_sel:BYTE_1
	v_sub_u16_sdwa v123, v123, v126 dst_sel:BYTE_1 dst_unused:UNUSED_PAD src0_sel:DWORD src1_sel:BYTE_3
	v_sub_u16_sdwa v124, v124, v126 dst_sel:DWORD dst_unused:UNUSED_PAD src0_sel:WORD_1 src1_sel:WORD_1
	v_ashrrev_i32_e32 v126, s3, v127
	v_or_b32_sdwa v123, v124, v123 dst_sel:WORD_1 dst_unused:UNUSED_PAD src0_sel:BYTE_0 src1_sel:DWORD
	v_ashrrev_i32_e32 v124, s21, v125
	v_lshlrev_b32_e32 v126, 2, v126
	v_or_b32_sdwa v129, v129, v135 dst_sel:DWORD dst_unused:UNUSED_PAD src0_sel:BYTE_0 src1_sel:DWORD
	v_and_b32_e32 v125, 0x3030303, v124
	v_bfe_u32 v124, v124, 24, 2
	v_and_b32_e32 v126, 0x4040404, v126
	v_or_b32_sdwa v123, v129, v123 dst_sel:DWORD dst_unused:UNUSED_PAD src0_sel:WORD_0 src1_sel:DWORD
	v_sub_u16_e32 v127, v125, v126
	v_sub_u16_sdwa v129, v125, v126 dst_sel:BYTE_1 dst_unused:UNUSED_PAD src0_sel:BYTE_1 src1_sel:BYTE_1
	v_sub_u16_sdwa v124, v124, v126 dst_sel:BYTE_1 dst_unused:UNUSED_PAD src0_sel:DWORD src1_sel:BYTE_3
	v_sub_u16_sdwa v125, v125, v126 dst_sel:DWORD dst_unused:UNUSED_PAD src0_sel:WORD_1 src1_sel:WORD_1
	v_or_b32_sdwa v127, v127, v129 dst_sel:DWORD dst_unused:UNUSED_PAD src0_sel:BYTE_0 src1_sel:DWORD
	v_or_b32_sdwa v124, v125, v124 dst_sel:WORD_1 dst_unused:UNUSED_PAD src0_sel:BYTE_0 src1_sel:DWORD
	v_or_b32_sdwa v125, v127, v124 dst_sel:DWORD dst_unused:UNUSED_PAD src0_sel:WORD_0 src1_sel:DWORD
	v_add_u32_e32 v124, s33, v104
	v_add_u32_e32 v126, s35, v81
	ds_read_b32 v126, v126
	ds_read_u16 v124, v124 offset:27378
	v_mov_b32_e32 v127, 0
	v_dot4c_i32_i8_e32 v127, v128, v6
	v_dot4c_i32_i8_e32 v127, v130, v7
	v_dot4c_i32_i8_e32 v127, v131, v8
	v_dot4c_i32_i8_e32 v127, v132, v9
	s_waitcnt lgkmcnt(0)
	v_lshrrev_b16_e32 v128, 8, v124
	v_bfe_i32 v124, v124, 0, 8
	v_add_lshl_u32 v129, v85, s31, 2
	v_mul_lo_u32 v124, v127, v124
	v_mov_b32_e32 v127, 0
	v_dot4c_i32_i8_e32 v127, v133, v2
	v_dot4c_i32_i8_e32 v127, v134, v3
	;; [unrolled: 1-line block ×4, first 2 shown]
	v_bfe_i32 v123, v128, 0, 8
                                        ; kill: def $vgpr125 killed $sgpr0 killed $exec
	s_nop 1
	v_mad_u64_u32 v[124:125], s[36:37], v127, v123, v[124:125]
	v_cvt_f32_i32_e32 v124, v124
	v_mul_f32_e32 v123, v122, v126
	v_add_u32_e32 v126, 0x4200, v129
	ds_read2_b32 v[126:127], v126 offset1:1
	v_fmac_f32_e32 v87, v123, v124
	v_add_u32_e32 v123, s34, v86
	ds_read2_b32 v[124:125], v123 offset1:1
	s_waitcnt lgkmcnt(1)
	v_ashrrev_i32_e32 v126, s3, v126
	v_lshlrev_b32_e32 v126, 2, v126
	v_and_b32_e32 v126, 0x4040404, v126
	s_waitcnt lgkmcnt(0)
	v_ashrrev_i32_e32 v124, s21, v124
	v_and_b32_e32 v128, 0x3030303, v124
	v_bfe_u32 v124, v124, 24, 2
	v_sub_u16_e32 v130, v128, v126
	v_sub_u16_sdwa v131, v128, v126 dst_sel:BYTE_1 dst_unused:UNUSED_PAD src0_sel:BYTE_1 src1_sel:BYTE_1
	v_sub_u16_sdwa v124, v124, v126 dst_sel:BYTE_1 dst_unused:UNUSED_PAD src0_sel:DWORD src1_sel:BYTE_3
	v_sub_u16_sdwa v126, v128, v126 dst_sel:DWORD dst_unused:UNUSED_PAD src0_sel:WORD_1 src1_sel:WORD_1
	v_or_b32_sdwa v130, v130, v131 dst_sel:DWORD dst_unused:UNUSED_PAD src0_sel:BYTE_0 src1_sel:DWORD
	v_or_b32_sdwa v124, v126, v124 dst_sel:WORD_1 dst_unused:UNUSED_PAD src0_sel:BYTE_0 src1_sel:DWORD
	v_ashrrev_i32_e32 v126, s3, v127
	v_or_b32_sdwa v128, v130, v124 dst_sel:DWORD dst_unused:UNUSED_PAD src0_sel:WORD_0 src1_sel:DWORD
	v_ashrrev_i32_e32 v124, s21, v125
	v_lshlrev_b32_e32 v126, 2, v126
	v_and_b32_e32 v125, 0x3030303, v124
	v_bfe_u32 v124, v124, 24, 2
	v_and_b32_e32 v126, 0x4040404, v126
	v_sub_u16_e32 v127, v125, v126
	v_sub_u16_sdwa v130, v125, v126 dst_sel:BYTE_1 dst_unused:UNUSED_PAD src0_sel:BYTE_1 src1_sel:BYTE_1
	v_sub_u16_sdwa v124, v124, v126 dst_sel:BYTE_1 dst_unused:UNUSED_PAD src0_sel:DWORD src1_sel:BYTE_3
	v_sub_u16_sdwa v125, v125, v126 dst_sel:DWORD dst_unused:UNUSED_PAD src0_sel:WORD_1 src1_sel:WORD_1
	v_or_b32_sdwa v127, v127, v130 dst_sel:DWORD dst_unused:UNUSED_PAD src0_sel:BYTE_0 src1_sel:DWORD
	v_or_b32_sdwa v124, v125, v124 dst_sel:WORD_1 dst_unused:UNUSED_PAD src0_sel:BYTE_0 src1_sel:DWORD
	v_add_u32_e32 v126, 0x4208, v129
	v_or_b32_sdwa v130, v127, v124 dst_sel:DWORD dst_unused:UNUSED_PAD src0_sel:WORD_0 src1_sel:DWORD
	ds_read2_b32 v[124:125], v123 offset0:2 offset1:3
	ds_read2_b32 v[126:127], v126 offset1:1
	s_waitcnt lgkmcnt(1)
	v_ashrrev_i32_e32 v124, s21, v124
	s_waitcnt lgkmcnt(0)
	v_ashrrev_i32_e32 v126, s3, v126
	v_lshlrev_b32_e32 v126, 2, v126
	v_and_b32_e32 v131, 0x3030303, v124
	v_bfe_u32 v124, v124, 24, 2
	v_and_b32_e32 v126, 0x4040404, v126
	v_sub_u16_e32 v132, v131, v126
	v_sub_u16_sdwa v133, v131, v126 dst_sel:BYTE_1 dst_unused:UNUSED_PAD src0_sel:BYTE_1 src1_sel:BYTE_1
	v_sub_u16_sdwa v124, v124, v126 dst_sel:BYTE_1 dst_unused:UNUSED_PAD src0_sel:DWORD src1_sel:BYTE_3
	v_sub_u16_sdwa v126, v131, v126 dst_sel:DWORD dst_unused:UNUSED_PAD src0_sel:WORD_1 src1_sel:WORD_1
	v_or_b32_sdwa v132, v132, v133 dst_sel:DWORD dst_unused:UNUSED_PAD src0_sel:BYTE_0 src1_sel:DWORD
	v_or_b32_sdwa v124, v126, v124 dst_sel:WORD_1 dst_unused:UNUSED_PAD src0_sel:BYTE_0 src1_sel:DWORD
	v_ashrrev_i32_e32 v126, s3, v127
	v_or_b32_sdwa v131, v132, v124 dst_sel:DWORD dst_unused:UNUSED_PAD src0_sel:WORD_0 src1_sel:DWORD
	v_ashrrev_i32_e32 v124, s21, v125
	v_lshlrev_b32_e32 v126, 2, v126
	v_and_b32_e32 v125, 0x3030303, v124
	v_bfe_u32 v124, v124, 24, 2
	v_and_b32_e32 v126, 0x4040404, v126
	v_sub_u16_e32 v127, v125, v126
	v_sub_u16_sdwa v132, v125, v126 dst_sel:BYTE_1 dst_unused:UNUSED_PAD src0_sel:BYTE_1 src1_sel:BYTE_1
	v_sub_u16_sdwa v124, v124, v126 dst_sel:BYTE_1 dst_unused:UNUSED_PAD src0_sel:DWORD src1_sel:BYTE_3
	v_sub_u16_sdwa v125, v125, v126 dst_sel:DWORD dst_unused:UNUSED_PAD src0_sel:WORD_1 src1_sel:WORD_1
	v_or_b32_sdwa v127, v127, v132 dst_sel:DWORD dst_unused:UNUSED_PAD src0_sel:BYTE_0 src1_sel:DWORD
	v_or_b32_sdwa v124, v125, v124 dst_sel:WORD_1 dst_unused:UNUSED_PAD src0_sel:BYTE_0 src1_sel:DWORD
	v_add_u32_e32 v126, 0x4210, v129
	v_or_b32_sdwa v132, v127, v124 dst_sel:DWORD dst_unused:UNUSED_PAD src0_sel:WORD_0 src1_sel:DWORD
	ds_read2_b32 v[124:125], v123 offset0:4 offset1:5
	ds_read2_b32 v[126:127], v126 offset1:1
	s_waitcnt lgkmcnt(1)
	v_ashrrev_i32_e32 v124, s21, v124
	s_waitcnt lgkmcnt(0)
	v_ashrrev_i32_e32 v126, s3, v126
	v_lshlrev_b32_e32 v126, 2, v126
	v_and_b32_e32 v133, 0x3030303, v124
	v_bfe_u32 v124, v124, 24, 2
	v_and_b32_e32 v126, 0x4040404, v126
	v_sub_u16_e32 v134, v133, v126
	v_sub_u16_sdwa v135, v133, v126 dst_sel:BYTE_1 dst_unused:UNUSED_PAD src0_sel:BYTE_1 src1_sel:BYTE_1
	v_sub_u16_sdwa v124, v124, v126 dst_sel:BYTE_1 dst_unused:UNUSED_PAD src0_sel:DWORD src1_sel:BYTE_3
	v_sub_u16_sdwa v126, v133, v126 dst_sel:DWORD dst_unused:UNUSED_PAD src0_sel:WORD_1 src1_sel:WORD_1
	v_or_b32_sdwa v134, v134, v135 dst_sel:DWORD dst_unused:UNUSED_PAD src0_sel:BYTE_0 src1_sel:DWORD
	v_or_b32_sdwa v124, v126, v124 dst_sel:WORD_1 dst_unused:UNUSED_PAD src0_sel:BYTE_0 src1_sel:DWORD
	v_ashrrev_i32_e32 v126, s3, v127
	v_or_b32_sdwa v133, v134, v124 dst_sel:DWORD dst_unused:UNUSED_PAD src0_sel:WORD_0 src1_sel:DWORD
	v_ashrrev_i32_e32 v124, s21, v125
	v_lshlrev_b32_e32 v126, 2, v126
	v_and_b32_e32 v125, 0x3030303, v124
	v_bfe_u32 v124, v124, 24, 2
	v_and_b32_e32 v126, 0x4040404, v126
	v_sub_u16_e32 v127, v125, v126
	v_sub_u16_sdwa v134, v125, v126 dst_sel:BYTE_1 dst_unused:UNUSED_PAD src0_sel:BYTE_1 src1_sel:BYTE_1
	v_sub_u16_sdwa v124, v124, v126 dst_sel:BYTE_1 dst_unused:UNUSED_PAD src0_sel:DWORD src1_sel:BYTE_3
	v_sub_u16_sdwa v125, v125, v126 dst_sel:DWORD dst_unused:UNUSED_PAD src0_sel:WORD_1 src1_sel:WORD_1
	v_or_b32_sdwa v127, v127, v134 dst_sel:DWORD dst_unused:UNUSED_PAD src0_sel:BYTE_0 src1_sel:DWORD
	v_or_b32_sdwa v124, v125, v124 dst_sel:WORD_1 dst_unused:UNUSED_PAD src0_sel:BYTE_0 src1_sel:DWORD
	v_add_u32_e32 v126, 0x4218, v129
	v_or_b32_sdwa v134, v127, v124 dst_sel:DWORD dst_unused:UNUSED_PAD src0_sel:WORD_0 src1_sel:DWORD
	ds_read2_b32 v[124:125], v123 offset0:6 offset1:7
	ds_read2_b32 v[126:127], v126 offset1:1
	s_waitcnt lgkmcnt(1)
	v_ashrrev_i32_e32 v123, s21, v124
	s_waitcnt lgkmcnt(0)
	v_ashrrev_i32_e32 v126, s3, v126
	v_lshlrev_b32_e32 v126, 2, v126
	v_and_b32_e32 v124, 0x3030303, v123
	v_bfe_u32 v123, v123, 24, 2
	v_and_b32_e32 v126, 0x4040404, v126
	v_sub_u16_e32 v129, v124, v126
	v_sub_u16_sdwa v135, v124, v126 dst_sel:BYTE_1 dst_unused:UNUSED_PAD src0_sel:BYTE_1 src1_sel:BYTE_1
	v_sub_u16_sdwa v123, v123, v126 dst_sel:BYTE_1 dst_unused:UNUSED_PAD src0_sel:DWORD src1_sel:BYTE_3
	v_sub_u16_sdwa v124, v124, v126 dst_sel:DWORD dst_unused:UNUSED_PAD src0_sel:WORD_1 src1_sel:WORD_1
	v_ashrrev_i32_e32 v126, s3, v127
	v_or_b32_sdwa v123, v124, v123 dst_sel:WORD_1 dst_unused:UNUSED_PAD src0_sel:BYTE_0 src1_sel:DWORD
	v_ashrrev_i32_e32 v124, s21, v125
	v_lshlrev_b32_e32 v126, 2, v126
	v_or_b32_sdwa v129, v129, v135 dst_sel:DWORD dst_unused:UNUSED_PAD src0_sel:BYTE_0 src1_sel:DWORD
	v_and_b32_e32 v125, 0x3030303, v124
	v_bfe_u32 v124, v124, 24, 2
	v_and_b32_e32 v126, 0x4040404, v126
	v_or_b32_sdwa v123, v129, v123 dst_sel:DWORD dst_unused:UNUSED_PAD src0_sel:WORD_0 src1_sel:DWORD
	v_sub_u16_e32 v127, v125, v126
	v_sub_u16_sdwa v129, v125, v126 dst_sel:BYTE_1 dst_unused:UNUSED_PAD src0_sel:BYTE_1 src1_sel:BYTE_1
	v_sub_u16_sdwa v124, v124, v126 dst_sel:BYTE_1 dst_unused:UNUSED_PAD src0_sel:DWORD src1_sel:BYTE_3
	v_sub_u16_sdwa v125, v125, v126 dst_sel:DWORD dst_unused:UNUSED_PAD src0_sel:WORD_1 src1_sel:WORD_1
	v_or_b32_sdwa v127, v127, v129 dst_sel:DWORD dst_unused:UNUSED_PAD src0_sel:BYTE_0 src1_sel:DWORD
	v_or_b32_sdwa v124, v125, v124 dst_sel:WORD_1 dst_unused:UNUSED_PAD src0_sel:BYTE_0 src1_sel:DWORD
	v_or_b32_sdwa v124, v127, v124 dst_sel:DWORD dst_unused:UNUSED_PAD src0_sel:WORD_0 src1_sel:DWORD
	v_add_u32_e32 v125, s33, v103
	v_add_u32_e32 v126, s35, v88
	v_mov_b32_e32 v127, 0
	ds_read_b32 v126, v126
	v_dot4c_i32_i8_e32 v127, v128, v6
	ds_read_u16 v6, v125 offset:28402
	v_dot4c_i32_i8_e32 v127, v130, v7
	v_dot4c_i32_i8_e32 v127, v131, v8
	v_mov_b32_e32 v8, 0
	v_dot4c_i32_i8_e32 v8, v133, v2
	v_dot4c_i32_i8_e32 v8, v134, v3
	;; [unrolled: 1-line block ×3, first 2 shown]
	s_waitcnt lgkmcnt(0)
	v_lshrrev_b16_e32 v7, 8, v6
	v_bfe_i32 v6, v6, 0, 8
	v_dot4c_i32_i8_e32 v8, v123, v4
	v_mul_lo_u32 v6, v127, v6
	v_dot4c_i32_i8_e32 v8, v124, v5
	v_bfe_i32 v2, v7, 0, 8
	s_add_i32 s3, s3, 1
	s_cmp_lt_u32 s20, 30
	v_mad_u64_u32 v[2:3], s[34:35], v8, v2, v[6:7]
	v_cvt_f32_i32_e32 v2, v2
	v_mul_f32_e32 v3, v122, v126
	s_mov_b32 s33, s20
	v_fmac_f32_e32 v11, v3, v2
	s_cbranch_scc1 .LBB189_36
; %bb.37:                               ;   in Loop: Header=BB189_5 Depth=1
	s_barrier
	s_branch .LBB189_4
.LBB189_38:
	v_mov_b32_e32 v87, 0
	v_mov_b32_e32 v92, 0
	;; [unrolled: 1-line block ×3, first 2 shown]
.LBB189_39:
	s_mul_i32 s0, s11, s8
	s_waitcnt vmcnt(0)
	v_cmp_gt_i32_e32 vcc, s0, v13
	s_and_saveexec_b64 s[0:1], vcc
	s_cbranch_execz .LBB189_48
; %bb.40:
	v_and_b32_e32 v0, 0x3ff, v0
	v_add_u32_e32 v1, s22, v0
	v_mul_lo_u32 v0, v13, s10
	v_cmp_gt_u32_e32 vcc, s10, v1
	s_and_saveexec_b64 s[0:1], vcc
	s_cbranch_execz .LBB189_42
; %bb.41:
	v_add_u32_e32 v2, v0, v1
	v_mov_b32_e32 v3, 0
	v_lshlrev_b64 v[2:3], 2, v[2:3]
	v_mov_b32_e32 v4, s13
	v_add_co_u32_e32 v2, vcc, s12, v2
	v_addc_co_u32_e32 v3, vcc, v4, v3, vcc
	global_store_dword v[2:3], v15, off
.LBB189_42:
	s_or_b64 exec, exec, s[0:1]
	v_add_u32_e32 v2, 32, v1
	v_cmp_gt_u32_e32 vcc, s10, v2
	s_and_saveexec_b64 s[0:1], vcc
	s_cbranch_execz .LBB189_44
; %bb.43:
	v_add_u32_e32 v2, v0, v2
	v_mov_b32_e32 v3, 0
	v_lshlrev_b64 v[2:3], 2, v[2:3]
	v_mov_b32_e32 v4, s13
	v_add_co_u32_e32 v2, vcc, s12, v2
	v_addc_co_u32_e32 v3, vcc, v4, v3, vcc
	global_store_dword v[2:3], v92, off
.LBB189_44:
	s_or_b64 exec, exec, s[0:1]
	v_add_u32_e32 v2, 64, v1
	;; [unrolled: 14-line block ×3, first 2 shown]
	v_cmp_gt_u32_e32 vcc, s10, v1
	s_and_b64 exec, exec, vcc
	s_cbranch_execz .LBB189_48
; %bb.47:
	v_add_u32_e32 v0, v0, v1
	v_mov_b32_e32 v1, 0
	v_lshlrev_b64 v[0:1], 2, v[0:1]
	v_mov_b32_e32 v2, s13
	v_add_co_u32_e32 v0, vcc, s12, v0
	v_addc_co_u32_e32 v1, vcc, v2, v1, vcc
	global_store_dword v[0:1], v11, off
.LBB189_48:
	s_endpgm
	.section	.rodata,"a",@progbits
	.p2align	6, 0x0
	.amdhsa_kernel _ZL8moe_q3_KIfLb0EEvPKvS1_PT_PKiS5_S5_iiiiiii
		.amdhsa_group_segment_fixed_size 31776
		.amdhsa_private_segment_fixed_size 0
		.amdhsa_kernarg_size 76
		.amdhsa_user_sgpr_count 6
		.amdhsa_user_sgpr_private_segment_buffer 1
		.amdhsa_user_sgpr_dispatch_ptr 0
		.amdhsa_user_sgpr_queue_ptr 0
		.amdhsa_user_sgpr_kernarg_segment_ptr 1
		.amdhsa_user_sgpr_dispatch_id 0
		.amdhsa_user_sgpr_flat_scratch_init 0
		.amdhsa_user_sgpr_kernarg_preload_length 0
		.amdhsa_user_sgpr_kernarg_preload_offset 0
		.amdhsa_user_sgpr_private_segment_size 0
		.amdhsa_uses_dynamic_stack 0
		.amdhsa_system_sgpr_private_segment_wavefront_offset 0
		.amdhsa_system_sgpr_workgroup_id_x 1
		.amdhsa_system_sgpr_workgroup_id_y 1
		.amdhsa_system_sgpr_workgroup_id_z 0
		.amdhsa_system_sgpr_workgroup_info 0
		.amdhsa_system_vgpr_workitem_id 1
		.amdhsa_next_free_vgpr 150
		.amdhsa_next_free_sgpr 40
		.amdhsa_accum_offset 152
		.amdhsa_reserve_vcc 1
		.amdhsa_reserve_flat_scratch 0
		.amdhsa_float_round_mode_32 0
		.amdhsa_float_round_mode_16_64 0
		.amdhsa_float_denorm_mode_32 3
		.amdhsa_float_denorm_mode_16_64 3
		.amdhsa_dx10_clamp 1
		.amdhsa_ieee_mode 1
		.amdhsa_fp16_overflow 0
		.amdhsa_tg_split 0
		.amdhsa_exception_fp_ieee_invalid_op 0
		.amdhsa_exception_fp_denorm_src 0
		.amdhsa_exception_fp_ieee_div_zero 0
		.amdhsa_exception_fp_ieee_overflow 0
		.amdhsa_exception_fp_ieee_underflow 0
		.amdhsa_exception_fp_ieee_inexact 0
		.amdhsa_exception_int_div_zero 0
	.end_amdhsa_kernel
	.section	.text._ZL8moe_q3_KIfLb0EEvPKvS1_PT_PKiS5_S5_iiiiiii,"axG",@progbits,_ZL8moe_q3_KIfLb0EEvPKvS1_PT_PKiS5_S5_iiiiiii,comdat
.Lfunc_end189:
	.size	_ZL8moe_q3_KIfLb0EEvPKvS1_PT_PKiS5_S5_iiiiiii, .Lfunc_end189-_ZL8moe_q3_KIfLb0EEvPKvS1_PT_PKiS5_S5_iiiiiii
                                        ; -- End function
	.section	.AMDGPU.csdata,"",@progbits
; Kernel info:
; codeLenInByte = 20136
; NumSgprs: 44
; NumVgprs: 150
; NumAgprs: 0
; TotalNumVgprs: 150
; ScratchSize: 0
; MemoryBound: 0
; FloatMode: 240
; IeeeMode: 1
; LDSByteSize: 31776 bytes/workgroup (compile time only)
; SGPRBlocks: 5
; VGPRBlocks: 18
; NumSGPRsForWavesPerEU: 44
; NumVGPRsForWavesPerEU: 150
; AccumOffset: 152
; Occupancy: 2
; WaveLimiterHint : 1
; COMPUTE_PGM_RSRC2:SCRATCH_EN: 0
; COMPUTE_PGM_RSRC2:USER_SGPR: 6
; COMPUTE_PGM_RSRC2:TRAP_HANDLER: 0
; COMPUTE_PGM_RSRC2:TGID_X_EN: 1
; COMPUTE_PGM_RSRC2:TGID_Y_EN: 1
; COMPUTE_PGM_RSRC2:TGID_Z_EN: 0
; COMPUTE_PGM_RSRC2:TIDIG_COMP_CNT: 1
; COMPUTE_PGM_RSRC3_GFX90A:ACCUM_OFFSET: 37
; COMPUTE_PGM_RSRC3_GFX90A:TG_SPLIT: 0
	.section	.text._ZL8moe_q3_KIfLb1EEvPKvS1_PT_PKiS5_S5_iiiiiii,"axG",@progbits,_ZL8moe_q3_KIfLb1EEvPKvS1_PT_PKiS5_S5_iiiiiii,comdat
	.globl	_ZL8moe_q3_KIfLb1EEvPKvS1_PT_PKiS5_S5_iiiiiii ; -- Begin function _ZL8moe_q3_KIfLb1EEvPKvS1_PT_PKiS5_S5_iiiiiii
	.p2align	8
	.type	_ZL8moe_q3_KIfLb1EEvPKvS1_PT_PKiS5_S5_iiiiiii,@function
_ZL8moe_q3_KIfLb1EEvPKvS1_PT_PKiS5_S5_iiiiiii: ; @_ZL8moe_q3_KIfLb1EEvPKvS1_PT_PKiS5_S5_iiiiiii
; %bb.0:
	s_load_dwordx4 s[0:3], s[4:5], 0x18
	s_mov_b32 s8, s7
	s_mov_b32 s9, 0
	s_lshl_b64 s[10:11], s[8:9], 2
	s_waitcnt lgkmcnt(0)
	s_add_u32 s2, s2, s10
	s_addc_u32 s3, s3, s11
	s_load_dword s2, s[2:3], 0x0
	s_waitcnt lgkmcnt(0)
	s_cmpk_gt_u32 s2, 0xff
	s_cbranch_scc1 .LBB190_48
; %bb.1:
	s_load_dwordx2 s[10:11], s[4:5], 0x28
	s_lshl_b32 s3, s8, 3
	s_waitcnt lgkmcnt(0)
	s_load_dword s7, s[10:11], 0x0
	s_waitcnt lgkmcnt(0)
	s_cmp_gt_u32 s3, s7
	s_cbranch_scc1 .LBB190_48
; %bb.2:
	v_bfe_u32 v1, v0, 10, 10
	v_add_u32_e32 v10, s3, v1
	v_mov_b32_e32 v11, 0
	v_lshlrev_b64 v[2:3], 2, v[10:11]
	v_mov_b32_e32 v4, s1
	v_add_co_u32_e32 v2, vcc, s0, v2
	v_addc_co_u32_e32 v3, vcc, v4, v3, vcc
	global_load_dword v13, v[2:3], off
	s_load_dwordx8 s[8:15], s[4:5], 0x30
	s_load_dwordx2 s[16:17], s[4:5], 0x10
	s_waitcnt lgkmcnt(0)
	s_lshl_b32 s15, s6, 7
	s_mov_b32 s24, 0
	s_cmpk_lt_i32 s9, 0x100
	s_cbranch_scc1 .LBB190_38
; %bb.3:
	s_ashr_i32 s0, s9, 31
	s_lshr_b32 s0, s0, 24
	s_load_dwordx4 s[4:7], s[4:5], 0x0
	s_add_i32 s0, s9, s0
	s_ashr_i32 s25, s0, 8
	s_ashr_i32 s0, s12, 31
	s_lshr_b32 s0, s0, 27
	s_add_i32 s0, s12, s0
	s_mul_i32 s2, s2, s8
	s_ashr_i32 s12, s0, 5
	s_ashr_i32 s0, s2, 31
	s_waitcnt lgkmcnt(0)
	s_add_u32 s1, s4, s2
	s_mul_i32 s2, s25, s15
	s_addc_u32 s0, s5, s0
	s_mul_hi_i32 s3, s2, 0x6e
	s_mulk_i32 s2, 0x6e
	s_add_u32 s26, s1, s2
	s_addc_u32 s27, s0, s3
	s_not_b32 s1, s15
	s_add_i32 s1, s1, s10
	v_and_b32_e32 v19, 0x3ff, v0
	v_and_b32_e32 v3, 15, v19
	v_min_i32_e32 v4, s1, v1
	v_lshlrev_b32_e32 v2, 2, v19
	s_movk_i32 s0, 0x84
	v_mul_lo_u32 v14, v4, s25
	v_mad_u64_u32 v[16:17], s[2:3], v4, s0, v[2:3]
	v_add_u32_e32 v4, 8, v1
	v_min_i32_e32 v4, s1, v4
	v_mul_lo_u32 v18, v4, s25
	v_mad_u64_u32 v[20:21], s[2:3], v4, s0, v[2:3]
	v_add_u32_e32 v4, 16, v1
	v_min_i32_e32 v4, s1, v4
	;; [unrolled: 4-line block ×15, first 2 shown]
	v_mul_lo_u32 v74, v4, s25
	v_mad_u64_u32 v[76:77], s[2:3], v4, s0, v[2:3]
	v_lshlrev_b32_e32 v4, 4, v1
	v_lshrrev_b32_e32 v5, 1, v19
	v_add_u32_e32 v6, v5, v4
	v_and_b32_e32 v6, 0x7f, v6
	v_min_i32_e32 v6, s1, v6
	v_ashrrev_i32_e32 v7, 31, v6
	v_lshrrev_b32_e32 v7, 28, v7
	v_add_u32_e32 v7, v6, v7
	v_and_b32_e32 v78, 1, v19
	v_ashrrev_i32_e32 v7, 4, v7
	v_lshrrev_b32_e32 v10, 4, v19
	v_lshlrev_b32_e32 v7, 2, v7
	v_lshlrev_b32_e32 v8, 2, v78
	s_movk_i32 s2, 0x7380
	v_add3_u32 v7, v7, v8, s2
	v_lshl_add_u32 v8, v1, 1, v10
	v_add_u32_e32 v17, 16, v8
	v_min_i32_e32 v17, s1, v17
	v_lshrrev_b32_e32 v21, 31, v17
	v_mul_lo_u32 v88, v17, s25
	v_add_lshl_u32 v21, v17, v21, 1
	v_lshlrev_b32_e32 v63, 6, v17
	v_add_u32_e32 v17, 32, v8
	v_lshlrev_b32_e32 v12, 2, v3
	s_movk_i32 s3, 0x4200
	v_and_b32_e32 v21, -4, v21
	v_min_i32_e32 v17, s1, v17
	v_add3_u32 v53, v21, v12, s3
	v_lshrrev_b32_e32 v21, 31, v17
	v_mul_lo_u32 v90, v17, s25
	v_add_lshl_u32 v21, v17, v21, 1
	v_lshlrev_b32_e32 v101, 6, v17
	v_add_u32_e32 v17, 48, v8
	v_and_b32_e32 v21, -4, v21
	v_min_i32_e32 v17, s1, v17
	v_add3_u32 v99, v21, v12, s3
	v_lshrrev_b32_e32 v21, 31, v17
	v_mul_lo_u32 v92, v17, s25
	v_add_lshl_u32 v21, v17, v21, 1
	v_lshlrev_b32_e32 v105, 6, v17
	v_add_u32_e32 v17, 64, v8
	;; [unrolled: 8-line block ×4, first 2 shown]
	v_min_i32_e32 v9, s1, v8
	v_and_b32_e32 v21, -4, v21
	v_min_i32_e32 v17, s1, v17
	v_add_u32_e32 v8, 0x70, v8
	v_add3_u32 v111, v21, v12, s3
	v_lshrrev_b32_e32 v21, 31, v17
	v_min_i32_e32 v8, s1, v8
	v_mul_lo_u32 v98, v17, s25
	v_add_lshl_u32 v21, v17, v21, 1
	v_lshlrev_b32_e32 v118, 6, v17
	v_lshrrev_b32_e32 v17, 31, v8
	v_cmp_lt_u32_e32 vcc, 7, v3
	v_and_b32_e32 v3, 7, v19
	v_add_lshl_u32 v17, v8, v17, 1
	v_cndmask_b32_e64 v82, 0, 1, vcc
	v_lshlrev_b32_e32 v84, 2, v3
	v_and_b32_e32 v21, -4, v21
	v_and_b32_e32 v17, -4, v17
	v_cmp_lt_u32_e32 vcc, 3, v3
	v_and_b32_e32 v3, 3, v19
	v_add3_u32 v117, v21, v12, s3
	v_add3_u32 v119, v17, v12, s3
	v_lshlrev_b32_e32 v27, 2, v1
	v_lshrrev_b32_e32 v17, 3, v19
	v_cndmask_b32_e64 v102, 0, 1, vcc
	v_add_u16_e32 v21, -2, v3
	v_cmp_gt_u32_e32 vcc, 2, v3
	v_add_u32_e32 v25, v17, v27
	v_cndmask_b32_e32 v23, v21, v3, vcc
	v_mov_b32_e32 v29, 2
	v_cmp_lt_u32_e32 vcc, 1, v3
	v_lshlrev_b32_sdwa v104, v29, v23 dst_sel:DWORD dst_unused:UNUSED_PAD src0_sel:DWORD src1_sel:BYTE_0
	v_lshlrev_b32_e32 v23, 1, v3
	v_min_i32_e32 v3, s1, v25
	v_lshrrev_b32_e32 v11, 31, v9
	v_ashrrev_i32_e32 v29, 31, v3
	v_add_lshl_u32 v11, v9, v11, 1
	v_lshrrev_b32_e32 v29, 30, v29
	v_and_b32_e32 v11, -4, v11
	v_add_u32_e32 v29, v3, v29
	v_add3_u32 v11, v11, v12, s3
	v_and_b32_e32 v29, -4, v29
	s_movk_i32 s3, 0x6300
	v_add3_u32 v120, v29, v84, s3
	v_add_u32_e32 v29, 32, v25
	v_min_i32_e32 v29, s1, v29
	v_ashrrev_i32_e32 v31, 31, v29
	v_lshrrev_b32_e32 v31, 30, v31
	v_mul_lo_u32 v108, v29, s25
	v_add_u32_e32 v31, v29, v31
	v_lshlrev_b32_e32 v122, 5, v29
	v_add_u32_e32 v29, 64, v25
	v_and_b32_e32 v31, -4, v31
	v_min_i32_e32 v29, s1, v29
	v_add3_u32 v121, v31, v84, s3
	v_ashrrev_i32_e32 v31, 31, v29
	v_add_u32_e32 v25, 0x60, v25
	v_lshrrev_b32_e32 v31, 30, v31
	v_min_i32_e32 v25, s1, v25
	v_mul_lo_u32 v110, v29, s25
	v_add_u32_e32 v31, v29, v31
	v_lshlrev_b32_e32 v124, 5, v29
	v_ashrrev_i32_e32 v29, 31, v25
	v_lshrrev_b32_e32 v29, 30, v29
	v_and_b32_e32 v2, 28, v2
	v_cndmask_b32_e64 v21, 0, 1, vcc
	v_mul_lo_u32 v112, v25, s25
	v_add_u32_e32 v29, v25, v29
	v_lshlrev_b32_e32 v126, 5, v25
	v_and_b32_e32 v25, 31, v19
	v_add_co_u32_e32 v114, vcc, s6, v2
	v_lshlrev_b32_e32 v2, 7, v1
	v_lshl_or_b32 v1, v25, 2, v2
	v_add_u32_e32 v25, 0x77a0, v1
	v_or_b32_e32 v1, v27, v19
	v_mov_b32_e32 v27, 0x7ba0
	v_add_u32_e32 v69, 32, v19
	v_lshl_add_u32 v27, v1, 2, v27
	v_lshrrev_b32_e32 v1, 1, v69
	v_and_b32_e32 v31, -4, v31
	v_lshl_add_u32 v37, v69, 4, v1
	v_mov_b32_e32 v1, 0x1080
	v_add3_u32 v123, v31, v84, s3
	v_lshl_add_u32 v31, v19, 4, v5
	v_lshlrev_b32_e32 v5, 2, v10
	v_lshlrev_b32_e32 v35, 3, v19
	v_mad_u32_u24 v39, v19, s0, v1
	v_lshrrev_b32_e32 v1, 2, v69
	v_add3_u32 v35, v5, v35, s2
	v_and_b32_e32 v1, 0x7c, v1
	v_lshlrev_b32_e32 v5, 3, v69
	v_and_b32_e32 v29, -4, v29
	v_add_u32_e32 v67, 64, v19
	v_add3_u32 v41, v5, v1, s2
	v_mov_b32_e32 v1, 0x2100
	v_add3_u32 v125, v29, v84, s3
	v_mad_u32_u24 v45, v19, s0, v1
	v_lshrrev_b32_e32 v1, 2, v67
	s_abs_i32 s3, s14
	v_and_b32_e32 v1, 0x7c, v1
	v_lshlrev_b32_e32 v5, 3, v67
	v_cvt_f32_u32_e32 v61, s3
	v_add_u32_e32 v65, 0x60, v19
	v_add3_u32 v47, v5, v1, s2
	v_mov_b32_e32 v1, 0x3180
	v_mad_u32_u24 v51, v19, s0, v1
	v_lshrrev_b32_e32 v1, 2, v65
	v_and_b32_e32 v1, 0x7c, v1
	v_lshlrev_b32_e32 v5, 3, v65
	v_add3_u32 v55, v5, v1, s2
	v_rcp_iflag_f32_e32 v1, v61
	s_sub_i32 s0, 0, s3
	s_waitcnt vmcnt(0)
	v_sub_u32_e32 v71, 0, v13
	v_max_i32_e32 v71, v13, v71
	v_mul_f32_e32 v1, 0x4f7ffffe, v1
	v_cvt_u32_f32_e32 v1, v1
	v_xor_b32_e32 v5, s14, v13
	s_add_u32 s4, s6, 0x90
	v_ashrrev_i32_e32 v5, 31, v5
	v_mul_lo_u32 v73, s0, v1
	v_mul_hi_u32 v73, v1, v73
	v_add_u32_e32 v1, v1, v73
	v_mul_hi_u32 v1, v71, v1
	v_mul_lo_u32 v73, v1, s3
	v_sub_u32_e32 v71, v71, v73
	v_add_u32_e32 v73, 1, v1
	v_cmp_le_u32_e64 s[0:1], s3, v71
	v_cndmask_b32_e64 v1, v1, v73, s[0:1]
	v_subrev_u32_e32 v73, s3, v71
	v_cndmask_b32_e64 v71, v71, v73, s[0:1]
	v_add_u32_e32 v73, 1, v1
	v_cmp_le_u32_e64 s[0:1], s3, v71
	v_cndmask_b32_e64 v1, v1, v73, s[0:1]
	s_addc_u32 s5, s7, 0
	v_xor_b32_e32 v1, v1, v5
	s_add_u32 s18, s6, 0x120
	v_mov_b32_e32 v29, s7
	v_lshrrev_b32_e32 v43, 1, v67
	v_lshrrev_b32_e32 v49, 1, v65
	v_sub_u32_e32 v1, v1, v5
	s_addc_u32 s19, s7, 0
	v_mul_lo_u32 v80, v6, s25
	v_lshlrev_b32_e32 v6, 3, v6
	v_mul_lo_u32 v86, v9, s25
	v_lshlrev_b32_e32 v9, 6, v9
	;; [unrolled: 2-line block ×4, first 2 shown]
	v_addc_co_u32_e32 v115, vcc, 0, v29, vcc
	v_lshlrev_b32_e32 v29, 5, v19
	v_lshl_add_u32 v43, v67, 4, v43
	v_lshl_add_u32 v49, v65, 4, v49
	v_lshrrev_b32_e32 v57, 3, v69
	v_lshrrev_b32_e32 v59, 3, v67
	;; [unrolled: 1-line block ×3, first 2 shown]
	v_mul_lo_u32 v116, v1, s12
	s_add_u32 s20, s6, 0x1b0
	v_and_b32_e32 v65, 0x1fc, v65
	v_and_b32_e32 v67, 0x1fc, v67
	v_and_b32_e32 v69, 0x1fc, v69
	v_and_b32_e32 v71, 0xfc, v19
	s_movk_i32 s8, 0x6e
	v_mov_b32_e32 v15, 0
	s_movk_i32 s10, 0x60
	v_lshlrev_b32_e32 v21, 2, v21
	v_cmp_gt_u32_e32 vcc, 4, v19
	v_mul_u32_u24_e32 v33, 0x84, v19
	v_cmp_gt_i32_e64 s[0:1], s11, v1
	v_ashrrev_i32_e32 v1, 31, v116
	s_addc_u32 s21, s7, 0
	v_add_u32_e32 v73, 0x77a0, v2
	v_add_u32_e32 v75, 0x7ba0, v4
	v_add_u32_e32 v77, 0x6f08, v65
	v_add_u32_e32 v79, 0x6b08, v67
	v_add_u32_e32 v81, 0x6708, v69
	v_add_u32_e32 v83, 0x6308, v71
	v_add_u32_e32 v85, v29, v65
	v_add_u32_e32 v87, v29, v67
	v_add_u32_e32 v89, v29, v69
	v_add_u32_e32 v91, v29, v71
	v_add_u32_e32 v93, v7, v6
	v_add_u32_e32 v95, v11, v9
	v_add_u32_e32 v97, v53, v63
	v_add_u32_e32 v99, v99, v101
	v_add_u32_e32 v101, v103, v105
	v_add_u32_e32 v103, v107, v109
	v_add_u32_e32 v105, v111, v113
	v_add_u32_e32 v107, v117, v118
	v_add_u32_e32 v109, v119, v8
	s_mov_b32 s28, 0x30303030
	s_movk_i32 s29, 0x3f00
	s_movk_i32 s30, 0xe000
	v_add_u32_e32 v111, v120, v3
	v_add_u32_e32 v113, v121, v122
	;; [unrolled: 1-line block ×4, first 2 shown]
	v_mov_b32_e32 v119, 8
	v_mov_b32_e32 v63, 0
	;; [unrolled: 1-line block ×4, first 2 shown]
	s_branch .LBB190_5
.LBB190_4:                              ;   in Loop: Header=BB190_5 Depth=1
	s_add_i32 s24, s24, 2
	s_cmp_ge_i32 s24, s25
	s_cbranch_scc1 .LBB190_39
.LBB190_5:                              ; =>This Loop Header: Depth=1
                                        ;     Child Loop BB190_12 Depth 2
                                        ;     Child Loop BB190_20 Depth 2
                                        ;     Child Loop BB190_28 Depth 2
                                        ;     Child Loop BB190_36 Depth 2
	s_mul_i32 s2, s24, 0x6e
	s_mul_hi_u32 s3, s24, 0x6e
	s_add_u32 s2, s26, s2
	s_addc_u32 s3, s27, s3
	v_pk_mov_b32 v[2:3], s[2:3], s[2:3] op_sel:[0,1]
	v_mad_u64_u32 v[4:5], s[2:3], v10, s8, v[2:3]
	v_add_co_u32_e64 v4, s[2:3], v4, v12
	v_addc_co_u32_e64 v5, s[2:3], 0, v5, s[2:3]
	v_add_co_u32_e64 v4, s[2:3], 32, v4
	v_addc_co_u32_e64 v5, s[2:3], 0, v5, s[2:3]
	v_mad_i64_i32 v[6:7], s[2:3], v14, s8, v[4:5]
	v_mad_i64_i32 v[8:9], s[2:3], v18, s8, v[4:5]
	;; [unrolled: 1-line block ×8, first 2 shown]
	global_load_dword v132, v[6:7], off
	global_load_dword v133, v[8:9], off
	;; [unrolled: 1-line block ×8, first 2 shown]
	v_mad_i64_i32 v[6:7], s[2:3], v46, s8, v[4:5]
	v_mad_i64_i32 v[8:9], s[2:3], v50, s8, v[4:5]
	;; [unrolled: 1-line block ×8, first 2 shown]
	global_load_dword v140, v[6:7], off
	global_load_dword v141, v[8:9], off
	;; [unrolled: 1-line block ×8, first 2 shown]
	v_mad_i64_i32 v[4:5], s[2:3], v80, s8, v[2:3]
	v_mad_u64_u32 v[4:5], s[2:3], v78, s8, v[4:5]
	v_mad_u64_u32 v[6:7], s[2:3], v82, s8, v[2:3]
	v_add_co_u32_e64 v6, s[2:3], v6, v84
	v_addc_co_u32_e64 v7, s[2:3], 0, v7, s[2:3]
	v_mad_i64_i32 v[120:121], s[2:3], v88, s8, v[6:7]
	v_mad_i64_i32 v[122:123], s[2:3], v90, s8, v[6:7]
	v_mad_i64_i32 v[124:125], s[2:3], v92, s8, v[6:7]
	v_mad_i64_i32 v[8:9], s[2:3], v86, s8, v[6:7]
	v_mad_i64_i32 v[126:127], s[2:3], v94, s8, v[6:7]
	v_mad_i64_i32 v[128:129], s[2:3], v96, s8, v[6:7]
	v_mad_i64_i32 v[130:131], s[2:3], v98, s8, v[6:7]
	global_load_ushort v148, v[4:5], off offset:108
	global_load_dword v149, v[8:9], off
	s_nop 0
	global_load_dword v120, v[120:121], off
	s_nop 0
	;; [unrolled: 2-line block ×3, first 2 shown]
	global_load_dword v122, v[124:125], off
	global_load_dword v123, v[126:127], off
	s_nop 0
	global_load_dword v124, v[128:129], off
	global_load_dword v125, v[130:131], off
	v_mad_i64_i32 v[4:5], s[2:3], v100, s8, v[6:7]
	v_mad_u64_u32 v[2:3], s[2:3], v102, s8, v[2:3]
	v_add_co_u32_e64 v2, s[2:3], s10, v2
	v_addc_co_u32_e64 v3, s[2:3], 0, v3, s[2:3]
	global_load_dword v126, v[4:5], off
	v_mad_i64_i32 v[4:5], s[2:3], v106, s8, v[2:3]
	v_add_co_u32_e64 v6, s[2:3], v4, v104
	v_addc_co_u32_e64 v7, s[2:3], 0, v5, s[2:3]
	global_load_dword v127, v[6:7], off
	v_mad_i64_i32 v[6:7], s[2:3], v108, s8, v[2:3]
	v_mad_i64_i32 v[8:9], s[2:3], v110, s8, v[2:3]
	;; [unrolled: 1-line block ×3, first 2 shown]
	global_load_dword v128, v[2:3], off offset:8
	global_load_dword v129, v[8:9], off offset:8
	;; [unrolled: 1-line block ×4, first 2 shown]
	v_add_co_u32_e64 v4, s[2:3], v6, v104
	v_addc_co_u32_e64 v5, s[2:3], 0, v7, s[2:3]
	global_load_dword v6, v[4:5], off
	v_add_co_u32_e64 v4, s[2:3], v8, v104
	v_addc_co_u32_e64 v5, s[2:3], 0, v9, s[2:3]
	global_load_dword v4, v[4:5], off
	v_add_co_u32_e64 v2, s[2:3], v2, v104
	s_waitcnt vmcnt(31)
	ds_write_b32 v16, v132
	s_waitcnt vmcnt(30)
	ds_write_b32 v20, v133
	;; [unrolled: 2-line block ×6, first 2 shown]
	v_addc_co_u32_e64 v3, s[2:3], 0, v3, s[2:3]
	global_load_dword v2, v[2:3], off
	s_waitcnt vmcnt(26)
	ds_write_b32 v40, v138
	s_waitcnt vmcnt(25)
	ds_write_b32 v44, v139
	;; [unrolled: 2-line block ×7, first 2 shown]
	s_lshl_b32 s33, s24, 8
	s_cmp_lt_i32 s33, s9
	s_waitcnt vmcnt(16)
	v_cvt_f32_f16_e32 v3, v148
	ds_write_b32 v68, v145
	ds_write_b32 v72, v146
	;; [unrolled: 1-line block ×4, first 2 shown]
	s_waitcnt vmcnt(15)
	v_not_b32_e32 v3, v149
	ds_write_b32 v95, v3
	s_waitcnt vmcnt(14)
	v_not_b32_e32 v3, v120
	ds_write_b32 v97, v3
	;; [unrolled: 3-line block ×8, first 2 shown]
	s_waitcnt vmcnt(7)
	v_ashrrev_i32_e32 v3, v21, v127
	v_and_b32_e32 v3, 0xf0f0f0f, v3
	s_waitcnt vmcnt(3)
	v_ashrrev_i32_e32 v5, v23, v131
	v_lshlrev_b32_e32 v5, 4, v5
	v_and_or_b32 v3, v5, s28, v3
	v_lshlrev_b16_e32 v7, 8, v3
	v_and_b32_e32 v5, 0x3f00, v3
	v_add_u16_e32 v7, 0xe000, v7
	v_or_b32_sdwa v5, v5, v7 dst_sel:DWORD dst_unused:UNUSED_PAD src0_sel:DWORD src1_sel:BYTE_1
	v_and_b32_sdwa v7, v3, s29 dst_sel:DWORD dst_unused:UNUSED_PAD src0_sel:WORD_1 src1_sel:DWORD
	v_lshlrev_b16_sdwa v3, v119, v3 dst_sel:DWORD dst_unused:UNUSED_PAD src0_sel:DWORD src1_sel:WORD_1
	v_add_u16_e32 v3, 0xe000, v3
	v_or_b32_sdwa v3, v7, v3 dst_sel:DWORD dst_unused:UNUSED_PAD src0_sel:DWORD src1_sel:BYTE_1
	v_add_u16_e32 v5, 0xe000, v5
	v_add_u16_sdwa v3, v3, s30 dst_sel:WORD_1 dst_unused:UNUSED_PAD src0_sel:DWORD src1_sel:DWORD
	v_or_b32_e32 v3, v5, v3
	ds_write_b32 v111, v3
	s_waitcnt vmcnt(2)
	v_ashrrev_i32_e32 v3, v21, v6
	v_ashrrev_i32_e32 v5, v23, v130
	v_and_b32_e32 v3, 0xf0f0f0f, v3
	v_lshlrev_b32_e32 v5, 4, v5
	v_and_or_b32 v3, v5, s28, v3
	v_lshlrev_b16_e32 v6, 8, v3
	v_and_b32_e32 v5, 0x3f00, v3
	v_add_u16_e32 v6, 0xe000, v6
	v_or_b32_sdwa v5, v5, v6 dst_sel:DWORD dst_unused:UNUSED_PAD src0_sel:DWORD src1_sel:BYTE_1
	v_and_b32_sdwa v6, v3, s29 dst_sel:DWORD dst_unused:UNUSED_PAD src0_sel:WORD_1 src1_sel:DWORD
	v_lshlrev_b16_sdwa v3, v119, v3 dst_sel:DWORD dst_unused:UNUSED_PAD src0_sel:DWORD src1_sel:WORD_1
	v_add_u16_e32 v3, 0xe000, v3
	v_or_b32_sdwa v3, v6, v3 dst_sel:DWORD dst_unused:UNUSED_PAD src0_sel:DWORD src1_sel:BYTE_1
	v_add_u16_e32 v5, 0xe000, v5
	v_add_u16_sdwa v3, v3, s30 dst_sel:WORD_1 dst_unused:UNUSED_PAD src0_sel:DWORD src1_sel:DWORD
	v_or_b32_e32 v3, v5, v3
	ds_write_b32 v113, v3
	s_waitcnt vmcnt(1)
	v_ashrrev_i32_e32 v3, v21, v4
	v_ashrrev_i32_e32 v4, v23, v129
	v_and_b32_e32 v3, 0xf0f0f0f, v3
	;; [unrolled: 18-line block ×3, first 2 shown]
	v_lshlrev_b32_e32 v3, 4, v3
	v_and_or_b32 v2, v3, s28, v2
	v_lshlrev_b16_e32 v4, 8, v2
	v_and_b32_e32 v3, 0x3f00, v2
	v_add_u16_e32 v4, 0xe000, v4
	v_or_b32_sdwa v3, v3, v4 dst_sel:DWORD dst_unused:UNUSED_PAD src0_sel:DWORD src1_sel:BYTE_1
	v_and_b32_sdwa v4, v2, s29 dst_sel:DWORD dst_unused:UNUSED_PAD src0_sel:WORD_1 src1_sel:DWORD
	v_lshlrev_b16_sdwa v2, v119, v2 dst_sel:DWORD dst_unused:UNUSED_PAD src0_sel:DWORD src1_sel:WORD_1
	v_add_u16_e32 v2, 0xe000, v2
	v_or_b32_sdwa v2, v4, v2 dst_sel:DWORD dst_unused:UNUSED_PAD src0_sel:DWORD src1_sel:BYTE_1
	v_add_u16_e32 v3, 0xe000, v3
	v_add_u16_sdwa v2, v2, s30 dst_sel:WORD_1 dst_unused:UNUSED_PAD src0_sel:DWORD src1_sel:DWORD
	v_or_b32_e32 v2, v3, v2
	ds_write_b32 v118, v2
	s_cbranch_scc0 .LBB190_4
; %bb.6:                                ;   in Loop: Header=BB190_5 Depth=1
	s_lshl_b32 s31, s24, 3
	v_add_u32_e32 v2, s31, v17
	v_cmp_gt_i32_e64 s[2:3], s12, v2
	s_and_b64 s[22:23], s[0:1], s[2:3]
	s_and_saveexec_b64 s[2:3], s[22:23]
	s_cbranch_execz .LBB190_8
; %bb.7:                                ;   in Loop: Header=BB190_5 Depth=1
	v_add_u32_e32 v2, v116, v2
	v_mad_i64_i32 v[2:3], s[22:23], v2, 36, v[114:115]
	global_load_dword v2, v[2:3], off offset:4
	s_waitcnt vmcnt(0)
	ds_write_b32 v25, v2
.LBB190_8:                              ;   in Loop: Header=BB190_5 Depth=1
	s_or_b64 exec, exec, s[2:3]
	s_and_saveexec_b64 s[22:23], vcc
	s_cbranch_execz .LBB190_11
; %bb.9:                                ;   in Loop: Header=BB190_5 Depth=1
	v_or_b32_e32 v2, s31, v19
	v_cmp_gt_i32_e64 s[2:3], s12, v2
	s_and_b64 s[2:3], s[0:1], s[2:3]
	s_and_b64 exec, exec, s[2:3]
	s_cbranch_execz .LBB190_11
; %bb.10:                               ;   in Loop: Header=BB190_5 Depth=1
	v_add_u32_e32 v2, v116, v2
	v_mad_i64_i32 v[2:3], s[2:3], v2, 36, s[6:7]
	global_load_dword v2, v[2:3], off
	s_waitcnt vmcnt(0)
	v_cvt_f32_f16_e32 v2, v2
	ds_write_b32 v27, v2
.LBB190_11:                             ;   in Loop: Header=BB190_5 Depth=1
	s_or_b64 exec, exec, s[22:23]
	s_mov_b32 s22, -2
	s_mov_b32 s2, 0
	v_mov_b32_e32 v120, v75
	v_mov_b32_e32 v121, v73
	s_mov_b32 s3, 0
	s_waitcnt lgkmcnt(0)
	s_barrier
.LBB190_12:                             ;   Parent Loop BB190_5 Depth=1
                                        ; =>  This Inner Loop Header: Depth=2
	s_and_b32 s23, s3, -16
	v_add_u32_e32 v123, s23, v29
	s_add_i32 s23, s22, 2
	s_lshr_b32 s36, s23, 4
	s_and_b32 s35, s23, 0x3ffffff8
	s_lshl_b32 s34, s36, 3
	s_lshl_b32 s35, s35, 2
	v_add_lshl_u32 v130, v31, s34, 2
	v_add_u32_e32 v128, s35, v33
	v_add_u32_e32 v126, 0x4200, v130
	ds_read_b32 v122, v120
	ds_read_b128 v[6:9], v121
	ds_read_b128 v[2:5], v121 offset:16
	ds_read2_b32 v[124:125], v128 offset1:1
	ds_read2_b32 v[126:127], v126 offset1:1
	s_lshl_b32 s36, s36, 2
	s_add_i32 s3, s3, 2
	v_add_u32_e32 v121, 32, v121
	s_waitcnt lgkmcnt(1)
	v_ashrrev_i32_e32 v124, s23, v124
	s_waitcnt lgkmcnt(0)
	v_ashrrev_i32_e32 v126, s2, v126
	v_lshlrev_b32_e32 v126, 2, v126
	v_and_b32_e32 v129, 0x3030303, v124
	v_bfe_u32 v124, v124, 24, 2
	v_and_b32_e32 v126, 0x4040404, v126
	v_sub_u16_e32 v131, v129, v126
	v_sub_u16_sdwa v132, v129, v126 dst_sel:BYTE_1 dst_unused:UNUSED_PAD src0_sel:BYTE_1 src1_sel:BYTE_1
	v_sub_u16_sdwa v124, v124, v126 dst_sel:BYTE_1 dst_unused:UNUSED_PAD src0_sel:DWORD src1_sel:BYTE_3
	v_sub_u16_sdwa v126, v129, v126 dst_sel:DWORD dst_unused:UNUSED_PAD src0_sel:WORD_1 src1_sel:WORD_1
	v_or_b32_sdwa v131, v131, v132 dst_sel:DWORD dst_unused:UNUSED_PAD src0_sel:BYTE_0 src1_sel:DWORD
	v_or_b32_sdwa v124, v126, v124 dst_sel:WORD_1 dst_unused:UNUSED_PAD src0_sel:BYTE_0 src1_sel:DWORD
	v_ashrrev_i32_e32 v126, s2, v127
	v_or_b32_sdwa v129, v131, v124 dst_sel:DWORD dst_unused:UNUSED_PAD src0_sel:WORD_0 src1_sel:DWORD
	v_ashrrev_i32_e32 v124, s23, v125
	v_lshlrev_b32_e32 v126, 2, v126
	v_and_b32_e32 v125, 0x3030303, v124
	v_bfe_u32 v124, v124, 24, 2
	v_and_b32_e32 v126, 0x4040404, v126
	v_sub_u16_e32 v127, v125, v126
	v_sub_u16_sdwa v131, v125, v126 dst_sel:BYTE_1 dst_unused:UNUSED_PAD src0_sel:BYTE_1 src1_sel:BYTE_1
	v_sub_u16_sdwa v124, v124, v126 dst_sel:BYTE_1 dst_unused:UNUSED_PAD src0_sel:DWORD src1_sel:BYTE_3
	v_sub_u16_sdwa v125, v125, v126 dst_sel:DWORD dst_unused:UNUSED_PAD src0_sel:WORD_1 src1_sel:WORD_1
	v_or_b32_sdwa v127, v127, v131 dst_sel:DWORD dst_unused:UNUSED_PAD src0_sel:BYTE_0 src1_sel:DWORD
	v_or_b32_sdwa v124, v125, v124 dst_sel:WORD_1 dst_unused:UNUSED_PAD src0_sel:BYTE_0 src1_sel:DWORD
	v_add_u32_e32 v126, 0x4208, v130
	v_or_b32_sdwa v131, v127, v124 dst_sel:DWORD dst_unused:UNUSED_PAD src0_sel:WORD_0 src1_sel:DWORD
	ds_read2_b32 v[124:125], v128 offset0:2 offset1:3
	ds_read2_b32 v[126:127], v126 offset1:1
	v_add_u32_e32 v120, 4, v120
	s_waitcnt lgkmcnt(1)
	v_ashrrev_i32_e32 v124, s23, v124
	s_waitcnt lgkmcnt(0)
	v_ashrrev_i32_e32 v126, s2, v126
	v_lshlrev_b32_e32 v126, 2, v126
	v_and_b32_e32 v132, 0x3030303, v124
	v_bfe_u32 v124, v124, 24, 2
	v_and_b32_e32 v126, 0x4040404, v126
	v_sub_u16_e32 v133, v132, v126
	v_sub_u16_sdwa v134, v132, v126 dst_sel:BYTE_1 dst_unused:UNUSED_PAD src0_sel:BYTE_1 src1_sel:BYTE_1
	v_sub_u16_sdwa v124, v124, v126 dst_sel:BYTE_1 dst_unused:UNUSED_PAD src0_sel:DWORD src1_sel:BYTE_3
	v_sub_u16_sdwa v126, v132, v126 dst_sel:DWORD dst_unused:UNUSED_PAD src0_sel:WORD_1 src1_sel:WORD_1
	v_or_b32_sdwa v133, v133, v134 dst_sel:DWORD dst_unused:UNUSED_PAD src0_sel:BYTE_0 src1_sel:DWORD
	v_or_b32_sdwa v124, v126, v124 dst_sel:WORD_1 dst_unused:UNUSED_PAD src0_sel:BYTE_0 src1_sel:DWORD
	v_ashrrev_i32_e32 v126, s2, v127
	v_or_b32_sdwa v132, v133, v124 dst_sel:DWORD dst_unused:UNUSED_PAD src0_sel:WORD_0 src1_sel:DWORD
	v_ashrrev_i32_e32 v124, s23, v125
	v_lshlrev_b32_e32 v126, 2, v126
	v_and_b32_e32 v125, 0x3030303, v124
	v_bfe_u32 v124, v124, 24, 2
	v_and_b32_e32 v126, 0x4040404, v126
	v_sub_u16_e32 v127, v125, v126
	v_sub_u16_sdwa v133, v125, v126 dst_sel:BYTE_1 dst_unused:UNUSED_PAD src0_sel:BYTE_1 src1_sel:BYTE_1
	v_sub_u16_sdwa v124, v124, v126 dst_sel:BYTE_1 dst_unused:UNUSED_PAD src0_sel:DWORD src1_sel:BYTE_3
	v_sub_u16_sdwa v125, v125, v126 dst_sel:DWORD dst_unused:UNUSED_PAD src0_sel:WORD_1 src1_sel:WORD_1
	v_or_b32_sdwa v127, v127, v133 dst_sel:DWORD dst_unused:UNUSED_PAD src0_sel:BYTE_0 src1_sel:DWORD
	v_or_b32_sdwa v124, v125, v124 dst_sel:WORD_1 dst_unused:UNUSED_PAD src0_sel:BYTE_0 src1_sel:DWORD
	v_add_u32_e32 v126, 0x4210, v130
	v_or_b32_sdwa v133, v127, v124 dst_sel:DWORD dst_unused:UNUSED_PAD src0_sel:WORD_0 src1_sel:DWORD
	ds_read2_b32 v[124:125], v128 offset0:4 offset1:5
	ds_read2_b32 v[126:127], v126 offset1:1
	s_waitcnt lgkmcnt(1)
	v_ashrrev_i32_e32 v124, s23, v124
	s_waitcnt lgkmcnt(0)
	v_ashrrev_i32_e32 v126, s2, v126
	v_lshlrev_b32_e32 v126, 2, v126
	v_and_b32_e32 v134, 0x3030303, v124
	v_bfe_u32 v124, v124, 24, 2
	v_and_b32_e32 v126, 0x4040404, v126
	v_sub_u16_e32 v135, v134, v126
	v_sub_u16_sdwa v136, v134, v126 dst_sel:BYTE_1 dst_unused:UNUSED_PAD src0_sel:BYTE_1 src1_sel:BYTE_1
	v_sub_u16_sdwa v124, v124, v126 dst_sel:BYTE_1 dst_unused:UNUSED_PAD src0_sel:DWORD src1_sel:BYTE_3
	v_sub_u16_sdwa v126, v134, v126 dst_sel:DWORD dst_unused:UNUSED_PAD src0_sel:WORD_1 src1_sel:WORD_1
	v_or_b32_sdwa v135, v135, v136 dst_sel:DWORD dst_unused:UNUSED_PAD src0_sel:BYTE_0 src1_sel:DWORD
	v_or_b32_sdwa v124, v126, v124 dst_sel:WORD_1 dst_unused:UNUSED_PAD src0_sel:BYTE_0 src1_sel:DWORD
	v_ashrrev_i32_e32 v126, s2, v127
	v_or_b32_sdwa v134, v135, v124 dst_sel:DWORD dst_unused:UNUSED_PAD src0_sel:WORD_0 src1_sel:DWORD
	v_ashrrev_i32_e32 v124, s23, v125
	v_lshlrev_b32_e32 v126, 2, v126
	v_and_b32_e32 v125, 0x3030303, v124
	v_bfe_u32 v124, v124, 24, 2
	v_and_b32_e32 v126, 0x4040404, v126
	v_sub_u16_e32 v127, v125, v126
	v_sub_u16_sdwa v135, v125, v126 dst_sel:BYTE_1 dst_unused:UNUSED_PAD src0_sel:BYTE_1 src1_sel:BYTE_1
	v_sub_u16_sdwa v124, v124, v126 dst_sel:BYTE_1 dst_unused:UNUSED_PAD src0_sel:DWORD src1_sel:BYTE_3
	v_sub_u16_sdwa v125, v125, v126 dst_sel:DWORD dst_unused:UNUSED_PAD src0_sel:WORD_1 src1_sel:WORD_1
	v_or_b32_sdwa v127, v127, v135 dst_sel:DWORD dst_unused:UNUSED_PAD src0_sel:BYTE_0 src1_sel:DWORD
	v_or_b32_sdwa v124, v125, v124 dst_sel:WORD_1 dst_unused:UNUSED_PAD src0_sel:BYTE_0 src1_sel:DWORD
	v_add_u32_e32 v126, 0x4218, v130
	v_or_b32_sdwa v135, v127, v124 dst_sel:DWORD dst_unused:UNUSED_PAD src0_sel:WORD_0 src1_sel:DWORD
	ds_read2_b32 v[124:125], v128 offset0:6 offset1:7
	ds_read2_b32 v[126:127], v126 offset1:1
	s_waitcnt lgkmcnt(1)
	v_ashrrev_i32_e32 v124, s23, v124
	s_waitcnt lgkmcnt(0)
	v_ashrrev_i32_e32 v126, s2, v126
	v_lshlrev_b32_e32 v126, 2, v126
	v_and_b32_e32 v128, 0x3030303, v124
	v_bfe_u32 v124, v124, 24, 2
	v_and_b32_e32 v126, 0x4040404, v126
	v_sub_u16_e32 v130, v128, v126
	v_sub_u16_sdwa v136, v128, v126 dst_sel:BYTE_1 dst_unused:UNUSED_PAD src0_sel:BYTE_1 src1_sel:BYTE_1
	v_sub_u16_sdwa v124, v124, v126 dst_sel:BYTE_1 dst_unused:UNUSED_PAD src0_sel:DWORD src1_sel:BYTE_3
	v_sub_u16_sdwa v126, v128, v126 dst_sel:DWORD dst_unused:UNUSED_PAD src0_sel:WORD_1 src1_sel:WORD_1
	v_or_b32_sdwa v130, v130, v136 dst_sel:DWORD dst_unused:UNUSED_PAD src0_sel:BYTE_0 src1_sel:DWORD
	v_or_b32_sdwa v124, v126, v124 dst_sel:WORD_1 dst_unused:UNUSED_PAD src0_sel:BYTE_0 src1_sel:DWORD
	v_ashrrev_i32_e32 v127, s2, v127
	v_or_b32_sdwa v126, v130, v124 dst_sel:DWORD dst_unused:UNUSED_PAD src0_sel:WORD_0 src1_sel:DWORD
	v_ashrrev_i32_e32 v124, s23, v125
	v_lshlrev_b32_e32 v127, 2, v127
	v_and_b32_e32 v125, 0x3030303, v124
	v_bfe_u32 v124, v124, 24, 2
	v_and_b32_e32 v127, 0x4040404, v127
	v_sub_u16_e32 v128, v125, v127
	v_sub_u16_sdwa v130, v125, v127 dst_sel:BYTE_1 dst_unused:UNUSED_PAD src0_sel:BYTE_1 src1_sel:BYTE_1
	v_sub_u16_sdwa v124, v124, v127 dst_sel:BYTE_1 dst_unused:UNUSED_PAD src0_sel:DWORD src1_sel:BYTE_3
	v_sub_u16_sdwa v125, v125, v127 dst_sel:DWORD dst_unused:UNUSED_PAD src0_sel:WORD_1 src1_sel:WORD_1
	v_or_b32_sdwa v128, v128, v130 dst_sel:DWORD dst_unused:UNUSED_PAD src0_sel:BYTE_0 src1_sel:DWORD
	v_or_b32_sdwa v124, v125, v124 dst_sel:WORD_1 dst_unused:UNUSED_PAD src0_sel:BYTE_0 src1_sel:DWORD
	v_or_b32_sdwa v125, v128, v124 dst_sel:DWORD dst_unused:UNUSED_PAD src0_sel:WORD_0 src1_sel:DWORD
	v_add3_u32 v124, v71, s22, v123
	v_add_u32_e32 v127, s36, v35
	ds_read_b32 v127, v127
	ds_read_u16 v124, v124 offset:25346
	v_mov_b32_e32 v128, 0
	v_dot4c_i32_i8_e32 v128, v129, v6
	v_dot4c_i32_i8_e32 v128, v131, v7
	;; [unrolled: 1-line block ×4, first 2 shown]
	s_waitcnt lgkmcnt(0)
	v_lshrrev_b16_e32 v129, 8, v124
	v_bfe_i32 v124, v124, 0, 8
	v_add_lshl_u32 v130, v37, s34, 2
	v_mul_lo_u32 v124, v128, v124
	v_mov_b32_e32 v128, 0
	v_dot4c_i32_i8_e32 v128, v134, v2
	v_dot4c_i32_i8_e32 v128, v135, v3
	;; [unrolled: 1-line block ×4, first 2 shown]
	v_bfe_i32 v125, v129, 0, 8
	v_add_u32_e32 v126, 0x4200, v130
	s_nop 0
	v_mad_u64_u32 v[124:125], s[38:39], v128, v125, v[124:125]
	v_cvt_f32_i32_e32 v124, v124
	v_mul_f32_e32 v125, v122, v127
	v_add_u32_e32 v128, s35, v39
	ds_read2_b32 v[126:127], v126 offset1:1
	v_fmac_f32_e32 v15, v125, v124
	ds_read2_b32 v[124:125], v128 offset1:1
	s_waitcnt lgkmcnt(1)
	v_ashrrev_i32_e32 v126, s2, v126
	v_lshlrev_b32_e32 v126, 2, v126
	s_waitcnt lgkmcnt(0)
	v_ashrrev_i32_e32 v124, s23, v124
	v_and_b32_e32 v129, 0x3030303, v124
	v_bfe_u32 v124, v124, 24, 2
	v_and_b32_e32 v126, 0x4040404, v126
	v_sub_u16_e32 v131, v129, v126
	v_sub_u16_sdwa v132, v129, v126 dst_sel:BYTE_1 dst_unused:UNUSED_PAD src0_sel:BYTE_1 src1_sel:BYTE_1
	v_sub_u16_sdwa v124, v124, v126 dst_sel:BYTE_1 dst_unused:UNUSED_PAD src0_sel:DWORD src1_sel:BYTE_3
	v_sub_u16_sdwa v126, v129, v126 dst_sel:DWORD dst_unused:UNUSED_PAD src0_sel:WORD_1 src1_sel:WORD_1
	v_or_b32_sdwa v131, v131, v132 dst_sel:DWORD dst_unused:UNUSED_PAD src0_sel:BYTE_0 src1_sel:DWORD
	v_or_b32_sdwa v124, v126, v124 dst_sel:WORD_1 dst_unused:UNUSED_PAD src0_sel:BYTE_0 src1_sel:DWORD
	v_ashrrev_i32_e32 v126, s2, v127
	v_or_b32_sdwa v129, v131, v124 dst_sel:DWORD dst_unused:UNUSED_PAD src0_sel:WORD_0 src1_sel:DWORD
	v_ashrrev_i32_e32 v124, s23, v125
	v_lshlrev_b32_e32 v126, 2, v126
	v_and_b32_e32 v125, 0x3030303, v124
	v_bfe_u32 v124, v124, 24, 2
	v_and_b32_e32 v126, 0x4040404, v126
	v_sub_u16_e32 v127, v125, v126
	v_sub_u16_sdwa v131, v125, v126 dst_sel:BYTE_1 dst_unused:UNUSED_PAD src0_sel:BYTE_1 src1_sel:BYTE_1
	v_sub_u16_sdwa v124, v124, v126 dst_sel:BYTE_1 dst_unused:UNUSED_PAD src0_sel:DWORD src1_sel:BYTE_3
	v_sub_u16_sdwa v125, v125, v126 dst_sel:DWORD dst_unused:UNUSED_PAD src0_sel:WORD_1 src1_sel:WORD_1
	v_or_b32_sdwa v127, v127, v131 dst_sel:DWORD dst_unused:UNUSED_PAD src0_sel:BYTE_0 src1_sel:DWORD
	v_or_b32_sdwa v124, v125, v124 dst_sel:WORD_1 dst_unused:UNUSED_PAD src0_sel:BYTE_0 src1_sel:DWORD
	v_add_u32_e32 v126, 0x4208, v130
	v_or_b32_sdwa v131, v127, v124 dst_sel:DWORD dst_unused:UNUSED_PAD src0_sel:WORD_0 src1_sel:DWORD
	ds_read2_b32 v[124:125], v128 offset0:2 offset1:3
	ds_read2_b32 v[126:127], v126 offset1:1
	s_waitcnt lgkmcnt(1)
	v_ashrrev_i32_e32 v124, s23, v124
	s_waitcnt lgkmcnt(0)
	v_ashrrev_i32_e32 v126, s2, v126
	v_lshlrev_b32_e32 v126, 2, v126
	v_and_b32_e32 v132, 0x3030303, v124
	v_bfe_u32 v124, v124, 24, 2
	v_and_b32_e32 v126, 0x4040404, v126
	v_sub_u16_e32 v133, v132, v126
	v_sub_u16_sdwa v134, v132, v126 dst_sel:BYTE_1 dst_unused:UNUSED_PAD src0_sel:BYTE_1 src1_sel:BYTE_1
	v_sub_u16_sdwa v124, v124, v126 dst_sel:BYTE_1 dst_unused:UNUSED_PAD src0_sel:DWORD src1_sel:BYTE_3
	v_sub_u16_sdwa v126, v132, v126 dst_sel:DWORD dst_unused:UNUSED_PAD src0_sel:WORD_1 src1_sel:WORD_1
	v_or_b32_sdwa v133, v133, v134 dst_sel:DWORD dst_unused:UNUSED_PAD src0_sel:BYTE_0 src1_sel:DWORD
	v_or_b32_sdwa v124, v126, v124 dst_sel:WORD_1 dst_unused:UNUSED_PAD src0_sel:BYTE_0 src1_sel:DWORD
	v_ashrrev_i32_e32 v126, s2, v127
	v_or_b32_sdwa v132, v133, v124 dst_sel:DWORD dst_unused:UNUSED_PAD src0_sel:WORD_0 src1_sel:DWORD
	v_ashrrev_i32_e32 v124, s23, v125
	v_lshlrev_b32_e32 v126, 2, v126
	v_and_b32_e32 v125, 0x3030303, v124
	v_bfe_u32 v124, v124, 24, 2
	v_and_b32_e32 v126, 0x4040404, v126
	v_sub_u16_e32 v127, v125, v126
	v_sub_u16_sdwa v133, v125, v126 dst_sel:BYTE_1 dst_unused:UNUSED_PAD src0_sel:BYTE_1 src1_sel:BYTE_1
	v_sub_u16_sdwa v124, v124, v126 dst_sel:BYTE_1 dst_unused:UNUSED_PAD src0_sel:DWORD src1_sel:BYTE_3
	v_sub_u16_sdwa v125, v125, v126 dst_sel:DWORD dst_unused:UNUSED_PAD src0_sel:WORD_1 src1_sel:WORD_1
	v_or_b32_sdwa v127, v127, v133 dst_sel:DWORD dst_unused:UNUSED_PAD src0_sel:BYTE_0 src1_sel:DWORD
	v_or_b32_sdwa v124, v125, v124 dst_sel:WORD_1 dst_unused:UNUSED_PAD src0_sel:BYTE_0 src1_sel:DWORD
	v_add_u32_e32 v126, 0x4210, v130
	v_or_b32_sdwa v133, v127, v124 dst_sel:DWORD dst_unused:UNUSED_PAD src0_sel:WORD_0 src1_sel:DWORD
	ds_read2_b32 v[124:125], v128 offset0:4 offset1:5
	ds_read2_b32 v[126:127], v126 offset1:1
	s_waitcnt lgkmcnt(1)
	v_ashrrev_i32_e32 v124, s23, v124
	s_waitcnt lgkmcnt(0)
	v_ashrrev_i32_e32 v126, s2, v126
	v_lshlrev_b32_e32 v126, 2, v126
	;; [unrolled: 31-line block ×3, first 2 shown]
	v_and_b32_e32 v128, 0x3030303, v124
	v_bfe_u32 v124, v124, 24, 2
	v_and_b32_e32 v126, 0x4040404, v126
	v_sub_u16_e32 v130, v128, v126
	v_sub_u16_sdwa v136, v128, v126 dst_sel:BYTE_1 dst_unused:UNUSED_PAD src0_sel:BYTE_1 src1_sel:BYTE_1
	v_sub_u16_sdwa v124, v124, v126 dst_sel:BYTE_1 dst_unused:UNUSED_PAD src0_sel:DWORD src1_sel:BYTE_3
	v_sub_u16_sdwa v126, v128, v126 dst_sel:DWORD dst_unused:UNUSED_PAD src0_sel:WORD_1 src1_sel:WORD_1
	v_or_b32_sdwa v130, v130, v136 dst_sel:DWORD dst_unused:UNUSED_PAD src0_sel:BYTE_0 src1_sel:DWORD
	v_or_b32_sdwa v124, v126, v124 dst_sel:WORD_1 dst_unused:UNUSED_PAD src0_sel:BYTE_0 src1_sel:DWORD
	v_ashrrev_i32_e32 v127, s2, v127
	v_or_b32_sdwa v126, v130, v124 dst_sel:DWORD dst_unused:UNUSED_PAD src0_sel:WORD_0 src1_sel:DWORD
	v_ashrrev_i32_e32 v124, s23, v125
	v_lshlrev_b32_e32 v127, 2, v127
	v_and_b32_e32 v125, 0x3030303, v124
	v_bfe_u32 v124, v124, 24, 2
	v_and_b32_e32 v127, 0x4040404, v127
	v_sub_u16_e32 v128, v125, v127
	v_sub_u16_sdwa v130, v125, v127 dst_sel:BYTE_1 dst_unused:UNUSED_PAD src0_sel:BYTE_1 src1_sel:BYTE_1
	v_sub_u16_sdwa v124, v124, v127 dst_sel:BYTE_1 dst_unused:UNUSED_PAD src0_sel:DWORD src1_sel:BYTE_3
	v_sub_u16_sdwa v125, v125, v127 dst_sel:DWORD dst_unused:UNUSED_PAD src0_sel:WORD_1 src1_sel:WORD_1
	v_or_b32_sdwa v128, v128, v130 dst_sel:DWORD dst_unused:UNUSED_PAD src0_sel:BYTE_0 src1_sel:DWORD
	v_or_b32_sdwa v124, v125, v124 dst_sel:WORD_1 dst_unused:UNUSED_PAD src0_sel:BYTE_0 src1_sel:DWORD
	v_or_b32_sdwa v125, v128, v124 dst_sel:DWORD dst_unused:UNUSED_PAD src0_sel:WORD_0 src1_sel:DWORD
	v_add3_u32 v124, v69, s22, v123
	v_add_u32_e32 v127, s36, v41
	ds_read_b32 v127, v127
	ds_read_u16 v124, v124 offset:26370
	v_mov_b32_e32 v128, 0
	v_dot4c_i32_i8_e32 v128, v129, v6
	v_dot4c_i32_i8_e32 v128, v131, v7
	;; [unrolled: 1-line block ×4, first 2 shown]
	s_waitcnt lgkmcnt(0)
	v_lshrrev_b16_e32 v129, 8, v124
	v_bfe_i32 v124, v124, 0, 8
	v_add_lshl_u32 v130, v43, s34, 2
	v_mul_lo_u32 v124, v128, v124
	v_mov_b32_e32 v128, 0
	v_dot4c_i32_i8_e32 v128, v134, v2
	v_dot4c_i32_i8_e32 v128, v135, v3
	;; [unrolled: 1-line block ×4, first 2 shown]
	v_bfe_i32 v125, v129, 0, 8
	v_add_u32_e32 v126, 0x4200, v130
	s_nop 0
	v_mad_u64_u32 v[124:125], s[38:39], v128, v125, v[124:125]
	v_cvt_f32_i32_e32 v124, v124
	v_mul_f32_e32 v125, v122, v127
	v_add_u32_e32 v128, s35, v45
	ds_read2_b32 v[126:127], v126 offset1:1
	v_fmac_f32_e32 v63, v125, v124
	ds_read2_b32 v[124:125], v128 offset1:1
	s_waitcnt lgkmcnt(1)
	v_ashrrev_i32_e32 v126, s2, v126
	v_lshlrev_b32_e32 v126, 2, v126
	s_waitcnt lgkmcnt(0)
	v_ashrrev_i32_e32 v124, s23, v124
	v_and_b32_e32 v129, 0x3030303, v124
	v_bfe_u32 v124, v124, 24, 2
	v_and_b32_e32 v126, 0x4040404, v126
	v_sub_u16_e32 v131, v129, v126
	v_sub_u16_sdwa v132, v129, v126 dst_sel:BYTE_1 dst_unused:UNUSED_PAD src0_sel:BYTE_1 src1_sel:BYTE_1
	v_sub_u16_sdwa v124, v124, v126 dst_sel:BYTE_1 dst_unused:UNUSED_PAD src0_sel:DWORD src1_sel:BYTE_3
	v_sub_u16_sdwa v126, v129, v126 dst_sel:DWORD dst_unused:UNUSED_PAD src0_sel:WORD_1 src1_sel:WORD_1
	v_or_b32_sdwa v131, v131, v132 dst_sel:DWORD dst_unused:UNUSED_PAD src0_sel:BYTE_0 src1_sel:DWORD
	v_or_b32_sdwa v124, v126, v124 dst_sel:WORD_1 dst_unused:UNUSED_PAD src0_sel:BYTE_0 src1_sel:DWORD
	v_ashrrev_i32_e32 v126, s2, v127
	v_or_b32_sdwa v129, v131, v124 dst_sel:DWORD dst_unused:UNUSED_PAD src0_sel:WORD_0 src1_sel:DWORD
	v_ashrrev_i32_e32 v124, s23, v125
	v_lshlrev_b32_e32 v126, 2, v126
	v_and_b32_e32 v125, 0x3030303, v124
	v_bfe_u32 v124, v124, 24, 2
	v_and_b32_e32 v126, 0x4040404, v126
	v_sub_u16_e32 v127, v125, v126
	v_sub_u16_sdwa v131, v125, v126 dst_sel:BYTE_1 dst_unused:UNUSED_PAD src0_sel:BYTE_1 src1_sel:BYTE_1
	v_sub_u16_sdwa v124, v124, v126 dst_sel:BYTE_1 dst_unused:UNUSED_PAD src0_sel:DWORD src1_sel:BYTE_3
	v_sub_u16_sdwa v125, v125, v126 dst_sel:DWORD dst_unused:UNUSED_PAD src0_sel:WORD_1 src1_sel:WORD_1
	v_or_b32_sdwa v127, v127, v131 dst_sel:DWORD dst_unused:UNUSED_PAD src0_sel:BYTE_0 src1_sel:DWORD
	v_or_b32_sdwa v124, v125, v124 dst_sel:WORD_1 dst_unused:UNUSED_PAD src0_sel:BYTE_0 src1_sel:DWORD
	v_add_u32_e32 v126, 0x4208, v130
	v_or_b32_sdwa v131, v127, v124 dst_sel:DWORD dst_unused:UNUSED_PAD src0_sel:WORD_0 src1_sel:DWORD
	ds_read2_b32 v[124:125], v128 offset0:2 offset1:3
	ds_read2_b32 v[126:127], v126 offset1:1
	s_waitcnt lgkmcnt(1)
	v_ashrrev_i32_e32 v124, s23, v124
	s_waitcnt lgkmcnt(0)
	v_ashrrev_i32_e32 v126, s2, v126
	v_lshlrev_b32_e32 v126, 2, v126
	v_and_b32_e32 v132, 0x3030303, v124
	v_bfe_u32 v124, v124, 24, 2
	v_and_b32_e32 v126, 0x4040404, v126
	v_sub_u16_e32 v133, v132, v126
	v_sub_u16_sdwa v134, v132, v126 dst_sel:BYTE_1 dst_unused:UNUSED_PAD src0_sel:BYTE_1 src1_sel:BYTE_1
	v_sub_u16_sdwa v124, v124, v126 dst_sel:BYTE_1 dst_unused:UNUSED_PAD src0_sel:DWORD src1_sel:BYTE_3
	v_sub_u16_sdwa v126, v132, v126 dst_sel:DWORD dst_unused:UNUSED_PAD src0_sel:WORD_1 src1_sel:WORD_1
	v_or_b32_sdwa v133, v133, v134 dst_sel:DWORD dst_unused:UNUSED_PAD src0_sel:BYTE_0 src1_sel:DWORD
	v_or_b32_sdwa v124, v126, v124 dst_sel:WORD_1 dst_unused:UNUSED_PAD src0_sel:BYTE_0 src1_sel:DWORD
	v_ashrrev_i32_e32 v126, s2, v127
	v_or_b32_sdwa v132, v133, v124 dst_sel:DWORD dst_unused:UNUSED_PAD src0_sel:WORD_0 src1_sel:DWORD
	v_ashrrev_i32_e32 v124, s23, v125
	v_lshlrev_b32_e32 v126, 2, v126
	v_and_b32_e32 v125, 0x3030303, v124
	v_bfe_u32 v124, v124, 24, 2
	v_and_b32_e32 v126, 0x4040404, v126
	v_sub_u16_e32 v127, v125, v126
	v_sub_u16_sdwa v133, v125, v126 dst_sel:BYTE_1 dst_unused:UNUSED_PAD src0_sel:BYTE_1 src1_sel:BYTE_1
	v_sub_u16_sdwa v124, v124, v126 dst_sel:BYTE_1 dst_unused:UNUSED_PAD src0_sel:DWORD src1_sel:BYTE_3
	v_sub_u16_sdwa v125, v125, v126 dst_sel:DWORD dst_unused:UNUSED_PAD src0_sel:WORD_1 src1_sel:WORD_1
	v_or_b32_sdwa v127, v127, v133 dst_sel:DWORD dst_unused:UNUSED_PAD src0_sel:BYTE_0 src1_sel:DWORD
	v_or_b32_sdwa v124, v125, v124 dst_sel:WORD_1 dst_unused:UNUSED_PAD src0_sel:BYTE_0 src1_sel:DWORD
	v_add_u32_e32 v126, 0x4210, v130
	v_or_b32_sdwa v133, v127, v124 dst_sel:DWORD dst_unused:UNUSED_PAD src0_sel:WORD_0 src1_sel:DWORD
	ds_read2_b32 v[124:125], v128 offset0:4 offset1:5
	ds_read2_b32 v[126:127], v126 offset1:1
	s_waitcnt lgkmcnt(1)
	v_ashrrev_i32_e32 v124, s23, v124
	s_waitcnt lgkmcnt(0)
	v_ashrrev_i32_e32 v126, s2, v126
	v_lshlrev_b32_e32 v126, 2, v126
	v_and_b32_e32 v134, 0x3030303, v124
	v_bfe_u32 v124, v124, 24, 2
	v_and_b32_e32 v126, 0x4040404, v126
	v_sub_u16_e32 v135, v134, v126
	v_sub_u16_sdwa v136, v134, v126 dst_sel:BYTE_1 dst_unused:UNUSED_PAD src0_sel:BYTE_1 src1_sel:BYTE_1
	v_sub_u16_sdwa v124, v124, v126 dst_sel:BYTE_1 dst_unused:UNUSED_PAD src0_sel:DWORD src1_sel:BYTE_3
	v_sub_u16_sdwa v126, v134, v126 dst_sel:DWORD dst_unused:UNUSED_PAD src0_sel:WORD_1 src1_sel:WORD_1
	v_or_b32_sdwa v135, v135, v136 dst_sel:DWORD dst_unused:UNUSED_PAD src0_sel:BYTE_0 src1_sel:DWORD
	v_or_b32_sdwa v124, v126, v124 dst_sel:WORD_1 dst_unused:UNUSED_PAD src0_sel:BYTE_0 src1_sel:DWORD
	v_ashrrev_i32_e32 v126, s2, v127
	v_or_b32_sdwa v134, v135, v124 dst_sel:DWORD dst_unused:UNUSED_PAD src0_sel:WORD_0 src1_sel:DWORD
	v_ashrrev_i32_e32 v124, s23, v125
	v_lshlrev_b32_e32 v126, 2, v126
	v_and_b32_e32 v125, 0x3030303, v124
	v_bfe_u32 v124, v124, 24, 2
	v_and_b32_e32 v126, 0x4040404, v126
	v_sub_u16_e32 v127, v125, v126
	v_sub_u16_sdwa v135, v125, v126 dst_sel:BYTE_1 dst_unused:UNUSED_PAD src0_sel:BYTE_1 src1_sel:BYTE_1
	v_sub_u16_sdwa v124, v124, v126 dst_sel:BYTE_1 dst_unused:UNUSED_PAD src0_sel:DWORD src1_sel:BYTE_3
	v_sub_u16_sdwa v125, v125, v126 dst_sel:DWORD dst_unused:UNUSED_PAD src0_sel:WORD_1 src1_sel:WORD_1
	v_or_b32_sdwa v127, v127, v135 dst_sel:DWORD dst_unused:UNUSED_PAD src0_sel:BYTE_0 src1_sel:DWORD
	v_or_b32_sdwa v124, v125, v124 dst_sel:WORD_1 dst_unused:UNUSED_PAD src0_sel:BYTE_0 src1_sel:DWORD
	v_add_u32_e32 v126, 0x4218, v130
	v_or_b32_sdwa v135, v127, v124 dst_sel:DWORD dst_unused:UNUSED_PAD src0_sel:WORD_0 src1_sel:DWORD
	ds_read2_b32 v[124:125], v128 offset0:6 offset1:7
	ds_read2_b32 v[126:127], v126 offset1:1
	s_waitcnt lgkmcnt(1)
	v_ashrrev_i32_e32 v124, s23, v124
	s_waitcnt lgkmcnt(0)
	v_ashrrev_i32_e32 v126, s2, v126
	v_lshlrev_b32_e32 v126, 2, v126
	v_and_b32_e32 v128, 0x3030303, v124
	v_bfe_u32 v124, v124, 24, 2
	v_and_b32_e32 v126, 0x4040404, v126
	v_sub_u16_e32 v130, v128, v126
	v_sub_u16_sdwa v136, v128, v126 dst_sel:BYTE_1 dst_unused:UNUSED_PAD src0_sel:BYTE_1 src1_sel:BYTE_1
	v_sub_u16_sdwa v124, v124, v126 dst_sel:BYTE_1 dst_unused:UNUSED_PAD src0_sel:DWORD src1_sel:BYTE_3
	v_sub_u16_sdwa v126, v128, v126 dst_sel:DWORD dst_unused:UNUSED_PAD src0_sel:WORD_1 src1_sel:WORD_1
	v_or_b32_sdwa v130, v130, v136 dst_sel:DWORD dst_unused:UNUSED_PAD src0_sel:BYTE_0 src1_sel:DWORD
	v_or_b32_sdwa v124, v126, v124 dst_sel:WORD_1 dst_unused:UNUSED_PAD src0_sel:BYTE_0 src1_sel:DWORD
	v_ashrrev_i32_e32 v127, s2, v127
	v_or_b32_sdwa v126, v130, v124 dst_sel:DWORD dst_unused:UNUSED_PAD src0_sel:WORD_0 src1_sel:DWORD
	v_ashrrev_i32_e32 v124, s23, v125
	v_lshlrev_b32_e32 v127, 2, v127
	v_and_b32_e32 v125, 0x3030303, v124
	v_bfe_u32 v124, v124, 24, 2
	v_and_b32_e32 v127, 0x4040404, v127
	v_sub_u16_e32 v128, v125, v127
	v_sub_u16_sdwa v130, v125, v127 dst_sel:BYTE_1 dst_unused:UNUSED_PAD src0_sel:BYTE_1 src1_sel:BYTE_1
	v_sub_u16_sdwa v124, v124, v127 dst_sel:BYTE_1 dst_unused:UNUSED_PAD src0_sel:DWORD src1_sel:BYTE_3
	v_sub_u16_sdwa v125, v125, v127 dst_sel:DWORD dst_unused:UNUSED_PAD src0_sel:WORD_1 src1_sel:WORD_1
	v_or_b32_sdwa v128, v128, v130 dst_sel:DWORD dst_unused:UNUSED_PAD src0_sel:BYTE_0 src1_sel:DWORD
	v_or_b32_sdwa v124, v125, v124 dst_sel:WORD_1 dst_unused:UNUSED_PAD src0_sel:BYTE_0 src1_sel:DWORD
	v_or_b32_sdwa v125, v128, v124 dst_sel:DWORD dst_unused:UNUSED_PAD src0_sel:WORD_0 src1_sel:DWORD
	v_add3_u32 v124, v67, s22, v123
	v_add_u32_e32 v127, s36, v47
	ds_read_b32 v127, v127
	ds_read_u16 v124, v124 offset:27394
	v_mov_b32_e32 v128, 0
	v_dot4c_i32_i8_e32 v128, v129, v6
	v_dot4c_i32_i8_e32 v128, v131, v7
	;; [unrolled: 1-line block ×4, first 2 shown]
	s_waitcnt lgkmcnt(0)
	v_lshrrev_b16_e32 v129, 8, v124
	v_bfe_i32 v124, v124, 0, 8
	v_add_lshl_u32 v130, v49, s34, 2
	v_mul_lo_u32 v124, v128, v124
	v_mov_b32_e32 v128, 0
	v_dot4c_i32_i8_e32 v128, v134, v2
	v_dot4c_i32_i8_e32 v128, v135, v3
	;; [unrolled: 1-line block ×4, first 2 shown]
	v_bfe_i32 v125, v129, 0, 8
	v_add_u32_e32 v126, 0x4200, v130
	v_add3_u32 v123, v65, s22, v123
	v_mad_u64_u32 v[124:125], s[38:39], v128, v125, v[124:125]
	v_cvt_f32_i32_e32 v124, v124
	v_mul_f32_e32 v125, v122, v127
	v_add_u32_e32 v128, s35, v51
	ds_read2_b32 v[126:127], v126 offset1:1
	v_fmac_f32_e32 v53, v125, v124
	ds_read2_b32 v[124:125], v128 offset1:1
	s_mov_b32 s22, s23
	s_waitcnt lgkmcnt(1)
	v_ashrrev_i32_e32 v126, s2, v126
	v_lshlrev_b32_e32 v126, 2, v126
	s_waitcnt lgkmcnt(0)
	v_ashrrev_i32_e32 v124, s23, v124
	v_and_b32_e32 v129, 0x3030303, v124
	v_bfe_u32 v124, v124, 24, 2
	v_and_b32_e32 v126, 0x4040404, v126
	v_sub_u16_e32 v131, v129, v126
	v_sub_u16_sdwa v132, v129, v126 dst_sel:BYTE_1 dst_unused:UNUSED_PAD src0_sel:BYTE_1 src1_sel:BYTE_1
	v_sub_u16_sdwa v124, v124, v126 dst_sel:BYTE_1 dst_unused:UNUSED_PAD src0_sel:DWORD src1_sel:BYTE_3
	v_sub_u16_sdwa v126, v129, v126 dst_sel:DWORD dst_unused:UNUSED_PAD src0_sel:WORD_1 src1_sel:WORD_1
	v_or_b32_sdwa v131, v131, v132 dst_sel:DWORD dst_unused:UNUSED_PAD src0_sel:BYTE_0 src1_sel:DWORD
	v_or_b32_sdwa v124, v126, v124 dst_sel:WORD_1 dst_unused:UNUSED_PAD src0_sel:BYTE_0 src1_sel:DWORD
	v_ashrrev_i32_e32 v126, s2, v127
	v_or_b32_sdwa v129, v131, v124 dst_sel:DWORD dst_unused:UNUSED_PAD src0_sel:WORD_0 src1_sel:DWORD
	v_ashrrev_i32_e32 v124, s23, v125
	v_lshlrev_b32_e32 v126, 2, v126
	v_and_b32_e32 v125, 0x3030303, v124
	v_bfe_u32 v124, v124, 24, 2
	v_and_b32_e32 v126, 0x4040404, v126
	v_sub_u16_e32 v127, v125, v126
	v_sub_u16_sdwa v131, v125, v126 dst_sel:BYTE_1 dst_unused:UNUSED_PAD src0_sel:BYTE_1 src1_sel:BYTE_1
	v_sub_u16_sdwa v124, v124, v126 dst_sel:BYTE_1 dst_unused:UNUSED_PAD src0_sel:DWORD src1_sel:BYTE_3
	v_sub_u16_sdwa v125, v125, v126 dst_sel:DWORD dst_unused:UNUSED_PAD src0_sel:WORD_1 src1_sel:WORD_1
	v_or_b32_sdwa v127, v127, v131 dst_sel:DWORD dst_unused:UNUSED_PAD src0_sel:BYTE_0 src1_sel:DWORD
	v_or_b32_sdwa v124, v125, v124 dst_sel:WORD_1 dst_unused:UNUSED_PAD src0_sel:BYTE_0 src1_sel:DWORD
	v_add_u32_e32 v126, 0x4208, v130
	v_or_b32_sdwa v131, v127, v124 dst_sel:DWORD dst_unused:UNUSED_PAD src0_sel:WORD_0 src1_sel:DWORD
	ds_read2_b32 v[124:125], v128 offset0:2 offset1:3
	ds_read2_b32 v[126:127], v126 offset1:1
	s_waitcnt lgkmcnt(1)
	v_ashrrev_i32_e32 v124, s23, v124
	s_waitcnt lgkmcnt(0)
	v_ashrrev_i32_e32 v126, s2, v126
	v_lshlrev_b32_e32 v126, 2, v126
	v_and_b32_e32 v132, 0x3030303, v124
	v_bfe_u32 v124, v124, 24, 2
	v_and_b32_e32 v126, 0x4040404, v126
	v_sub_u16_e32 v133, v132, v126
	v_sub_u16_sdwa v134, v132, v126 dst_sel:BYTE_1 dst_unused:UNUSED_PAD src0_sel:BYTE_1 src1_sel:BYTE_1
	v_sub_u16_sdwa v124, v124, v126 dst_sel:BYTE_1 dst_unused:UNUSED_PAD src0_sel:DWORD src1_sel:BYTE_3
	v_sub_u16_sdwa v126, v132, v126 dst_sel:DWORD dst_unused:UNUSED_PAD src0_sel:WORD_1 src1_sel:WORD_1
	v_or_b32_sdwa v133, v133, v134 dst_sel:DWORD dst_unused:UNUSED_PAD src0_sel:BYTE_0 src1_sel:DWORD
	v_or_b32_sdwa v124, v126, v124 dst_sel:WORD_1 dst_unused:UNUSED_PAD src0_sel:BYTE_0 src1_sel:DWORD
	v_ashrrev_i32_e32 v126, s2, v127
	v_or_b32_sdwa v132, v133, v124 dst_sel:DWORD dst_unused:UNUSED_PAD src0_sel:WORD_0 src1_sel:DWORD
	v_ashrrev_i32_e32 v124, s23, v125
	v_lshlrev_b32_e32 v126, 2, v126
	v_and_b32_e32 v125, 0x3030303, v124
	v_bfe_u32 v124, v124, 24, 2
	v_and_b32_e32 v126, 0x4040404, v126
	v_sub_u16_e32 v127, v125, v126
	v_sub_u16_sdwa v133, v125, v126 dst_sel:BYTE_1 dst_unused:UNUSED_PAD src0_sel:BYTE_1 src1_sel:BYTE_1
	v_sub_u16_sdwa v124, v124, v126 dst_sel:BYTE_1 dst_unused:UNUSED_PAD src0_sel:DWORD src1_sel:BYTE_3
	v_sub_u16_sdwa v125, v125, v126 dst_sel:DWORD dst_unused:UNUSED_PAD src0_sel:WORD_1 src1_sel:WORD_1
	v_or_b32_sdwa v127, v127, v133 dst_sel:DWORD dst_unused:UNUSED_PAD src0_sel:BYTE_0 src1_sel:DWORD
	v_or_b32_sdwa v124, v125, v124 dst_sel:WORD_1 dst_unused:UNUSED_PAD src0_sel:BYTE_0 src1_sel:DWORD
	v_add_u32_e32 v126, 0x4210, v130
	v_or_b32_sdwa v133, v127, v124 dst_sel:DWORD dst_unused:UNUSED_PAD src0_sel:WORD_0 src1_sel:DWORD
	ds_read2_b32 v[124:125], v128 offset0:4 offset1:5
	ds_read2_b32 v[126:127], v126 offset1:1
	s_waitcnt lgkmcnt(1)
	v_ashrrev_i32_e32 v124, s23, v124
	s_waitcnt lgkmcnt(0)
	v_ashrrev_i32_e32 v126, s2, v126
	v_lshlrev_b32_e32 v126, 2, v126
	;; [unrolled: 31-line block ×3, first 2 shown]
	v_and_b32_e32 v128, 0x3030303, v124
	v_bfe_u32 v124, v124, 24, 2
	v_and_b32_e32 v126, 0x4040404, v126
	v_ashrrev_i32_e32 v127, s2, v127
	v_sub_u16_e32 v130, v128, v126
	v_sub_u16_sdwa v136, v128, v126 dst_sel:BYTE_1 dst_unused:UNUSED_PAD src0_sel:BYTE_1 src1_sel:BYTE_1
	v_sub_u16_sdwa v124, v124, v126 dst_sel:BYTE_1 dst_unused:UNUSED_PAD src0_sel:DWORD src1_sel:BYTE_3
	v_sub_u16_sdwa v126, v128, v126 dst_sel:DWORD dst_unused:UNUSED_PAD src0_sel:WORD_1 src1_sel:WORD_1
	v_ashrrev_i32_e32 v125, s23, v125
	v_lshlrev_b32_e32 v127, 2, v127
	v_or_b32_sdwa v130, v130, v136 dst_sel:DWORD dst_unused:UNUSED_PAD src0_sel:BYTE_0 src1_sel:DWORD
	v_or_b32_sdwa v124, v126, v124 dst_sel:WORD_1 dst_unused:UNUSED_PAD src0_sel:BYTE_0 src1_sel:DWORD
	v_and_b32_e32 v126, 0x3030303, v125
	v_bfe_u32 v125, v125, 24, 2
	v_and_b32_e32 v127, 0x4040404, v127
	v_or_b32_sdwa v124, v130, v124 dst_sel:DWORD dst_unused:UNUSED_PAD src0_sel:WORD_0 src1_sel:DWORD
	v_sub_u16_e32 v128, v126, v127
	v_sub_u16_sdwa v130, v126, v127 dst_sel:BYTE_1 dst_unused:UNUSED_PAD src0_sel:BYTE_1 src1_sel:BYTE_1
	v_sub_u16_sdwa v125, v125, v127 dst_sel:BYTE_1 dst_unused:UNUSED_PAD src0_sel:DWORD src1_sel:BYTE_3
	v_sub_u16_sdwa v126, v126, v127 dst_sel:DWORD dst_unused:UNUSED_PAD src0_sel:WORD_1 src1_sel:WORD_1
	v_or_b32_sdwa v125, v126, v125 dst_sel:WORD_1 dst_unused:UNUSED_PAD src0_sel:BYTE_0 src1_sel:DWORD
	v_add_u32_e32 v126, s36, v55
	v_mov_b32_e32 v127, 0
	ds_read_b32 v126, v126
	v_dot4c_i32_i8_e32 v127, v129, v6
	ds_read_u16 v6, v123 offset:28418
	v_dot4c_i32_i8_e32 v127, v131, v7
	v_dot4c_i32_i8_e32 v127, v132, v8
	v_mov_b32_e32 v8, 0
	v_dot4c_i32_i8_e32 v8, v134, v2
	v_or_b32_sdwa v128, v128, v130 dst_sel:DWORD dst_unused:UNUSED_PAD src0_sel:BYTE_0 src1_sel:DWORD
	v_dot4c_i32_i8_e32 v8, v135, v3
	v_or_b32_sdwa v125, v128, v125 dst_sel:DWORD dst_unused:UNUSED_PAD src0_sel:WORD_0 src1_sel:DWORD
	v_dot4c_i32_i8_e32 v127, v133, v9
	s_waitcnt lgkmcnt(0)
	v_lshrrev_b16_e32 v7, 8, v6
	v_bfe_i32 v6, v6, 0, 8
	v_dot4c_i32_i8_e32 v8, v124, v4
	v_mul_lo_u32 v6, v127, v6
	v_dot4c_i32_i8_e32 v8, v125, v5
	v_bfe_i32 v2, v7, 0, 8
	s_add_i32 s2, s2, 1
	s_cmp_lt_u32 s23, 6
	v_mad_u64_u32 v[2:3], s[34:35], v8, v2, v[6:7]
	v_cvt_f32_i32_e32 v2, v2
	v_mul_f32_e32 v3, v122, v126
	v_fmac_f32_e32 v11, v3, v2
	s_cbranch_scc1 .LBB190_12
; %bb.13:                               ;   in Loop: Header=BB190_5 Depth=1
	s_or_b32 s2, s33, 0x80
	s_cmp_ge_i32 s2, s9
	s_barrier
	s_cbranch_scc1 .LBB190_4
; %bb.14:                               ;   in Loop: Header=BB190_5 Depth=1
	v_add_u32_e32 v2, s31, v57
	v_cmp_gt_i32_e64 s[2:3], s12, v2
	s_and_b64 s[22:23], s[0:1], s[2:3]
	s_and_saveexec_b64 s[2:3], s[22:23]
	s_cbranch_execz .LBB190_16
; %bb.15:                               ;   in Loop: Header=BB190_5 Depth=1
	v_add_u32_e32 v2, v116, v2
	v_mad_i64_i32 v[2:3], s[22:23], v2, 36, v[114:115]
	global_load_dword v2, v[2:3], off offset:4
	s_waitcnt vmcnt(0)
	ds_write_b32 v25, v2
.LBB190_16:                             ;   in Loop: Header=BB190_5 Depth=1
	s_or_b64 exec, exec, s[2:3]
	s_and_saveexec_b64 s[22:23], vcc
	s_cbranch_execz .LBB190_19
; %bb.17:                               ;   in Loop: Header=BB190_5 Depth=1
	v_or_b32_e32 v2, s31, v19
	v_or_b32_e32 v3, 4, v2
	v_cmp_gt_i32_e64 s[2:3], s12, v3
	s_and_b64 s[2:3], s[0:1], s[2:3]
	s_and_b64 exec, exec, s[2:3]
	s_cbranch_execz .LBB190_19
; %bb.18:                               ;   in Loop: Header=BB190_5 Depth=1
	v_ashrrev_i32_e32 v3, 31, v2
	v_add_co_u32_e64 v2, s[2:3], v116, v2
	v_addc_co_u32_e64 v4, s[2:3], v1, v3, s[2:3]
	v_mad_u64_u32 v[2:3], s[2:3], v2, 36, s[4:5]
	v_mad_i32_i24 v3, v4, 36, v3
	global_load_dword v2, v[2:3], off
	s_waitcnt vmcnt(0)
	v_cvt_f32_f16_e32 v2, v2
	ds_write_b32 v27, v2
.LBB190_19:                             ;   in Loop: Header=BB190_5 Depth=1
	s_or_b64 exec, exec, s[22:23]
	s_mov_b32 s2, 8
	s_mov_b32 s3, 0
	;; [unrolled: 1-line block ×3, first 2 shown]
	v_mov_b32_e32 v120, v73
	v_mov_b32_e32 v121, v75
	s_waitcnt lgkmcnt(0)
	s_barrier
.LBB190_20:                             ;   Parent Loop BB190_5 Depth=1
                                        ; =>  This Inner Loop Header: Depth=2
	s_add_i32 s23, s3, 8
	s_lshr_b32 s37, s23, 4
	s_and_b32 s36, s23, 0x3ffffff8
	s_lshl_b32 s35, s37, 3
	s_lshl_b32 s36, s36, 2
	v_add_lshl_u32 v129, v31, s35, 2
	v_add_u32_e32 v123, s36, v33
	v_add_u32_e32 v126, 0x4200, v129
	ds_read_b32 v122, v121
	ds_read_b128 v[6:9], v120
	ds_read_b128 v[2:5], v120 offset:16
	ds_read2_b32 v[124:125], v123 offset1:1
	ds_read2_b32 v[126:127], v126 offset1:1
	s_and_b32 s34, s2, -16
	s_lshl_b32 s37, s37, 2
	s_add_i32 s2, s2, 2
	s_waitcnt lgkmcnt(1)
	v_ashrrev_i32_e32 v124, s3, v124
	s_waitcnt lgkmcnt(0)
	v_ashrrev_i32_e32 v126, s22, v126
	v_lshlrev_b32_e32 v126, 2, v126
	v_and_b32_e32 v128, 0x3030303, v124
	v_bfe_u32 v124, v124, 24, 2
	v_and_b32_e32 v126, 0x4040404, v126
	v_sub_u16_e32 v130, v128, v126
	v_sub_u16_sdwa v131, v128, v126 dst_sel:BYTE_1 dst_unused:UNUSED_PAD src0_sel:BYTE_1 src1_sel:BYTE_1
	v_sub_u16_sdwa v124, v124, v126 dst_sel:BYTE_1 dst_unused:UNUSED_PAD src0_sel:DWORD src1_sel:BYTE_3
	v_sub_u16_sdwa v126, v128, v126 dst_sel:DWORD dst_unused:UNUSED_PAD src0_sel:WORD_1 src1_sel:WORD_1
	v_or_b32_sdwa v130, v130, v131 dst_sel:DWORD dst_unused:UNUSED_PAD src0_sel:BYTE_0 src1_sel:DWORD
	v_or_b32_sdwa v124, v126, v124 dst_sel:WORD_1 dst_unused:UNUSED_PAD src0_sel:BYTE_0 src1_sel:DWORD
	v_ashrrev_i32_e32 v126, s22, v127
	v_or_b32_sdwa v128, v130, v124 dst_sel:DWORD dst_unused:UNUSED_PAD src0_sel:WORD_0 src1_sel:DWORD
	v_ashrrev_i32_e32 v124, s3, v125
	v_lshlrev_b32_e32 v126, 2, v126
	v_and_b32_e32 v125, 0x3030303, v124
	v_bfe_u32 v124, v124, 24, 2
	v_and_b32_e32 v126, 0x4040404, v126
	v_sub_u16_e32 v127, v125, v126
	v_sub_u16_sdwa v130, v125, v126 dst_sel:BYTE_1 dst_unused:UNUSED_PAD src0_sel:BYTE_1 src1_sel:BYTE_1
	v_sub_u16_sdwa v124, v124, v126 dst_sel:BYTE_1 dst_unused:UNUSED_PAD src0_sel:DWORD src1_sel:BYTE_3
	v_sub_u16_sdwa v125, v125, v126 dst_sel:DWORD dst_unused:UNUSED_PAD src0_sel:WORD_1 src1_sel:WORD_1
	v_or_b32_sdwa v127, v127, v130 dst_sel:DWORD dst_unused:UNUSED_PAD src0_sel:BYTE_0 src1_sel:DWORD
	v_or_b32_sdwa v124, v125, v124 dst_sel:WORD_1 dst_unused:UNUSED_PAD src0_sel:BYTE_0 src1_sel:DWORD
	v_add_u32_e32 v126, 0x4208, v129
	v_or_b32_sdwa v130, v127, v124 dst_sel:DWORD dst_unused:UNUSED_PAD src0_sel:WORD_0 src1_sel:DWORD
	ds_read2_b32 v[124:125], v123 offset0:2 offset1:3
	ds_read2_b32 v[126:127], v126 offset1:1
	v_add_u32_e32 v121, 4, v121
	v_add_u32_e32 v120, 32, v120
	s_waitcnt lgkmcnt(1)
	v_ashrrev_i32_e32 v124, s3, v124
	s_waitcnt lgkmcnt(0)
	v_ashrrev_i32_e32 v126, s22, v126
	v_lshlrev_b32_e32 v126, 2, v126
	v_and_b32_e32 v131, 0x3030303, v124
	v_bfe_u32 v124, v124, 24, 2
	v_and_b32_e32 v126, 0x4040404, v126
	v_sub_u16_e32 v132, v131, v126
	v_sub_u16_sdwa v133, v131, v126 dst_sel:BYTE_1 dst_unused:UNUSED_PAD src0_sel:BYTE_1 src1_sel:BYTE_1
	v_sub_u16_sdwa v124, v124, v126 dst_sel:BYTE_1 dst_unused:UNUSED_PAD src0_sel:DWORD src1_sel:BYTE_3
	v_sub_u16_sdwa v126, v131, v126 dst_sel:DWORD dst_unused:UNUSED_PAD src0_sel:WORD_1 src1_sel:WORD_1
	v_or_b32_sdwa v132, v132, v133 dst_sel:DWORD dst_unused:UNUSED_PAD src0_sel:BYTE_0 src1_sel:DWORD
	v_or_b32_sdwa v124, v126, v124 dst_sel:WORD_1 dst_unused:UNUSED_PAD src0_sel:BYTE_0 src1_sel:DWORD
	v_ashrrev_i32_e32 v126, s22, v127
	v_or_b32_sdwa v131, v132, v124 dst_sel:DWORD dst_unused:UNUSED_PAD src0_sel:WORD_0 src1_sel:DWORD
	v_ashrrev_i32_e32 v124, s3, v125
	v_lshlrev_b32_e32 v126, 2, v126
	v_and_b32_e32 v125, 0x3030303, v124
	v_bfe_u32 v124, v124, 24, 2
	v_and_b32_e32 v126, 0x4040404, v126
	v_sub_u16_e32 v127, v125, v126
	v_sub_u16_sdwa v132, v125, v126 dst_sel:BYTE_1 dst_unused:UNUSED_PAD src0_sel:BYTE_1 src1_sel:BYTE_1
	v_sub_u16_sdwa v124, v124, v126 dst_sel:BYTE_1 dst_unused:UNUSED_PAD src0_sel:DWORD src1_sel:BYTE_3
	v_sub_u16_sdwa v125, v125, v126 dst_sel:DWORD dst_unused:UNUSED_PAD src0_sel:WORD_1 src1_sel:WORD_1
	v_or_b32_sdwa v127, v127, v132 dst_sel:DWORD dst_unused:UNUSED_PAD src0_sel:BYTE_0 src1_sel:DWORD
	v_or_b32_sdwa v124, v125, v124 dst_sel:WORD_1 dst_unused:UNUSED_PAD src0_sel:BYTE_0 src1_sel:DWORD
	v_add_u32_e32 v126, 0x4210, v129
	v_or_b32_sdwa v132, v127, v124 dst_sel:DWORD dst_unused:UNUSED_PAD src0_sel:WORD_0 src1_sel:DWORD
	ds_read2_b32 v[124:125], v123 offset0:4 offset1:5
	ds_read2_b32 v[126:127], v126 offset1:1
	s_waitcnt lgkmcnt(1)
	v_ashrrev_i32_e32 v124, s3, v124
	s_waitcnt lgkmcnt(0)
	v_ashrrev_i32_e32 v126, s22, v126
	v_lshlrev_b32_e32 v126, 2, v126
	v_and_b32_e32 v133, 0x3030303, v124
	v_bfe_u32 v124, v124, 24, 2
	v_and_b32_e32 v126, 0x4040404, v126
	v_sub_u16_e32 v134, v133, v126
	v_sub_u16_sdwa v135, v133, v126 dst_sel:BYTE_1 dst_unused:UNUSED_PAD src0_sel:BYTE_1 src1_sel:BYTE_1
	v_sub_u16_sdwa v124, v124, v126 dst_sel:BYTE_1 dst_unused:UNUSED_PAD src0_sel:DWORD src1_sel:BYTE_3
	v_sub_u16_sdwa v126, v133, v126 dst_sel:DWORD dst_unused:UNUSED_PAD src0_sel:WORD_1 src1_sel:WORD_1
	v_or_b32_sdwa v134, v134, v135 dst_sel:DWORD dst_unused:UNUSED_PAD src0_sel:BYTE_0 src1_sel:DWORD
	v_or_b32_sdwa v124, v126, v124 dst_sel:WORD_1 dst_unused:UNUSED_PAD src0_sel:BYTE_0 src1_sel:DWORD
	v_ashrrev_i32_e32 v126, s22, v127
	v_or_b32_sdwa v133, v134, v124 dst_sel:DWORD dst_unused:UNUSED_PAD src0_sel:WORD_0 src1_sel:DWORD
	v_ashrrev_i32_e32 v124, s3, v125
	v_lshlrev_b32_e32 v126, 2, v126
	v_and_b32_e32 v125, 0x3030303, v124
	v_bfe_u32 v124, v124, 24, 2
	v_and_b32_e32 v126, 0x4040404, v126
	v_sub_u16_e32 v127, v125, v126
	v_sub_u16_sdwa v134, v125, v126 dst_sel:BYTE_1 dst_unused:UNUSED_PAD src0_sel:BYTE_1 src1_sel:BYTE_1
	v_sub_u16_sdwa v124, v124, v126 dst_sel:BYTE_1 dst_unused:UNUSED_PAD src0_sel:DWORD src1_sel:BYTE_3
	v_sub_u16_sdwa v125, v125, v126 dst_sel:DWORD dst_unused:UNUSED_PAD src0_sel:WORD_1 src1_sel:WORD_1
	v_or_b32_sdwa v127, v127, v134 dst_sel:DWORD dst_unused:UNUSED_PAD src0_sel:BYTE_0 src1_sel:DWORD
	v_or_b32_sdwa v124, v125, v124 dst_sel:WORD_1 dst_unused:UNUSED_PAD src0_sel:BYTE_0 src1_sel:DWORD
	v_add_u32_e32 v126, 0x4218, v129
	v_or_b32_sdwa v134, v127, v124 dst_sel:DWORD dst_unused:UNUSED_PAD src0_sel:WORD_0 src1_sel:DWORD
	ds_read2_b32 v[124:125], v123 offset0:6 offset1:7
	ds_read2_b32 v[126:127], v126 offset1:1
	s_waitcnt lgkmcnt(1)
	v_ashrrev_i32_e32 v123, s3, v124
	s_waitcnt lgkmcnt(0)
	v_ashrrev_i32_e32 v126, s22, v126
	v_lshlrev_b32_e32 v126, 2, v126
	v_and_b32_e32 v124, 0x3030303, v123
	v_bfe_u32 v123, v123, 24, 2
	v_and_b32_e32 v126, 0x4040404, v126
	v_sub_u16_e32 v129, v124, v126
	v_sub_u16_sdwa v135, v124, v126 dst_sel:BYTE_1 dst_unused:UNUSED_PAD src0_sel:BYTE_1 src1_sel:BYTE_1
	v_sub_u16_sdwa v123, v123, v126 dst_sel:BYTE_1 dst_unused:UNUSED_PAD src0_sel:DWORD src1_sel:BYTE_3
	v_sub_u16_sdwa v124, v124, v126 dst_sel:DWORD dst_unused:UNUSED_PAD src0_sel:WORD_1 src1_sel:WORD_1
	v_or_b32_sdwa v129, v129, v135 dst_sel:DWORD dst_unused:UNUSED_PAD src0_sel:BYTE_0 src1_sel:DWORD
	v_or_b32_sdwa v123, v124, v123 dst_sel:WORD_1 dst_unused:UNUSED_PAD src0_sel:BYTE_0 src1_sel:DWORD
	v_or_b32_sdwa v126, v129, v123 dst_sel:DWORD dst_unused:UNUSED_PAD src0_sel:WORD_0 src1_sel:DWORD
	v_ashrrev_i32_e32 v123, s3, v125
	v_ashrrev_i32_e32 v125, s22, v127
	v_lshlrev_b32_e32 v125, 2, v125
	v_and_b32_e32 v124, 0x3030303, v123
	v_bfe_u32 v123, v123, 24, 2
	v_and_b32_e32 v125, 0x4040404, v125
	v_sub_u16_e32 v127, v124, v125
	v_sub_u16_sdwa v129, v124, v125 dst_sel:BYTE_1 dst_unused:UNUSED_PAD src0_sel:BYTE_1 src1_sel:BYTE_1
	v_sub_u16_sdwa v123, v123, v125 dst_sel:BYTE_1 dst_unused:UNUSED_PAD src0_sel:DWORD src1_sel:BYTE_3
	v_sub_u16_sdwa v124, v124, v125 dst_sel:DWORD dst_unused:UNUSED_PAD src0_sel:WORD_1 src1_sel:WORD_1
	v_or_b32_sdwa v127, v127, v129 dst_sel:DWORD dst_unused:UNUSED_PAD src0_sel:BYTE_0 src1_sel:DWORD
	v_or_b32_sdwa v123, v124, v123 dst_sel:WORD_1 dst_unused:UNUSED_PAD src0_sel:BYTE_0 src1_sel:DWORD
	v_or_b32_sdwa v125, v127, v123 dst_sel:DWORD dst_unused:UNUSED_PAD src0_sel:WORD_0 src1_sel:DWORD
	v_add_u32_e32 v123, s3, v29
	v_add3_u32 v124, v83, s34, v123
	v_add_u32_e32 v127, s37, v35
	ds_read_b32 v127, v127
	ds_read_u16 v124, v124
	v_mov_b32_e32 v129, 0
	v_dot4c_i32_i8_e32 v129, v128, v6
	v_dot4c_i32_i8_e32 v129, v130, v7
	;; [unrolled: 1-line block ×4, first 2 shown]
	s_waitcnt lgkmcnt(0)
	v_lshrrev_b16_e32 v128, 8, v124
	v_bfe_i32 v124, v124, 0, 8
	v_add_lshl_u32 v130, v37, s35, 2
	v_mul_lo_u32 v124, v129, v124
	v_mov_b32_e32 v129, 0
	v_dot4c_i32_i8_e32 v129, v133, v2
	v_dot4c_i32_i8_e32 v129, v134, v3
	;; [unrolled: 1-line block ×4, first 2 shown]
	v_bfe_i32 v125, v128, 0, 8
	v_add_u32_e32 v128, s36, v39
	v_add_u32_e32 v126, 0x4200, v130
	v_mad_u64_u32 v[124:125], s[38:39], v129, v125, v[124:125]
	v_cvt_f32_i32_e32 v124, v124
	v_mul_f32_e32 v125, v122, v127
	ds_read2_b32 v[126:127], v126 offset1:1
	v_fmac_f32_e32 v15, v125, v124
	ds_read2_b32 v[124:125], v128 offset1:1
	s_waitcnt lgkmcnt(1)
	v_ashrrev_i32_e32 v126, s22, v126
	v_lshlrev_b32_e32 v126, 2, v126
	v_and_b32_e32 v126, 0x4040404, v126
	s_waitcnt lgkmcnt(0)
	v_ashrrev_i32_e32 v124, s3, v124
	v_and_b32_e32 v129, 0x3030303, v124
	v_bfe_u32 v124, v124, 24, 2
	v_sub_u16_e32 v131, v129, v126
	v_sub_u16_sdwa v132, v129, v126 dst_sel:BYTE_1 dst_unused:UNUSED_PAD src0_sel:BYTE_1 src1_sel:BYTE_1
	v_sub_u16_sdwa v124, v124, v126 dst_sel:BYTE_1 dst_unused:UNUSED_PAD src0_sel:DWORD src1_sel:BYTE_3
	v_sub_u16_sdwa v126, v129, v126 dst_sel:DWORD dst_unused:UNUSED_PAD src0_sel:WORD_1 src1_sel:WORD_1
	v_or_b32_sdwa v131, v131, v132 dst_sel:DWORD dst_unused:UNUSED_PAD src0_sel:BYTE_0 src1_sel:DWORD
	v_or_b32_sdwa v124, v126, v124 dst_sel:WORD_1 dst_unused:UNUSED_PAD src0_sel:BYTE_0 src1_sel:DWORD
	v_ashrrev_i32_e32 v126, s22, v127
	v_or_b32_sdwa v129, v131, v124 dst_sel:DWORD dst_unused:UNUSED_PAD src0_sel:WORD_0 src1_sel:DWORD
	v_ashrrev_i32_e32 v124, s3, v125
	v_lshlrev_b32_e32 v126, 2, v126
	v_and_b32_e32 v125, 0x3030303, v124
	v_bfe_u32 v124, v124, 24, 2
	v_and_b32_e32 v126, 0x4040404, v126
	v_sub_u16_e32 v127, v125, v126
	v_sub_u16_sdwa v131, v125, v126 dst_sel:BYTE_1 dst_unused:UNUSED_PAD src0_sel:BYTE_1 src1_sel:BYTE_1
	v_sub_u16_sdwa v124, v124, v126 dst_sel:BYTE_1 dst_unused:UNUSED_PAD src0_sel:DWORD src1_sel:BYTE_3
	v_sub_u16_sdwa v125, v125, v126 dst_sel:DWORD dst_unused:UNUSED_PAD src0_sel:WORD_1 src1_sel:WORD_1
	v_or_b32_sdwa v127, v127, v131 dst_sel:DWORD dst_unused:UNUSED_PAD src0_sel:BYTE_0 src1_sel:DWORD
	v_or_b32_sdwa v124, v125, v124 dst_sel:WORD_1 dst_unused:UNUSED_PAD src0_sel:BYTE_0 src1_sel:DWORD
	v_add_u32_e32 v126, 0x4208, v130
	v_or_b32_sdwa v131, v127, v124 dst_sel:DWORD dst_unused:UNUSED_PAD src0_sel:WORD_0 src1_sel:DWORD
	ds_read2_b32 v[124:125], v128 offset0:2 offset1:3
	ds_read2_b32 v[126:127], v126 offset1:1
	s_waitcnt lgkmcnt(1)
	v_ashrrev_i32_e32 v124, s3, v124
	s_waitcnt lgkmcnt(0)
	v_ashrrev_i32_e32 v126, s22, v126
	v_lshlrev_b32_e32 v126, 2, v126
	v_and_b32_e32 v132, 0x3030303, v124
	v_bfe_u32 v124, v124, 24, 2
	v_and_b32_e32 v126, 0x4040404, v126
	v_sub_u16_e32 v133, v132, v126
	v_sub_u16_sdwa v134, v132, v126 dst_sel:BYTE_1 dst_unused:UNUSED_PAD src0_sel:BYTE_1 src1_sel:BYTE_1
	v_sub_u16_sdwa v124, v124, v126 dst_sel:BYTE_1 dst_unused:UNUSED_PAD src0_sel:DWORD src1_sel:BYTE_3
	v_sub_u16_sdwa v126, v132, v126 dst_sel:DWORD dst_unused:UNUSED_PAD src0_sel:WORD_1 src1_sel:WORD_1
	v_or_b32_sdwa v133, v133, v134 dst_sel:DWORD dst_unused:UNUSED_PAD src0_sel:BYTE_0 src1_sel:DWORD
	v_or_b32_sdwa v124, v126, v124 dst_sel:WORD_1 dst_unused:UNUSED_PAD src0_sel:BYTE_0 src1_sel:DWORD
	v_ashrrev_i32_e32 v126, s22, v127
	v_or_b32_sdwa v132, v133, v124 dst_sel:DWORD dst_unused:UNUSED_PAD src0_sel:WORD_0 src1_sel:DWORD
	v_ashrrev_i32_e32 v124, s3, v125
	v_lshlrev_b32_e32 v126, 2, v126
	v_and_b32_e32 v125, 0x3030303, v124
	v_bfe_u32 v124, v124, 24, 2
	v_and_b32_e32 v126, 0x4040404, v126
	v_sub_u16_e32 v127, v125, v126
	v_sub_u16_sdwa v133, v125, v126 dst_sel:BYTE_1 dst_unused:UNUSED_PAD src0_sel:BYTE_1 src1_sel:BYTE_1
	v_sub_u16_sdwa v124, v124, v126 dst_sel:BYTE_1 dst_unused:UNUSED_PAD src0_sel:DWORD src1_sel:BYTE_3
	v_sub_u16_sdwa v125, v125, v126 dst_sel:DWORD dst_unused:UNUSED_PAD src0_sel:WORD_1 src1_sel:WORD_1
	v_or_b32_sdwa v127, v127, v133 dst_sel:DWORD dst_unused:UNUSED_PAD src0_sel:BYTE_0 src1_sel:DWORD
	v_or_b32_sdwa v124, v125, v124 dst_sel:WORD_1 dst_unused:UNUSED_PAD src0_sel:BYTE_0 src1_sel:DWORD
	v_add_u32_e32 v126, 0x4210, v130
	v_or_b32_sdwa v133, v127, v124 dst_sel:DWORD dst_unused:UNUSED_PAD src0_sel:WORD_0 src1_sel:DWORD
	ds_read2_b32 v[124:125], v128 offset0:4 offset1:5
	ds_read2_b32 v[126:127], v126 offset1:1
	s_waitcnt lgkmcnt(1)
	v_ashrrev_i32_e32 v124, s3, v124
	s_waitcnt lgkmcnt(0)
	v_ashrrev_i32_e32 v126, s22, v126
	v_lshlrev_b32_e32 v126, 2, v126
	v_and_b32_e32 v134, 0x3030303, v124
	v_bfe_u32 v124, v124, 24, 2
	v_and_b32_e32 v126, 0x4040404, v126
	;; [unrolled: 31-line block ×3, first 2 shown]
	v_sub_u16_e32 v130, v128, v126
	v_sub_u16_sdwa v136, v128, v126 dst_sel:BYTE_1 dst_unused:UNUSED_PAD src0_sel:BYTE_1 src1_sel:BYTE_1
	v_sub_u16_sdwa v124, v124, v126 dst_sel:BYTE_1 dst_unused:UNUSED_PAD src0_sel:DWORD src1_sel:BYTE_3
	v_sub_u16_sdwa v126, v128, v126 dst_sel:DWORD dst_unused:UNUSED_PAD src0_sel:WORD_1 src1_sel:WORD_1
	v_or_b32_sdwa v130, v130, v136 dst_sel:DWORD dst_unused:UNUSED_PAD src0_sel:BYTE_0 src1_sel:DWORD
	v_or_b32_sdwa v124, v126, v124 dst_sel:WORD_1 dst_unused:UNUSED_PAD src0_sel:BYTE_0 src1_sel:DWORD
	v_ashrrev_i32_e32 v127, s22, v127
	v_or_b32_sdwa v126, v130, v124 dst_sel:DWORD dst_unused:UNUSED_PAD src0_sel:WORD_0 src1_sel:DWORD
	v_ashrrev_i32_e32 v124, s3, v125
	v_lshlrev_b32_e32 v127, 2, v127
	v_and_b32_e32 v125, 0x3030303, v124
	v_bfe_u32 v124, v124, 24, 2
	v_and_b32_e32 v127, 0x4040404, v127
	v_sub_u16_e32 v128, v125, v127
	v_sub_u16_sdwa v130, v125, v127 dst_sel:BYTE_1 dst_unused:UNUSED_PAD src0_sel:BYTE_1 src1_sel:BYTE_1
	v_sub_u16_sdwa v124, v124, v127 dst_sel:BYTE_1 dst_unused:UNUSED_PAD src0_sel:DWORD src1_sel:BYTE_3
	v_sub_u16_sdwa v125, v125, v127 dst_sel:DWORD dst_unused:UNUSED_PAD src0_sel:WORD_1 src1_sel:WORD_1
	v_or_b32_sdwa v128, v128, v130 dst_sel:DWORD dst_unused:UNUSED_PAD src0_sel:BYTE_0 src1_sel:DWORD
	v_or_b32_sdwa v124, v125, v124 dst_sel:WORD_1 dst_unused:UNUSED_PAD src0_sel:BYTE_0 src1_sel:DWORD
	v_or_b32_sdwa v125, v128, v124 dst_sel:DWORD dst_unused:UNUSED_PAD src0_sel:WORD_0 src1_sel:DWORD
	v_add3_u32 v124, v81, s34, v123
	v_add_u32_e32 v127, s37, v41
	ds_read_b32 v127, v127
	ds_read_u16 v124, v124
	v_mov_b32_e32 v128, 0
	v_dot4c_i32_i8_e32 v128, v129, v6
	v_dot4c_i32_i8_e32 v128, v131, v7
	;; [unrolled: 1-line block ×4, first 2 shown]
	s_waitcnt lgkmcnt(0)
	v_lshrrev_b16_e32 v129, 8, v124
	v_bfe_i32 v124, v124, 0, 8
	v_add_lshl_u32 v130, v43, s35, 2
	v_mul_lo_u32 v124, v128, v124
	v_mov_b32_e32 v128, 0
	v_dot4c_i32_i8_e32 v128, v134, v2
	v_dot4c_i32_i8_e32 v128, v135, v3
	;; [unrolled: 1-line block ×4, first 2 shown]
	v_bfe_i32 v125, v129, 0, 8
	v_add_u32_e32 v126, 0x4200, v130
	s_nop 0
	v_mad_u64_u32 v[124:125], s[38:39], v128, v125, v[124:125]
	v_cvt_f32_i32_e32 v124, v124
	v_mul_f32_e32 v125, v122, v127
	v_add_u32_e32 v128, s36, v45
	ds_read2_b32 v[126:127], v126 offset1:1
	v_fmac_f32_e32 v63, v125, v124
	ds_read2_b32 v[124:125], v128 offset1:1
	s_waitcnt lgkmcnt(1)
	v_ashrrev_i32_e32 v126, s22, v126
	v_lshlrev_b32_e32 v126, 2, v126
	s_waitcnt lgkmcnt(0)
	v_ashrrev_i32_e32 v124, s3, v124
	v_and_b32_e32 v129, 0x3030303, v124
	v_bfe_u32 v124, v124, 24, 2
	v_and_b32_e32 v126, 0x4040404, v126
	v_sub_u16_e32 v131, v129, v126
	v_sub_u16_sdwa v132, v129, v126 dst_sel:BYTE_1 dst_unused:UNUSED_PAD src0_sel:BYTE_1 src1_sel:BYTE_1
	v_sub_u16_sdwa v124, v124, v126 dst_sel:BYTE_1 dst_unused:UNUSED_PAD src0_sel:DWORD src1_sel:BYTE_3
	v_sub_u16_sdwa v126, v129, v126 dst_sel:DWORD dst_unused:UNUSED_PAD src0_sel:WORD_1 src1_sel:WORD_1
	v_or_b32_sdwa v131, v131, v132 dst_sel:DWORD dst_unused:UNUSED_PAD src0_sel:BYTE_0 src1_sel:DWORD
	v_or_b32_sdwa v124, v126, v124 dst_sel:WORD_1 dst_unused:UNUSED_PAD src0_sel:BYTE_0 src1_sel:DWORD
	v_ashrrev_i32_e32 v126, s22, v127
	v_or_b32_sdwa v129, v131, v124 dst_sel:DWORD dst_unused:UNUSED_PAD src0_sel:WORD_0 src1_sel:DWORD
	v_ashrrev_i32_e32 v124, s3, v125
	v_lshlrev_b32_e32 v126, 2, v126
	v_and_b32_e32 v125, 0x3030303, v124
	v_bfe_u32 v124, v124, 24, 2
	v_and_b32_e32 v126, 0x4040404, v126
	v_sub_u16_e32 v127, v125, v126
	v_sub_u16_sdwa v131, v125, v126 dst_sel:BYTE_1 dst_unused:UNUSED_PAD src0_sel:BYTE_1 src1_sel:BYTE_1
	v_sub_u16_sdwa v124, v124, v126 dst_sel:BYTE_1 dst_unused:UNUSED_PAD src0_sel:DWORD src1_sel:BYTE_3
	v_sub_u16_sdwa v125, v125, v126 dst_sel:DWORD dst_unused:UNUSED_PAD src0_sel:WORD_1 src1_sel:WORD_1
	v_or_b32_sdwa v127, v127, v131 dst_sel:DWORD dst_unused:UNUSED_PAD src0_sel:BYTE_0 src1_sel:DWORD
	v_or_b32_sdwa v124, v125, v124 dst_sel:WORD_1 dst_unused:UNUSED_PAD src0_sel:BYTE_0 src1_sel:DWORD
	v_add_u32_e32 v126, 0x4208, v130
	v_or_b32_sdwa v131, v127, v124 dst_sel:DWORD dst_unused:UNUSED_PAD src0_sel:WORD_0 src1_sel:DWORD
	ds_read2_b32 v[124:125], v128 offset0:2 offset1:3
	ds_read2_b32 v[126:127], v126 offset1:1
	s_waitcnt lgkmcnt(1)
	v_ashrrev_i32_e32 v124, s3, v124
	s_waitcnt lgkmcnt(0)
	v_ashrrev_i32_e32 v126, s22, v126
	v_lshlrev_b32_e32 v126, 2, v126
	v_and_b32_e32 v132, 0x3030303, v124
	v_bfe_u32 v124, v124, 24, 2
	v_and_b32_e32 v126, 0x4040404, v126
	v_sub_u16_e32 v133, v132, v126
	v_sub_u16_sdwa v134, v132, v126 dst_sel:BYTE_1 dst_unused:UNUSED_PAD src0_sel:BYTE_1 src1_sel:BYTE_1
	v_sub_u16_sdwa v124, v124, v126 dst_sel:BYTE_1 dst_unused:UNUSED_PAD src0_sel:DWORD src1_sel:BYTE_3
	v_sub_u16_sdwa v126, v132, v126 dst_sel:DWORD dst_unused:UNUSED_PAD src0_sel:WORD_1 src1_sel:WORD_1
	v_or_b32_sdwa v133, v133, v134 dst_sel:DWORD dst_unused:UNUSED_PAD src0_sel:BYTE_0 src1_sel:DWORD
	v_or_b32_sdwa v124, v126, v124 dst_sel:WORD_1 dst_unused:UNUSED_PAD src0_sel:BYTE_0 src1_sel:DWORD
	v_ashrrev_i32_e32 v126, s22, v127
	v_or_b32_sdwa v132, v133, v124 dst_sel:DWORD dst_unused:UNUSED_PAD src0_sel:WORD_0 src1_sel:DWORD
	v_ashrrev_i32_e32 v124, s3, v125
	v_lshlrev_b32_e32 v126, 2, v126
	v_and_b32_e32 v125, 0x3030303, v124
	v_bfe_u32 v124, v124, 24, 2
	v_and_b32_e32 v126, 0x4040404, v126
	v_sub_u16_e32 v127, v125, v126
	v_sub_u16_sdwa v133, v125, v126 dst_sel:BYTE_1 dst_unused:UNUSED_PAD src0_sel:BYTE_1 src1_sel:BYTE_1
	v_sub_u16_sdwa v124, v124, v126 dst_sel:BYTE_1 dst_unused:UNUSED_PAD src0_sel:DWORD src1_sel:BYTE_3
	v_sub_u16_sdwa v125, v125, v126 dst_sel:DWORD dst_unused:UNUSED_PAD src0_sel:WORD_1 src1_sel:WORD_1
	v_or_b32_sdwa v127, v127, v133 dst_sel:DWORD dst_unused:UNUSED_PAD src0_sel:BYTE_0 src1_sel:DWORD
	v_or_b32_sdwa v124, v125, v124 dst_sel:WORD_1 dst_unused:UNUSED_PAD src0_sel:BYTE_0 src1_sel:DWORD
	v_add_u32_e32 v126, 0x4210, v130
	v_or_b32_sdwa v133, v127, v124 dst_sel:DWORD dst_unused:UNUSED_PAD src0_sel:WORD_0 src1_sel:DWORD
	ds_read2_b32 v[124:125], v128 offset0:4 offset1:5
	ds_read2_b32 v[126:127], v126 offset1:1
	s_waitcnt lgkmcnt(1)
	v_ashrrev_i32_e32 v124, s3, v124
	s_waitcnt lgkmcnt(0)
	v_ashrrev_i32_e32 v126, s22, v126
	v_lshlrev_b32_e32 v126, 2, v126
	;; [unrolled: 31-line block ×3, first 2 shown]
	v_and_b32_e32 v128, 0x3030303, v124
	v_bfe_u32 v124, v124, 24, 2
	v_and_b32_e32 v126, 0x4040404, v126
	v_sub_u16_e32 v130, v128, v126
	v_sub_u16_sdwa v136, v128, v126 dst_sel:BYTE_1 dst_unused:UNUSED_PAD src0_sel:BYTE_1 src1_sel:BYTE_1
	v_sub_u16_sdwa v124, v124, v126 dst_sel:BYTE_1 dst_unused:UNUSED_PAD src0_sel:DWORD src1_sel:BYTE_3
	v_sub_u16_sdwa v126, v128, v126 dst_sel:DWORD dst_unused:UNUSED_PAD src0_sel:WORD_1 src1_sel:WORD_1
	v_or_b32_sdwa v130, v130, v136 dst_sel:DWORD dst_unused:UNUSED_PAD src0_sel:BYTE_0 src1_sel:DWORD
	v_or_b32_sdwa v124, v126, v124 dst_sel:WORD_1 dst_unused:UNUSED_PAD src0_sel:BYTE_0 src1_sel:DWORD
	v_ashrrev_i32_e32 v127, s22, v127
	v_or_b32_sdwa v126, v130, v124 dst_sel:DWORD dst_unused:UNUSED_PAD src0_sel:WORD_0 src1_sel:DWORD
	v_ashrrev_i32_e32 v124, s3, v125
	v_lshlrev_b32_e32 v127, 2, v127
	v_and_b32_e32 v125, 0x3030303, v124
	v_bfe_u32 v124, v124, 24, 2
	v_and_b32_e32 v127, 0x4040404, v127
	v_sub_u16_e32 v128, v125, v127
	v_sub_u16_sdwa v130, v125, v127 dst_sel:BYTE_1 dst_unused:UNUSED_PAD src0_sel:BYTE_1 src1_sel:BYTE_1
	v_sub_u16_sdwa v124, v124, v127 dst_sel:BYTE_1 dst_unused:UNUSED_PAD src0_sel:DWORD src1_sel:BYTE_3
	v_sub_u16_sdwa v125, v125, v127 dst_sel:DWORD dst_unused:UNUSED_PAD src0_sel:WORD_1 src1_sel:WORD_1
	v_or_b32_sdwa v128, v128, v130 dst_sel:DWORD dst_unused:UNUSED_PAD src0_sel:BYTE_0 src1_sel:DWORD
	v_or_b32_sdwa v124, v125, v124 dst_sel:WORD_1 dst_unused:UNUSED_PAD src0_sel:BYTE_0 src1_sel:DWORD
	v_or_b32_sdwa v125, v128, v124 dst_sel:DWORD dst_unused:UNUSED_PAD src0_sel:WORD_0 src1_sel:DWORD
	v_add3_u32 v124, v79, s34, v123
	v_add_u32_e32 v127, s37, v47
	ds_read_b32 v127, v127
	ds_read_u16 v124, v124
	v_mov_b32_e32 v128, 0
	v_dot4c_i32_i8_e32 v128, v129, v6
	v_dot4c_i32_i8_e32 v128, v131, v7
	;; [unrolled: 1-line block ×4, first 2 shown]
	s_waitcnt lgkmcnt(0)
	v_lshrrev_b16_e32 v129, 8, v124
	v_bfe_i32 v124, v124, 0, 8
	v_add_lshl_u32 v130, v49, s35, 2
	v_mul_lo_u32 v124, v128, v124
	v_mov_b32_e32 v128, 0
	v_dot4c_i32_i8_e32 v128, v134, v2
	v_dot4c_i32_i8_e32 v128, v135, v3
	;; [unrolled: 1-line block ×4, first 2 shown]
	v_bfe_i32 v125, v129, 0, 8
	v_add_u32_e32 v126, 0x4200, v130
	v_add3_u32 v123, v77, s34, v123
	v_mad_u64_u32 v[124:125], s[38:39], v128, v125, v[124:125]
	v_cvt_f32_i32_e32 v124, v124
	v_mul_f32_e32 v125, v122, v127
	v_add_u32_e32 v128, s36, v51
	ds_read2_b32 v[126:127], v126 offset1:1
	v_fmac_f32_e32 v53, v125, v124
	ds_read2_b32 v[124:125], v128 offset1:1
	s_waitcnt lgkmcnt(1)
	v_ashrrev_i32_e32 v126, s22, v126
	v_lshlrev_b32_e32 v126, 2, v126
	s_waitcnt lgkmcnt(0)
	v_ashrrev_i32_e32 v124, s3, v124
	v_and_b32_e32 v129, 0x3030303, v124
	v_bfe_u32 v124, v124, 24, 2
	v_and_b32_e32 v126, 0x4040404, v126
	v_sub_u16_e32 v131, v129, v126
	v_sub_u16_sdwa v132, v129, v126 dst_sel:BYTE_1 dst_unused:UNUSED_PAD src0_sel:BYTE_1 src1_sel:BYTE_1
	v_sub_u16_sdwa v124, v124, v126 dst_sel:BYTE_1 dst_unused:UNUSED_PAD src0_sel:DWORD src1_sel:BYTE_3
	v_sub_u16_sdwa v126, v129, v126 dst_sel:DWORD dst_unused:UNUSED_PAD src0_sel:WORD_1 src1_sel:WORD_1
	v_or_b32_sdwa v131, v131, v132 dst_sel:DWORD dst_unused:UNUSED_PAD src0_sel:BYTE_0 src1_sel:DWORD
	v_or_b32_sdwa v124, v126, v124 dst_sel:WORD_1 dst_unused:UNUSED_PAD src0_sel:BYTE_0 src1_sel:DWORD
	v_ashrrev_i32_e32 v126, s22, v127
	v_or_b32_sdwa v129, v131, v124 dst_sel:DWORD dst_unused:UNUSED_PAD src0_sel:WORD_0 src1_sel:DWORD
	v_ashrrev_i32_e32 v124, s3, v125
	v_lshlrev_b32_e32 v126, 2, v126
	v_and_b32_e32 v125, 0x3030303, v124
	v_bfe_u32 v124, v124, 24, 2
	v_and_b32_e32 v126, 0x4040404, v126
	v_sub_u16_e32 v127, v125, v126
	v_sub_u16_sdwa v131, v125, v126 dst_sel:BYTE_1 dst_unused:UNUSED_PAD src0_sel:BYTE_1 src1_sel:BYTE_1
	v_sub_u16_sdwa v124, v124, v126 dst_sel:BYTE_1 dst_unused:UNUSED_PAD src0_sel:DWORD src1_sel:BYTE_3
	v_sub_u16_sdwa v125, v125, v126 dst_sel:DWORD dst_unused:UNUSED_PAD src0_sel:WORD_1 src1_sel:WORD_1
	v_or_b32_sdwa v127, v127, v131 dst_sel:DWORD dst_unused:UNUSED_PAD src0_sel:BYTE_0 src1_sel:DWORD
	v_or_b32_sdwa v124, v125, v124 dst_sel:WORD_1 dst_unused:UNUSED_PAD src0_sel:BYTE_0 src1_sel:DWORD
	v_add_u32_e32 v126, 0x4208, v130
	v_or_b32_sdwa v131, v127, v124 dst_sel:DWORD dst_unused:UNUSED_PAD src0_sel:WORD_0 src1_sel:DWORD
	ds_read2_b32 v[124:125], v128 offset0:2 offset1:3
	ds_read2_b32 v[126:127], v126 offset1:1
	s_waitcnt lgkmcnt(1)
	v_ashrrev_i32_e32 v124, s3, v124
	s_waitcnt lgkmcnt(0)
	v_ashrrev_i32_e32 v126, s22, v126
	v_lshlrev_b32_e32 v126, 2, v126
	v_and_b32_e32 v132, 0x3030303, v124
	v_bfe_u32 v124, v124, 24, 2
	v_and_b32_e32 v126, 0x4040404, v126
	v_sub_u16_e32 v133, v132, v126
	v_sub_u16_sdwa v134, v132, v126 dst_sel:BYTE_1 dst_unused:UNUSED_PAD src0_sel:BYTE_1 src1_sel:BYTE_1
	v_sub_u16_sdwa v124, v124, v126 dst_sel:BYTE_1 dst_unused:UNUSED_PAD src0_sel:DWORD src1_sel:BYTE_3
	v_sub_u16_sdwa v126, v132, v126 dst_sel:DWORD dst_unused:UNUSED_PAD src0_sel:WORD_1 src1_sel:WORD_1
	v_or_b32_sdwa v133, v133, v134 dst_sel:DWORD dst_unused:UNUSED_PAD src0_sel:BYTE_0 src1_sel:DWORD
	v_or_b32_sdwa v124, v126, v124 dst_sel:WORD_1 dst_unused:UNUSED_PAD src0_sel:BYTE_0 src1_sel:DWORD
	v_ashrrev_i32_e32 v126, s22, v127
	v_or_b32_sdwa v132, v133, v124 dst_sel:DWORD dst_unused:UNUSED_PAD src0_sel:WORD_0 src1_sel:DWORD
	v_ashrrev_i32_e32 v124, s3, v125
	v_lshlrev_b32_e32 v126, 2, v126
	v_and_b32_e32 v125, 0x3030303, v124
	v_bfe_u32 v124, v124, 24, 2
	v_and_b32_e32 v126, 0x4040404, v126
	v_sub_u16_e32 v127, v125, v126
	v_sub_u16_sdwa v133, v125, v126 dst_sel:BYTE_1 dst_unused:UNUSED_PAD src0_sel:BYTE_1 src1_sel:BYTE_1
	v_sub_u16_sdwa v124, v124, v126 dst_sel:BYTE_1 dst_unused:UNUSED_PAD src0_sel:DWORD src1_sel:BYTE_3
	v_sub_u16_sdwa v125, v125, v126 dst_sel:DWORD dst_unused:UNUSED_PAD src0_sel:WORD_1 src1_sel:WORD_1
	v_or_b32_sdwa v127, v127, v133 dst_sel:DWORD dst_unused:UNUSED_PAD src0_sel:BYTE_0 src1_sel:DWORD
	v_or_b32_sdwa v124, v125, v124 dst_sel:WORD_1 dst_unused:UNUSED_PAD src0_sel:BYTE_0 src1_sel:DWORD
	v_add_u32_e32 v126, 0x4210, v130
	v_or_b32_sdwa v133, v127, v124 dst_sel:DWORD dst_unused:UNUSED_PAD src0_sel:WORD_0 src1_sel:DWORD
	ds_read2_b32 v[124:125], v128 offset0:4 offset1:5
	ds_read2_b32 v[126:127], v126 offset1:1
	s_waitcnt lgkmcnt(1)
	v_ashrrev_i32_e32 v124, s3, v124
	s_waitcnt lgkmcnt(0)
	v_ashrrev_i32_e32 v126, s22, v126
	v_lshlrev_b32_e32 v126, 2, v126
	;; [unrolled: 31-line block ×3, first 2 shown]
	v_and_b32_e32 v128, 0x3030303, v124
	v_bfe_u32 v124, v124, 24, 2
	v_and_b32_e32 v126, 0x4040404, v126
	v_ashrrev_i32_e32 v127, s22, v127
	v_sub_u16_e32 v130, v128, v126
	v_sub_u16_sdwa v136, v128, v126 dst_sel:BYTE_1 dst_unused:UNUSED_PAD src0_sel:BYTE_1 src1_sel:BYTE_1
	v_sub_u16_sdwa v124, v124, v126 dst_sel:BYTE_1 dst_unused:UNUSED_PAD src0_sel:DWORD src1_sel:BYTE_3
	v_sub_u16_sdwa v126, v128, v126 dst_sel:DWORD dst_unused:UNUSED_PAD src0_sel:WORD_1 src1_sel:WORD_1
	v_ashrrev_i32_e32 v125, s3, v125
	v_lshlrev_b32_e32 v127, 2, v127
	v_or_b32_sdwa v130, v130, v136 dst_sel:DWORD dst_unused:UNUSED_PAD src0_sel:BYTE_0 src1_sel:DWORD
	v_or_b32_sdwa v124, v126, v124 dst_sel:WORD_1 dst_unused:UNUSED_PAD src0_sel:BYTE_0 src1_sel:DWORD
	v_and_b32_e32 v126, 0x3030303, v125
	v_bfe_u32 v125, v125, 24, 2
	v_and_b32_e32 v127, 0x4040404, v127
	v_or_b32_sdwa v124, v130, v124 dst_sel:DWORD dst_unused:UNUSED_PAD src0_sel:WORD_0 src1_sel:DWORD
	v_sub_u16_e32 v128, v126, v127
	v_sub_u16_sdwa v130, v126, v127 dst_sel:BYTE_1 dst_unused:UNUSED_PAD src0_sel:BYTE_1 src1_sel:BYTE_1
	v_sub_u16_sdwa v125, v125, v127 dst_sel:BYTE_1 dst_unused:UNUSED_PAD src0_sel:DWORD src1_sel:BYTE_3
	v_sub_u16_sdwa v126, v126, v127 dst_sel:DWORD dst_unused:UNUSED_PAD src0_sel:WORD_1 src1_sel:WORD_1
	v_or_b32_sdwa v125, v126, v125 dst_sel:WORD_1 dst_unused:UNUSED_PAD src0_sel:BYTE_0 src1_sel:DWORD
	v_add_u32_e32 v126, s37, v55
	v_mov_b32_e32 v127, 0
	ds_read_b32 v126, v126
	v_dot4c_i32_i8_e32 v127, v129, v6
	ds_read_u16 v6, v123
	v_dot4c_i32_i8_e32 v127, v131, v7
	v_dot4c_i32_i8_e32 v127, v132, v8
	v_mov_b32_e32 v8, 0
	v_dot4c_i32_i8_e32 v8, v134, v2
	v_or_b32_sdwa v128, v128, v130 dst_sel:DWORD dst_unused:UNUSED_PAD src0_sel:BYTE_0 src1_sel:DWORD
	v_dot4c_i32_i8_e32 v8, v135, v3
	v_or_b32_sdwa v125, v128, v125 dst_sel:DWORD dst_unused:UNUSED_PAD src0_sel:WORD_0 src1_sel:DWORD
	v_dot4c_i32_i8_e32 v127, v133, v9
	s_waitcnt lgkmcnt(0)
	v_lshrrev_b16_e32 v7, 8, v6
	v_bfe_i32 v6, v6, 0, 8
	v_dot4c_i32_i8_e32 v8, v124, v4
	v_mul_lo_u32 v6, v127, v6
	v_dot4c_i32_i8_e32 v8, v125, v5
	v_bfe_i32 v2, v7, 0, 8
	s_add_i32 s3, s3, 2
	s_add_i32 s22, s22, 1
	v_mad_u64_u32 v[2:3], s[34:35], v8, v2, v[6:7]
	v_cvt_f32_i32_e32 v2, v2
	v_mul_f32_e32 v3, v122, v126
	s_cmp_lt_u32 s23, 14
	v_fmac_f32_e32 v11, v3, v2
	s_cbranch_scc1 .LBB190_20
; %bb.21:                               ;   in Loop: Header=BB190_5 Depth=1
	s_or_b32 s2, s33, 0x100
	s_cmp_ge_i32 s2, s9
	s_barrier
	s_cbranch_scc1 .LBB190_4
; %bb.22:                               ;   in Loop: Header=BB190_5 Depth=1
	v_add_u32_e32 v2, s31, v59
	v_cmp_gt_i32_e64 s[2:3], s12, v2
	s_and_b64 s[22:23], s[0:1], s[2:3]
	s_and_saveexec_b64 s[2:3], s[22:23]
	s_cbranch_execz .LBB190_24
; %bb.23:                               ;   in Loop: Header=BB190_5 Depth=1
	v_add_u32_e32 v2, v116, v2
	v_mad_i64_i32 v[2:3], s[22:23], v2, 36, v[114:115]
	global_load_dword v2, v[2:3], off offset:4
	s_waitcnt vmcnt(0)
	ds_write_b32 v25, v2
.LBB190_24:                             ;   in Loop: Header=BB190_5 Depth=1
	s_or_b64 exec, exec, s[2:3]
	s_and_saveexec_b64 s[22:23], vcc
	s_cbranch_execz .LBB190_27
; %bb.25:                               ;   in Loop: Header=BB190_5 Depth=1
	v_or_b32_e32 v2, s31, v19
	v_or_b32_e32 v3, 8, v2
	v_cmp_gt_i32_e64 s[2:3], s12, v3
	s_and_b64 s[2:3], s[0:1], s[2:3]
	s_and_b64 exec, exec, s[2:3]
	s_cbranch_execz .LBB190_27
; %bb.26:                               ;   in Loop: Header=BB190_5 Depth=1
	v_ashrrev_i32_e32 v3, 31, v2
	v_add_co_u32_e64 v2, s[2:3], v116, v2
	v_addc_co_u32_e64 v4, s[2:3], v1, v3, s[2:3]
	v_mad_u64_u32 v[2:3], s[2:3], v2, 36, s[18:19]
	v_mad_i32_i24 v3, v4, 36, v3
	global_load_dword v2, v[2:3], off
	s_waitcnt vmcnt(0)
	v_cvt_f32_f16_e32 v2, v2
	ds_write_b32 v27, v2
.LBB190_27:                             ;   in Loop: Header=BB190_5 Depth=1
	s_or_b64 exec, exec, s[22:23]
	s_mov_b32 s2, 16
	s_mov_b32 s35, 14
	;; [unrolled: 1-line block ×3, first 2 shown]
	v_mov_b32_e32 v120, v73
	v_mov_b32_e32 v121, v75
	s_waitcnt lgkmcnt(0)
	s_barrier
.LBB190_28:                             ;   Parent Loop BB190_5 Depth=1
                                        ; =>  This Inner Loop Header: Depth=2
	s_add_i32 s22, s35, 2
	s_lshr_b32 s38, s22, 4
	s_and_b32 s36, s22, 0x3ffffff8
	s_lshl_b32 s34, s38, 3
	s_lshl_b32 s36, s36, 2
	v_add_lshl_u32 v129, v31, s34, 2
	v_add_u32_e32 v123, s36, v33
	v_add_u32_e32 v126, 0x4200, v129
	ds_read_b32 v122, v121
	ds_read_b128 v[6:9], v120
	ds_read_b128 v[2:5], v120 offset:16
	ds_read2_b32 v[124:125], v123 offset1:1
	ds_read2_b32 v[126:127], v126 offset1:1
	s_add_i32 s23, s35, -14
	s_and_b32 s37, s2, -16
	s_add_i32 s35, s35, s37
	s_waitcnt lgkmcnt(1)
	v_ashrrev_i32_e32 v124, s23, v124
	s_waitcnt lgkmcnt(0)
	v_ashrrev_i32_e32 v126, s3, v126
	v_lshlrev_b32_e32 v126, 2, v126
	v_and_b32_e32 v128, 0x3030303, v124
	v_bfe_u32 v124, v124, 24, 2
	v_and_b32_e32 v126, 0x4040404, v126
	v_sub_u16_e32 v130, v128, v126
	v_sub_u16_sdwa v131, v128, v126 dst_sel:BYTE_1 dst_unused:UNUSED_PAD src0_sel:BYTE_1 src1_sel:BYTE_1
	v_sub_u16_sdwa v124, v124, v126 dst_sel:BYTE_1 dst_unused:UNUSED_PAD src0_sel:DWORD src1_sel:BYTE_3
	v_sub_u16_sdwa v126, v128, v126 dst_sel:DWORD dst_unused:UNUSED_PAD src0_sel:WORD_1 src1_sel:WORD_1
	v_or_b32_sdwa v130, v130, v131 dst_sel:DWORD dst_unused:UNUSED_PAD src0_sel:BYTE_0 src1_sel:DWORD
	v_or_b32_sdwa v124, v126, v124 dst_sel:WORD_1 dst_unused:UNUSED_PAD src0_sel:BYTE_0 src1_sel:DWORD
	v_ashrrev_i32_e32 v126, s3, v127
	v_or_b32_sdwa v128, v130, v124 dst_sel:DWORD dst_unused:UNUSED_PAD src0_sel:WORD_0 src1_sel:DWORD
	v_ashrrev_i32_e32 v124, s23, v125
	v_lshlrev_b32_e32 v126, 2, v126
	v_and_b32_e32 v125, 0x3030303, v124
	v_bfe_u32 v124, v124, 24, 2
	v_and_b32_e32 v126, 0x4040404, v126
	v_sub_u16_e32 v127, v125, v126
	v_sub_u16_sdwa v130, v125, v126 dst_sel:BYTE_1 dst_unused:UNUSED_PAD src0_sel:BYTE_1 src1_sel:BYTE_1
	v_sub_u16_sdwa v124, v124, v126 dst_sel:BYTE_1 dst_unused:UNUSED_PAD src0_sel:DWORD src1_sel:BYTE_3
	v_sub_u16_sdwa v125, v125, v126 dst_sel:DWORD dst_unused:UNUSED_PAD src0_sel:WORD_1 src1_sel:WORD_1
	v_or_b32_sdwa v127, v127, v130 dst_sel:DWORD dst_unused:UNUSED_PAD src0_sel:BYTE_0 src1_sel:DWORD
	v_or_b32_sdwa v124, v125, v124 dst_sel:WORD_1 dst_unused:UNUSED_PAD src0_sel:BYTE_0 src1_sel:DWORD
	v_add_u32_e32 v126, 0x4208, v129
	v_or_b32_sdwa v130, v127, v124 dst_sel:DWORD dst_unused:UNUSED_PAD src0_sel:WORD_0 src1_sel:DWORD
	ds_read2_b32 v[124:125], v123 offset0:2 offset1:3
	ds_read2_b32 v[126:127], v126 offset1:1
	s_lshl_b32 s37, s38, 2
	s_add_i32 s2, s2, 2
	v_add_u32_e32 v121, 4, v121
	s_waitcnt lgkmcnt(1)
	v_ashrrev_i32_e32 v124, s23, v124
	s_waitcnt lgkmcnt(0)
	v_ashrrev_i32_e32 v126, s3, v126
	v_lshlrev_b32_e32 v126, 2, v126
	v_and_b32_e32 v131, 0x3030303, v124
	v_bfe_u32 v124, v124, 24, 2
	v_and_b32_e32 v126, 0x4040404, v126
	v_sub_u16_e32 v132, v131, v126
	v_sub_u16_sdwa v133, v131, v126 dst_sel:BYTE_1 dst_unused:UNUSED_PAD src0_sel:BYTE_1 src1_sel:BYTE_1
	v_sub_u16_sdwa v124, v124, v126 dst_sel:BYTE_1 dst_unused:UNUSED_PAD src0_sel:DWORD src1_sel:BYTE_3
	v_sub_u16_sdwa v126, v131, v126 dst_sel:DWORD dst_unused:UNUSED_PAD src0_sel:WORD_1 src1_sel:WORD_1
	v_or_b32_sdwa v132, v132, v133 dst_sel:DWORD dst_unused:UNUSED_PAD src0_sel:BYTE_0 src1_sel:DWORD
	v_or_b32_sdwa v124, v126, v124 dst_sel:WORD_1 dst_unused:UNUSED_PAD src0_sel:BYTE_0 src1_sel:DWORD
	v_ashrrev_i32_e32 v126, s3, v127
	v_or_b32_sdwa v131, v132, v124 dst_sel:DWORD dst_unused:UNUSED_PAD src0_sel:WORD_0 src1_sel:DWORD
	v_ashrrev_i32_e32 v124, s23, v125
	v_lshlrev_b32_e32 v126, 2, v126
	v_and_b32_e32 v125, 0x3030303, v124
	v_bfe_u32 v124, v124, 24, 2
	v_and_b32_e32 v126, 0x4040404, v126
	v_sub_u16_e32 v127, v125, v126
	v_sub_u16_sdwa v132, v125, v126 dst_sel:BYTE_1 dst_unused:UNUSED_PAD src0_sel:BYTE_1 src1_sel:BYTE_1
	v_sub_u16_sdwa v124, v124, v126 dst_sel:BYTE_1 dst_unused:UNUSED_PAD src0_sel:DWORD src1_sel:BYTE_3
	v_sub_u16_sdwa v125, v125, v126 dst_sel:DWORD dst_unused:UNUSED_PAD src0_sel:WORD_1 src1_sel:WORD_1
	v_or_b32_sdwa v127, v127, v132 dst_sel:DWORD dst_unused:UNUSED_PAD src0_sel:BYTE_0 src1_sel:DWORD
	v_or_b32_sdwa v124, v125, v124 dst_sel:WORD_1 dst_unused:UNUSED_PAD src0_sel:BYTE_0 src1_sel:DWORD
	v_add_u32_e32 v126, 0x4210, v129
	v_or_b32_sdwa v132, v127, v124 dst_sel:DWORD dst_unused:UNUSED_PAD src0_sel:WORD_0 src1_sel:DWORD
	ds_read2_b32 v[124:125], v123 offset0:4 offset1:5
	ds_read2_b32 v[126:127], v126 offset1:1
	v_add_u32_e32 v120, 32, v120
	s_waitcnt lgkmcnt(1)
	v_ashrrev_i32_e32 v124, s23, v124
	s_waitcnt lgkmcnt(0)
	v_ashrrev_i32_e32 v126, s3, v126
	v_lshlrev_b32_e32 v126, 2, v126
	v_and_b32_e32 v133, 0x3030303, v124
	v_bfe_u32 v124, v124, 24, 2
	v_and_b32_e32 v126, 0x4040404, v126
	v_sub_u16_e32 v134, v133, v126
	v_sub_u16_sdwa v135, v133, v126 dst_sel:BYTE_1 dst_unused:UNUSED_PAD src0_sel:BYTE_1 src1_sel:BYTE_1
	v_sub_u16_sdwa v124, v124, v126 dst_sel:BYTE_1 dst_unused:UNUSED_PAD src0_sel:DWORD src1_sel:BYTE_3
	v_sub_u16_sdwa v126, v133, v126 dst_sel:DWORD dst_unused:UNUSED_PAD src0_sel:WORD_1 src1_sel:WORD_1
	v_or_b32_sdwa v134, v134, v135 dst_sel:DWORD dst_unused:UNUSED_PAD src0_sel:BYTE_0 src1_sel:DWORD
	v_or_b32_sdwa v124, v126, v124 dst_sel:WORD_1 dst_unused:UNUSED_PAD src0_sel:BYTE_0 src1_sel:DWORD
	v_ashrrev_i32_e32 v126, s3, v127
	v_or_b32_sdwa v133, v134, v124 dst_sel:DWORD dst_unused:UNUSED_PAD src0_sel:WORD_0 src1_sel:DWORD
	v_ashrrev_i32_e32 v124, s23, v125
	v_lshlrev_b32_e32 v126, 2, v126
	v_and_b32_e32 v125, 0x3030303, v124
	v_bfe_u32 v124, v124, 24, 2
	v_and_b32_e32 v126, 0x4040404, v126
	v_sub_u16_e32 v127, v125, v126
	v_sub_u16_sdwa v134, v125, v126 dst_sel:BYTE_1 dst_unused:UNUSED_PAD src0_sel:BYTE_1 src1_sel:BYTE_1
	v_sub_u16_sdwa v124, v124, v126 dst_sel:BYTE_1 dst_unused:UNUSED_PAD src0_sel:DWORD src1_sel:BYTE_3
	v_sub_u16_sdwa v125, v125, v126 dst_sel:DWORD dst_unused:UNUSED_PAD src0_sel:WORD_1 src1_sel:WORD_1
	v_or_b32_sdwa v127, v127, v134 dst_sel:DWORD dst_unused:UNUSED_PAD src0_sel:BYTE_0 src1_sel:DWORD
	v_or_b32_sdwa v124, v125, v124 dst_sel:WORD_1 dst_unused:UNUSED_PAD src0_sel:BYTE_0 src1_sel:DWORD
	v_add_u32_e32 v126, 0x4218, v129
	v_or_b32_sdwa v134, v127, v124 dst_sel:DWORD dst_unused:UNUSED_PAD src0_sel:WORD_0 src1_sel:DWORD
	ds_read2_b32 v[124:125], v123 offset0:6 offset1:7
	ds_read2_b32 v[126:127], v126 offset1:1
	s_waitcnt lgkmcnt(1)
	v_ashrrev_i32_e32 v123, s23, v124
	s_waitcnt lgkmcnt(0)
	v_ashrrev_i32_e32 v126, s3, v126
	v_lshlrev_b32_e32 v126, 2, v126
	v_and_b32_e32 v124, 0x3030303, v123
	v_bfe_u32 v123, v123, 24, 2
	v_and_b32_e32 v126, 0x4040404, v126
	v_sub_u16_e32 v129, v124, v126
	v_sub_u16_sdwa v135, v124, v126 dst_sel:BYTE_1 dst_unused:UNUSED_PAD src0_sel:BYTE_1 src1_sel:BYTE_1
	v_sub_u16_sdwa v123, v123, v126 dst_sel:BYTE_1 dst_unused:UNUSED_PAD src0_sel:DWORD src1_sel:BYTE_3
	v_sub_u16_sdwa v124, v124, v126 dst_sel:DWORD dst_unused:UNUSED_PAD src0_sel:WORD_1 src1_sel:WORD_1
	v_ashrrev_i32_e32 v126, s3, v127
	v_or_b32_sdwa v123, v124, v123 dst_sel:WORD_1 dst_unused:UNUSED_PAD src0_sel:BYTE_0 src1_sel:DWORD
	v_ashrrev_i32_e32 v124, s23, v125
	v_lshlrev_b32_e32 v126, 2, v126
	v_or_b32_sdwa v129, v129, v135 dst_sel:DWORD dst_unused:UNUSED_PAD src0_sel:BYTE_0 src1_sel:DWORD
	v_and_b32_e32 v125, 0x3030303, v124
	v_bfe_u32 v124, v124, 24, 2
	v_and_b32_e32 v126, 0x4040404, v126
	v_or_b32_sdwa v123, v129, v123 dst_sel:DWORD dst_unused:UNUSED_PAD src0_sel:WORD_0 src1_sel:DWORD
	v_sub_u16_e32 v127, v125, v126
	v_sub_u16_sdwa v129, v125, v126 dst_sel:BYTE_1 dst_unused:UNUSED_PAD src0_sel:BYTE_1 src1_sel:BYTE_1
	v_sub_u16_sdwa v124, v124, v126 dst_sel:BYTE_1 dst_unused:UNUSED_PAD src0_sel:DWORD src1_sel:BYTE_3
	v_sub_u16_sdwa v125, v125, v126 dst_sel:DWORD dst_unused:UNUSED_PAD src0_sel:WORD_1 src1_sel:WORD_1
	v_or_b32_sdwa v127, v127, v129 dst_sel:DWORD dst_unused:UNUSED_PAD src0_sel:BYTE_0 src1_sel:DWORD
	v_or_b32_sdwa v124, v125, v124 dst_sel:WORD_1 dst_unused:UNUSED_PAD src0_sel:BYTE_0 src1_sel:DWORD
	v_or_b32_sdwa v125, v127, v124 dst_sel:DWORD dst_unused:UNUSED_PAD src0_sel:WORD_0 src1_sel:DWORD
	v_add_u32_e32 v124, s35, v91
	v_add_u32_e32 v126, s37, v35
	ds_read_b32 v126, v126
	ds_read_u16 v124, v124 offset:25330
	v_mov_b32_e32 v127, 0
	v_dot4c_i32_i8_e32 v127, v128, v6
	v_dot4c_i32_i8_e32 v127, v130, v7
	;; [unrolled: 1-line block ×4, first 2 shown]
	s_waitcnt lgkmcnt(0)
	v_lshrrev_b16_e32 v128, 8, v124
	v_bfe_i32 v124, v124, 0, 8
	v_add_lshl_u32 v129, v37, s34, 2
	v_mul_lo_u32 v124, v127, v124
	v_mov_b32_e32 v127, 0
	v_dot4c_i32_i8_e32 v127, v133, v2
	v_dot4c_i32_i8_e32 v127, v134, v3
	;; [unrolled: 1-line block ×4, first 2 shown]
	v_bfe_i32 v123, v128, 0, 8
                                        ; kill: def $vgpr125 killed $sgpr0 killed $exec
	s_nop 1
	v_mad_u64_u32 v[124:125], s[38:39], v127, v123, v[124:125]
	v_cvt_f32_i32_e32 v124, v124
	v_mul_f32_e32 v123, v122, v126
	v_add_u32_e32 v126, 0x4200, v129
	ds_read2_b32 v[126:127], v126 offset1:1
	v_fmac_f32_e32 v15, v123, v124
	v_add_u32_e32 v123, s36, v39
	ds_read2_b32 v[124:125], v123 offset1:1
	s_waitcnt lgkmcnt(1)
	v_ashrrev_i32_e32 v126, s3, v126
	v_lshlrev_b32_e32 v126, 2, v126
	v_and_b32_e32 v126, 0x4040404, v126
	s_waitcnt lgkmcnt(0)
	v_ashrrev_i32_e32 v124, s23, v124
	v_and_b32_e32 v128, 0x3030303, v124
	v_bfe_u32 v124, v124, 24, 2
	v_sub_u16_e32 v130, v128, v126
	v_sub_u16_sdwa v131, v128, v126 dst_sel:BYTE_1 dst_unused:UNUSED_PAD src0_sel:BYTE_1 src1_sel:BYTE_1
	v_sub_u16_sdwa v124, v124, v126 dst_sel:BYTE_1 dst_unused:UNUSED_PAD src0_sel:DWORD src1_sel:BYTE_3
	v_sub_u16_sdwa v126, v128, v126 dst_sel:DWORD dst_unused:UNUSED_PAD src0_sel:WORD_1 src1_sel:WORD_1
	v_or_b32_sdwa v130, v130, v131 dst_sel:DWORD dst_unused:UNUSED_PAD src0_sel:BYTE_0 src1_sel:DWORD
	v_or_b32_sdwa v124, v126, v124 dst_sel:WORD_1 dst_unused:UNUSED_PAD src0_sel:BYTE_0 src1_sel:DWORD
	v_ashrrev_i32_e32 v126, s3, v127
	v_or_b32_sdwa v128, v130, v124 dst_sel:DWORD dst_unused:UNUSED_PAD src0_sel:WORD_0 src1_sel:DWORD
	v_ashrrev_i32_e32 v124, s23, v125
	v_lshlrev_b32_e32 v126, 2, v126
	v_and_b32_e32 v125, 0x3030303, v124
	v_bfe_u32 v124, v124, 24, 2
	v_and_b32_e32 v126, 0x4040404, v126
	v_sub_u16_e32 v127, v125, v126
	v_sub_u16_sdwa v130, v125, v126 dst_sel:BYTE_1 dst_unused:UNUSED_PAD src0_sel:BYTE_1 src1_sel:BYTE_1
	v_sub_u16_sdwa v124, v124, v126 dst_sel:BYTE_1 dst_unused:UNUSED_PAD src0_sel:DWORD src1_sel:BYTE_3
	v_sub_u16_sdwa v125, v125, v126 dst_sel:DWORD dst_unused:UNUSED_PAD src0_sel:WORD_1 src1_sel:WORD_1
	v_or_b32_sdwa v127, v127, v130 dst_sel:DWORD dst_unused:UNUSED_PAD src0_sel:BYTE_0 src1_sel:DWORD
	v_or_b32_sdwa v124, v125, v124 dst_sel:WORD_1 dst_unused:UNUSED_PAD src0_sel:BYTE_0 src1_sel:DWORD
	v_add_u32_e32 v126, 0x4208, v129
	v_or_b32_sdwa v130, v127, v124 dst_sel:DWORD dst_unused:UNUSED_PAD src0_sel:WORD_0 src1_sel:DWORD
	ds_read2_b32 v[124:125], v123 offset0:2 offset1:3
	ds_read2_b32 v[126:127], v126 offset1:1
	s_waitcnt lgkmcnt(1)
	v_ashrrev_i32_e32 v124, s23, v124
	s_waitcnt lgkmcnt(0)
	v_ashrrev_i32_e32 v126, s3, v126
	v_lshlrev_b32_e32 v126, 2, v126
	v_and_b32_e32 v131, 0x3030303, v124
	v_bfe_u32 v124, v124, 24, 2
	v_and_b32_e32 v126, 0x4040404, v126
	v_sub_u16_e32 v132, v131, v126
	v_sub_u16_sdwa v133, v131, v126 dst_sel:BYTE_1 dst_unused:UNUSED_PAD src0_sel:BYTE_1 src1_sel:BYTE_1
	v_sub_u16_sdwa v124, v124, v126 dst_sel:BYTE_1 dst_unused:UNUSED_PAD src0_sel:DWORD src1_sel:BYTE_3
	v_sub_u16_sdwa v126, v131, v126 dst_sel:DWORD dst_unused:UNUSED_PAD src0_sel:WORD_1 src1_sel:WORD_1
	v_or_b32_sdwa v132, v132, v133 dst_sel:DWORD dst_unused:UNUSED_PAD src0_sel:BYTE_0 src1_sel:DWORD
	v_or_b32_sdwa v124, v126, v124 dst_sel:WORD_1 dst_unused:UNUSED_PAD src0_sel:BYTE_0 src1_sel:DWORD
	v_ashrrev_i32_e32 v126, s3, v127
	v_or_b32_sdwa v131, v132, v124 dst_sel:DWORD dst_unused:UNUSED_PAD src0_sel:WORD_0 src1_sel:DWORD
	v_ashrrev_i32_e32 v124, s23, v125
	v_lshlrev_b32_e32 v126, 2, v126
	v_and_b32_e32 v125, 0x3030303, v124
	v_bfe_u32 v124, v124, 24, 2
	v_and_b32_e32 v126, 0x4040404, v126
	v_sub_u16_e32 v127, v125, v126
	v_sub_u16_sdwa v132, v125, v126 dst_sel:BYTE_1 dst_unused:UNUSED_PAD src0_sel:BYTE_1 src1_sel:BYTE_1
	v_sub_u16_sdwa v124, v124, v126 dst_sel:BYTE_1 dst_unused:UNUSED_PAD src0_sel:DWORD src1_sel:BYTE_3
	v_sub_u16_sdwa v125, v125, v126 dst_sel:DWORD dst_unused:UNUSED_PAD src0_sel:WORD_1 src1_sel:WORD_1
	v_or_b32_sdwa v127, v127, v132 dst_sel:DWORD dst_unused:UNUSED_PAD src0_sel:BYTE_0 src1_sel:DWORD
	v_or_b32_sdwa v124, v125, v124 dst_sel:WORD_1 dst_unused:UNUSED_PAD src0_sel:BYTE_0 src1_sel:DWORD
	v_add_u32_e32 v126, 0x4210, v129
	v_or_b32_sdwa v132, v127, v124 dst_sel:DWORD dst_unused:UNUSED_PAD src0_sel:WORD_0 src1_sel:DWORD
	ds_read2_b32 v[124:125], v123 offset0:4 offset1:5
	ds_read2_b32 v[126:127], v126 offset1:1
	s_waitcnt lgkmcnt(1)
	v_ashrrev_i32_e32 v124, s23, v124
	s_waitcnt lgkmcnt(0)
	v_ashrrev_i32_e32 v126, s3, v126
	v_lshlrev_b32_e32 v126, 2, v126
	v_and_b32_e32 v133, 0x3030303, v124
	v_bfe_u32 v124, v124, 24, 2
	v_and_b32_e32 v126, 0x4040404, v126
	;; [unrolled: 31-line block ×3, first 2 shown]
	v_sub_u16_e32 v129, v124, v126
	v_sub_u16_sdwa v135, v124, v126 dst_sel:BYTE_1 dst_unused:UNUSED_PAD src0_sel:BYTE_1 src1_sel:BYTE_1
	v_sub_u16_sdwa v123, v123, v126 dst_sel:BYTE_1 dst_unused:UNUSED_PAD src0_sel:DWORD src1_sel:BYTE_3
	v_sub_u16_sdwa v124, v124, v126 dst_sel:DWORD dst_unused:UNUSED_PAD src0_sel:WORD_1 src1_sel:WORD_1
	v_ashrrev_i32_e32 v126, s3, v127
	v_or_b32_sdwa v123, v124, v123 dst_sel:WORD_1 dst_unused:UNUSED_PAD src0_sel:BYTE_0 src1_sel:DWORD
	v_ashrrev_i32_e32 v124, s23, v125
	v_lshlrev_b32_e32 v126, 2, v126
	v_or_b32_sdwa v129, v129, v135 dst_sel:DWORD dst_unused:UNUSED_PAD src0_sel:BYTE_0 src1_sel:DWORD
	v_and_b32_e32 v125, 0x3030303, v124
	v_bfe_u32 v124, v124, 24, 2
	v_and_b32_e32 v126, 0x4040404, v126
	v_or_b32_sdwa v123, v129, v123 dst_sel:DWORD dst_unused:UNUSED_PAD src0_sel:WORD_0 src1_sel:DWORD
	v_sub_u16_e32 v127, v125, v126
	v_sub_u16_sdwa v129, v125, v126 dst_sel:BYTE_1 dst_unused:UNUSED_PAD src0_sel:BYTE_1 src1_sel:BYTE_1
	v_sub_u16_sdwa v124, v124, v126 dst_sel:BYTE_1 dst_unused:UNUSED_PAD src0_sel:DWORD src1_sel:BYTE_3
	v_sub_u16_sdwa v125, v125, v126 dst_sel:DWORD dst_unused:UNUSED_PAD src0_sel:WORD_1 src1_sel:WORD_1
	v_or_b32_sdwa v127, v127, v129 dst_sel:DWORD dst_unused:UNUSED_PAD src0_sel:BYTE_0 src1_sel:DWORD
	v_or_b32_sdwa v124, v125, v124 dst_sel:WORD_1 dst_unused:UNUSED_PAD src0_sel:BYTE_0 src1_sel:DWORD
	v_or_b32_sdwa v125, v127, v124 dst_sel:DWORD dst_unused:UNUSED_PAD src0_sel:WORD_0 src1_sel:DWORD
	v_add_u32_e32 v124, s35, v89
	v_add_u32_e32 v126, s37, v41
	ds_read_b32 v126, v126
	ds_read_u16 v124, v124 offset:26354
	v_mov_b32_e32 v127, 0
	v_dot4c_i32_i8_e32 v127, v128, v6
	v_dot4c_i32_i8_e32 v127, v130, v7
	;; [unrolled: 1-line block ×4, first 2 shown]
	s_waitcnt lgkmcnt(0)
	v_lshrrev_b16_e32 v128, 8, v124
	v_bfe_i32 v124, v124, 0, 8
	v_add_lshl_u32 v129, v43, s34, 2
	v_mul_lo_u32 v124, v127, v124
	v_mov_b32_e32 v127, 0
	v_dot4c_i32_i8_e32 v127, v133, v2
	v_dot4c_i32_i8_e32 v127, v134, v3
	;; [unrolled: 1-line block ×4, first 2 shown]
	v_bfe_i32 v123, v128, 0, 8
                                        ; kill: def $vgpr125 killed $sgpr0 killed $exec
	s_nop 1
	v_mad_u64_u32 v[124:125], s[38:39], v127, v123, v[124:125]
	v_cvt_f32_i32_e32 v124, v124
	v_mul_f32_e32 v123, v122, v126
	v_add_u32_e32 v126, 0x4200, v129
	ds_read2_b32 v[126:127], v126 offset1:1
	v_fmac_f32_e32 v63, v123, v124
	v_add_u32_e32 v123, s36, v45
	ds_read2_b32 v[124:125], v123 offset1:1
	s_waitcnt lgkmcnt(1)
	v_ashrrev_i32_e32 v126, s3, v126
	v_lshlrev_b32_e32 v126, 2, v126
	v_and_b32_e32 v126, 0x4040404, v126
	s_waitcnt lgkmcnt(0)
	v_ashrrev_i32_e32 v124, s23, v124
	v_and_b32_e32 v128, 0x3030303, v124
	v_bfe_u32 v124, v124, 24, 2
	v_sub_u16_e32 v130, v128, v126
	v_sub_u16_sdwa v131, v128, v126 dst_sel:BYTE_1 dst_unused:UNUSED_PAD src0_sel:BYTE_1 src1_sel:BYTE_1
	v_sub_u16_sdwa v124, v124, v126 dst_sel:BYTE_1 dst_unused:UNUSED_PAD src0_sel:DWORD src1_sel:BYTE_3
	v_sub_u16_sdwa v126, v128, v126 dst_sel:DWORD dst_unused:UNUSED_PAD src0_sel:WORD_1 src1_sel:WORD_1
	v_or_b32_sdwa v130, v130, v131 dst_sel:DWORD dst_unused:UNUSED_PAD src0_sel:BYTE_0 src1_sel:DWORD
	v_or_b32_sdwa v124, v126, v124 dst_sel:WORD_1 dst_unused:UNUSED_PAD src0_sel:BYTE_0 src1_sel:DWORD
	v_ashrrev_i32_e32 v126, s3, v127
	v_or_b32_sdwa v128, v130, v124 dst_sel:DWORD dst_unused:UNUSED_PAD src0_sel:WORD_0 src1_sel:DWORD
	v_ashrrev_i32_e32 v124, s23, v125
	v_lshlrev_b32_e32 v126, 2, v126
	v_and_b32_e32 v125, 0x3030303, v124
	v_bfe_u32 v124, v124, 24, 2
	v_and_b32_e32 v126, 0x4040404, v126
	v_sub_u16_e32 v127, v125, v126
	v_sub_u16_sdwa v130, v125, v126 dst_sel:BYTE_1 dst_unused:UNUSED_PAD src0_sel:BYTE_1 src1_sel:BYTE_1
	v_sub_u16_sdwa v124, v124, v126 dst_sel:BYTE_1 dst_unused:UNUSED_PAD src0_sel:DWORD src1_sel:BYTE_3
	v_sub_u16_sdwa v125, v125, v126 dst_sel:DWORD dst_unused:UNUSED_PAD src0_sel:WORD_1 src1_sel:WORD_1
	v_or_b32_sdwa v127, v127, v130 dst_sel:DWORD dst_unused:UNUSED_PAD src0_sel:BYTE_0 src1_sel:DWORD
	v_or_b32_sdwa v124, v125, v124 dst_sel:WORD_1 dst_unused:UNUSED_PAD src0_sel:BYTE_0 src1_sel:DWORD
	v_add_u32_e32 v126, 0x4208, v129
	v_or_b32_sdwa v130, v127, v124 dst_sel:DWORD dst_unused:UNUSED_PAD src0_sel:WORD_0 src1_sel:DWORD
	ds_read2_b32 v[124:125], v123 offset0:2 offset1:3
	ds_read2_b32 v[126:127], v126 offset1:1
	s_waitcnt lgkmcnt(1)
	v_ashrrev_i32_e32 v124, s23, v124
	s_waitcnt lgkmcnt(0)
	v_ashrrev_i32_e32 v126, s3, v126
	v_lshlrev_b32_e32 v126, 2, v126
	v_and_b32_e32 v131, 0x3030303, v124
	v_bfe_u32 v124, v124, 24, 2
	v_and_b32_e32 v126, 0x4040404, v126
	v_sub_u16_e32 v132, v131, v126
	v_sub_u16_sdwa v133, v131, v126 dst_sel:BYTE_1 dst_unused:UNUSED_PAD src0_sel:BYTE_1 src1_sel:BYTE_1
	v_sub_u16_sdwa v124, v124, v126 dst_sel:BYTE_1 dst_unused:UNUSED_PAD src0_sel:DWORD src1_sel:BYTE_3
	v_sub_u16_sdwa v126, v131, v126 dst_sel:DWORD dst_unused:UNUSED_PAD src0_sel:WORD_1 src1_sel:WORD_1
	v_or_b32_sdwa v132, v132, v133 dst_sel:DWORD dst_unused:UNUSED_PAD src0_sel:BYTE_0 src1_sel:DWORD
	v_or_b32_sdwa v124, v126, v124 dst_sel:WORD_1 dst_unused:UNUSED_PAD src0_sel:BYTE_0 src1_sel:DWORD
	v_ashrrev_i32_e32 v126, s3, v127
	v_or_b32_sdwa v131, v132, v124 dst_sel:DWORD dst_unused:UNUSED_PAD src0_sel:WORD_0 src1_sel:DWORD
	v_ashrrev_i32_e32 v124, s23, v125
	v_lshlrev_b32_e32 v126, 2, v126
	v_and_b32_e32 v125, 0x3030303, v124
	v_bfe_u32 v124, v124, 24, 2
	v_and_b32_e32 v126, 0x4040404, v126
	v_sub_u16_e32 v127, v125, v126
	v_sub_u16_sdwa v132, v125, v126 dst_sel:BYTE_1 dst_unused:UNUSED_PAD src0_sel:BYTE_1 src1_sel:BYTE_1
	v_sub_u16_sdwa v124, v124, v126 dst_sel:BYTE_1 dst_unused:UNUSED_PAD src0_sel:DWORD src1_sel:BYTE_3
	v_sub_u16_sdwa v125, v125, v126 dst_sel:DWORD dst_unused:UNUSED_PAD src0_sel:WORD_1 src1_sel:WORD_1
	v_or_b32_sdwa v127, v127, v132 dst_sel:DWORD dst_unused:UNUSED_PAD src0_sel:BYTE_0 src1_sel:DWORD
	v_or_b32_sdwa v124, v125, v124 dst_sel:WORD_1 dst_unused:UNUSED_PAD src0_sel:BYTE_0 src1_sel:DWORD
	v_add_u32_e32 v126, 0x4210, v129
	v_or_b32_sdwa v132, v127, v124 dst_sel:DWORD dst_unused:UNUSED_PAD src0_sel:WORD_0 src1_sel:DWORD
	ds_read2_b32 v[124:125], v123 offset0:4 offset1:5
	ds_read2_b32 v[126:127], v126 offset1:1
	s_waitcnt lgkmcnt(1)
	v_ashrrev_i32_e32 v124, s23, v124
	s_waitcnt lgkmcnt(0)
	v_ashrrev_i32_e32 v126, s3, v126
	v_lshlrev_b32_e32 v126, 2, v126
	v_and_b32_e32 v133, 0x3030303, v124
	v_bfe_u32 v124, v124, 24, 2
	v_and_b32_e32 v126, 0x4040404, v126
	;; [unrolled: 31-line block ×3, first 2 shown]
	v_sub_u16_e32 v129, v124, v126
	v_sub_u16_sdwa v135, v124, v126 dst_sel:BYTE_1 dst_unused:UNUSED_PAD src0_sel:BYTE_1 src1_sel:BYTE_1
	v_sub_u16_sdwa v123, v123, v126 dst_sel:BYTE_1 dst_unused:UNUSED_PAD src0_sel:DWORD src1_sel:BYTE_3
	v_sub_u16_sdwa v124, v124, v126 dst_sel:DWORD dst_unused:UNUSED_PAD src0_sel:WORD_1 src1_sel:WORD_1
	v_ashrrev_i32_e32 v126, s3, v127
	v_or_b32_sdwa v123, v124, v123 dst_sel:WORD_1 dst_unused:UNUSED_PAD src0_sel:BYTE_0 src1_sel:DWORD
	v_ashrrev_i32_e32 v124, s23, v125
	v_lshlrev_b32_e32 v126, 2, v126
	v_or_b32_sdwa v129, v129, v135 dst_sel:DWORD dst_unused:UNUSED_PAD src0_sel:BYTE_0 src1_sel:DWORD
	v_and_b32_e32 v125, 0x3030303, v124
	v_bfe_u32 v124, v124, 24, 2
	v_and_b32_e32 v126, 0x4040404, v126
	v_or_b32_sdwa v123, v129, v123 dst_sel:DWORD dst_unused:UNUSED_PAD src0_sel:WORD_0 src1_sel:DWORD
	v_sub_u16_e32 v127, v125, v126
	v_sub_u16_sdwa v129, v125, v126 dst_sel:BYTE_1 dst_unused:UNUSED_PAD src0_sel:BYTE_1 src1_sel:BYTE_1
	v_sub_u16_sdwa v124, v124, v126 dst_sel:BYTE_1 dst_unused:UNUSED_PAD src0_sel:DWORD src1_sel:BYTE_3
	v_sub_u16_sdwa v125, v125, v126 dst_sel:DWORD dst_unused:UNUSED_PAD src0_sel:WORD_1 src1_sel:WORD_1
	v_or_b32_sdwa v127, v127, v129 dst_sel:DWORD dst_unused:UNUSED_PAD src0_sel:BYTE_0 src1_sel:DWORD
	v_or_b32_sdwa v124, v125, v124 dst_sel:WORD_1 dst_unused:UNUSED_PAD src0_sel:BYTE_0 src1_sel:DWORD
	v_or_b32_sdwa v125, v127, v124 dst_sel:DWORD dst_unused:UNUSED_PAD src0_sel:WORD_0 src1_sel:DWORD
	v_add_u32_e32 v124, s35, v87
	v_add_u32_e32 v126, s37, v47
	ds_read_b32 v126, v126
	ds_read_u16 v124, v124 offset:27378
	v_mov_b32_e32 v127, 0
	v_dot4c_i32_i8_e32 v127, v128, v6
	v_dot4c_i32_i8_e32 v127, v130, v7
	;; [unrolled: 1-line block ×4, first 2 shown]
	s_waitcnt lgkmcnt(0)
	v_lshrrev_b16_e32 v128, 8, v124
	v_bfe_i32 v124, v124, 0, 8
	v_add_lshl_u32 v129, v49, s34, 2
	v_mul_lo_u32 v124, v127, v124
	v_mov_b32_e32 v127, 0
	v_dot4c_i32_i8_e32 v127, v133, v2
	v_dot4c_i32_i8_e32 v127, v134, v3
	;; [unrolled: 1-line block ×4, first 2 shown]
	v_bfe_i32 v123, v128, 0, 8
                                        ; kill: def $vgpr125 killed $sgpr0 killed $exec
	s_nop 1
	v_mad_u64_u32 v[124:125], s[38:39], v127, v123, v[124:125]
	v_cvt_f32_i32_e32 v124, v124
	v_mul_f32_e32 v123, v122, v126
	v_add_u32_e32 v126, 0x4200, v129
	ds_read2_b32 v[126:127], v126 offset1:1
	v_fmac_f32_e32 v53, v123, v124
	v_add_u32_e32 v123, s36, v51
	ds_read2_b32 v[124:125], v123 offset1:1
	s_waitcnt lgkmcnt(1)
	v_ashrrev_i32_e32 v126, s3, v126
	v_lshlrev_b32_e32 v126, 2, v126
	v_and_b32_e32 v126, 0x4040404, v126
	s_waitcnt lgkmcnt(0)
	v_ashrrev_i32_e32 v124, s23, v124
	v_and_b32_e32 v128, 0x3030303, v124
	v_bfe_u32 v124, v124, 24, 2
	v_sub_u16_e32 v130, v128, v126
	v_sub_u16_sdwa v131, v128, v126 dst_sel:BYTE_1 dst_unused:UNUSED_PAD src0_sel:BYTE_1 src1_sel:BYTE_1
	v_sub_u16_sdwa v124, v124, v126 dst_sel:BYTE_1 dst_unused:UNUSED_PAD src0_sel:DWORD src1_sel:BYTE_3
	v_sub_u16_sdwa v126, v128, v126 dst_sel:DWORD dst_unused:UNUSED_PAD src0_sel:WORD_1 src1_sel:WORD_1
	v_or_b32_sdwa v130, v130, v131 dst_sel:DWORD dst_unused:UNUSED_PAD src0_sel:BYTE_0 src1_sel:DWORD
	v_or_b32_sdwa v124, v126, v124 dst_sel:WORD_1 dst_unused:UNUSED_PAD src0_sel:BYTE_0 src1_sel:DWORD
	v_ashrrev_i32_e32 v126, s3, v127
	v_or_b32_sdwa v128, v130, v124 dst_sel:DWORD dst_unused:UNUSED_PAD src0_sel:WORD_0 src1_sel:DWORD
	v_ashrrev_i32_e32 v124, s23, v125
	v_lshlrev_b32_e32 v126, 2, v126
	v_and_b32_e32 v125, 0x3030303, v124
	v_bfe_u32 v124, v124, 24, 2
	v_and_b32_e32 v126, 0x4040404, v126
	v_sub_u16_e32 v127, v125, v126
	v_sub_u16_sdwa v130, v125, v126 dst_sel:BYTE_1 dst_unused:UNUSED_PAD src0_sel:BYTE_1 src1_sel:BYTE_1
	v_sub_u16_sdwa v124, v124, v126 dst_sel:BYTE_1 dst_unused:UNUSED_PAD src0_sel:DWORD src1_sel:BYTE_3
	v_sub_u16_sdwa v125, v125, v126 dst_sel:DWORD dst_unused:UNUSED_PAD src0_sel:WORD_1 src1_sel:WORD_1
	v_or_b32_sdwa v127, v127, v130 dst_sel:DWORD dst_unused:UNUSED_PAD src0_sel:BYTE_0 src1_sel:DWORD
	v_or_b32_sdwa v124, v125, v124 dst_sel:WORD_1 dst_unused:UNUSED_PAD src0_sel:BYTE_0 src1_sel:DWORD
	v_add_u32_e32 v126, 0x4208, v129
	v_or_b32_sdwa v130, v127, v124 dst_sel:DWORD dst_unused:UNUSED_PAD src0_sel:WORD_0 src1_sel:DWORD
	ds_read2_b32 v[124:125], v123 offset0:2 offset1:3
	ds_read2_b32 v[126:127], v126 offset1:1
	s_waitcnt lgkmcnt(1)
	v_ashrrev_i32_e32 v124, s23, v124
	s_waitcnt lgkmcnt(0)
	v_ashrrev_i32_e32 v126, s3, v126
	v_lshlrev_b32_e32 v126, 2, v126
	v_and_b32_e32 v131, 0x3030303, v124
	v_bfe_u32 v124, v124, 24, 2
	v_and_b32_e32 v126, 0x4040404, v126
	v_sub_u16_e32 v132, v131, v126
	v_sub_u16_sdwa v133, v131, v126 dst_sel:BYTE_1 dst_unused:UNUSED_PAD src0_sel:BYTE_1 src1_sel:BYTE_1
	v_sub_u16_sdwa v124, v124, v126 dst_sel:BYTE_1 dst_unused:UNUSED_PAD src0_sel:DWORD src1_sel:BYTE_3
	v_sub_u16_sdwa v126, v131, v126 dst_sel:DWORD dst_unused:UNUSED_PAD src0_sel:WORD_1 src1_sel:WORD_1
	v_or_b32_sdwa v132, v132, v133 dst_sel:DWORD dst_unused:UNUSED_PAD src0_sel:BYTE_0 src1_sel:DWORD
	v_or_b32_sdwa v124, v126, v124 dst_sel:WORD_1 dst_unused:UNUSED_PAD src0_sel:BYTE_0 src1_sel:DWORD
	v_ashrrev_i32_e32 v126, s3, v127
	v_or_b32_sdwa v131, v132, v124 dst_sel:DWORD dst_unused:UNUSED_PAD src0_sel:WORD_0 src1_sel:DWORD
	v_ashrrev_i32_e32 v124, s23, v125
	v_lshlrev_b32_e32 v126, 2, v126
	v_and_b32_e32 v125, 0x3030303, v124
	v_bfe_u32 v124, v124, 24, 2
	v_and_b32_e32 v126, 0x4040404, v126
	v_sub_u16_e32 v127, v125, v126
	v_sub_u16_sdwa v132, v125, v126 dst_sel:BYTE_1 dst_unused:UNUSED_PAD src0_sel:BYTE_1 src1_sel:BYTE_1
	v_sub_u16_sdwa v124, v124, v126 dst_sel:BYTE_1 dst_unused:UNUSED_PAD src0_sel:DWORD src1_sel:BYTE_3
	v_sub_u16_sdwa v125, v125, v126 dst_sel:DWORD dst_unused:UNUSED_PAD src0_sel:WORD_1 src1_sel:WORD_1
	v_or_b32_sdwa v127, v127, v132 dst_sel:DWORD dst_unused:UNUSED_PAD src0_sel:BYTE_0 src1_sel:DWORD
	v_or_b32_sdwa v124, v125, v124 dst_sel:WORD_1 dst_unused:UNUSED_PAD src0_sel:BYTE_0 src1_sel:DWORD
	v_add_u32_e32 v126, 0x4210, v129
	v_or_b32_sdwa v132, v127, v124 dst_sel:DWORD dst_unused:UNUSED_PAD src0_sel:WORD_0 src1_sel:DWORD
	ds_read2_b32 v[124:125], v123 offset0:4 offset1:5
	ds_read2_b32 v[126:127], v126 offset1:1
	s_waitcnt lgkmcnt(1)
	v_ashrrev_i32_e32 v124, s23, v124
	s_waitcnt lgkmcnt(0)
	v_ashrrev_i32_e32 v126, s3, v126
	v_lshlrev_b32_e32 v126, 2, v126
	v_and_b32_e32 v133, 0x3030303, v124
	v_bfe_u32 v124, v124, 24, 2
	v_and_b32_e32 v126, 0x4040404, v126
	;; [unrolled: 31-line block ×3, first 2 shown]
	v_sub_u16_e32 v129, v124, v126
	v_sub_u16_sdwa v135, v124, v126 dst_sel:BYTE_1 dst_unused:UNUSED_PAD src0_sel:BYTE_1 src1_sel:BYTE_1
	v_sub_u16_sdwa v123, v123, v126 dst_sel:BYTE_1 dst_unused:UNUSED_PAD src0_sel:DWORD src1_sel:BYTE_3
	v_sub_u16_sdwa v124, v124, v126 dst_sel:DWORD dst_unused:UNUSED_PAD src0_sel:WORD_1 src1_sel:WORD_1
	v_ashrrev_i32_e32 v126, s3, v127
	v_or_b32_sdwa v123, v124, v123 dst_sel:WORD_1 dst_unused:UNUSED_PAD src0_sel:BYTE_0 src1_sel:DWORD
	v_ashrrev_i32_e32 v124, s23, v125
	v_lshlrev_b32_e32 v126, 2, v126
	v_or_b32_sdwa v129, v129, v135 dst_sel:DWORD dst_unused:UNUSED_PAD src0_sel:BYTE_0 src1_sel:DWORD
	v_and_b32_e32 v125, 0x3030303, v124
	v_bfe_u32 v124, v124, 24, 2
	v_and_b32_e32 v126, 0x4040404, v126
	v_or_b32_sdwa v123, v129, v123 dst_sel:DWORD dst_unused:UNUSED_PAD src0_sel:WORD_0 src1_sel:DWORD
	v_sub_u16_e32 v127, v125, v126
	v_sub_u16_sdwa v129, v125, v126 dst_sel:BYTE_1 dst_unused:UNUSED_PAD src0_sel:BYTE_1 src1_sel:BYTE_1
	v_sub_u16_sdwa v124, v124, v126 dst_sel:BYTE_1 dst_unused:UNUSED_PAD src0_sel:DWORD src1_sel:BYTE_3
	v_sub_u16_sdwa v125, v125, v126 dst_sel:DWORD dst_unused:UNUSED_PAD src0_sel:WORD_1 src1_sel:WORD_1
	v_or_b32_sdwa v127, v127, v129 dst_sel:DWORD dst_unused:UNUSED_PAD src0_sel:BYTE_0 src1_sel:DWORD
	v_or_b32_sdwa v124, v125, v124 dst_sel:WORD_1 dst_unused:UNUSED_PAD src0_sel:BYTE_0 src1_sel:DWORD
	v_or_b32_sdwa v124, v127, v124 dst_sel:DWORD dst_unused:UNUSED_PAD src0_sel:WORD_0 src1_sel:DWORD
	v_add_u32_e32 v125, s35, v85
	v_add_u32_e32 v126, s37, v55
	v_mov_b32_e32 v127, 0
	ds_read_b32 v126, v126
	v_dot4c_i32_i8_e32 v127, v128, v6
	ds_read_u16 v6, v125 offset:28402
	v_dot4c_i32_i8_e32 v127, v130, v7
	v_dot4c_i32_i8_e32 v127, v131, v8
	v_mov_b32_e32 v8, 0
	v_dot4c_i32_i8_e32 v8, v133, v2
	v_dot4c_i32_i8_e32 v8, v134, v3
	v_dot4c_i32_i8_e32 v127, v132, v9
	s_waitcnt lgkmcnt(0)
	v_lshrrev_b16_e32 v7, 8, v6
	v_bfe_i32 v6, v6, 0, 8
	v_dot4c_i32_i8_e32 v8, v123, v4
	v_mul_lo_u32 v6, v127, v6
	v_dot4c_i32_i8_e32 v8, v124, v5
	v_bfe_i32 v2, v7, 0, 8
	s_add_i32 s3, s3, 1
	s_cmp_lt_u32 s22, 22
	v_mad_u64_u32 v[2:3], s[34:35], v8, v2, v[6:7]
	v_cvt_f32_i32_e32 v2, v2
	v_mul_f32_e32 v3, v122, v126
	s_mov_b32 s35, s22
	v_fmac_f32_e32 v11, v3, v2
	s_cbranch_scc1 .LBB190_28
; %bb.29:                               ;   in Loop: Header=BB190_5 Depth=1
	s_or_b32 s2, s33, 0x180
	s_cmp_ge_i32 s2, s9
	s_barrier
	s_cbranch_scc1 .LBB190_4
; %bb.30:                               ;   in Loop: Header=BB190_5 Depth=1
	v_add_u32_e32 v2, s31, v61
	v_cmp_gt_i32_e64 s[2:3], s12, v2
	s_and_b64 s[22:23], s[0:1], s[2:3]
	s_and_saveexec_b64 s[2:3], s[22:23]
	s_cbranch_execz .LBB190_32
; %bb.31:                               ;   in Loop: Header=BB190_5 Depth=1
	v_add_u32_e32 v2, v116, v2
	v_mad_i64_i32 v[2:3], s[22:23], v2, 36, v[114:115]
	global_load_dword v2, v[2:3], off offset:4
	s_waitcnt vmcnt(0)
	ds_write_b32 v25, v2
.LBB190_32:                             ;   in Loop: Header=BB190_5 Depth=1
	s_or_b64 exec, exec, s[2:3]
	s_and_saveexec_b64 s[22:23], vcc
	s_cbranch_execz .LBB190_35
; %bb.33:                               ;   in Loop: Header=BB190_5 Depth=1
	v_or_b32_e32 v2, s31, v19
	v_or_b32_e32 v3, 12, v2
	v_cmp_gt_i32_e64 s[2:3], s12, v3
	s_and_b64 s[2:3], s[0:1], s[2:3]
	s_and_b64 exec, exec, s[2:3]
	s_cbranch_execz .LBB190_35
; %bb.34:                               ;   in Loop: Header=BB190_5 Depth=1
	v_ashrrev_i32_e32 v3, 31, v2
	v_add_co_u32_e64 v2, s[2:3], v116, v2
	v_addc_co_u32_e64 v4, s[2:3], v1, v3, s[2:3]
	v_mad_u64_u32 v[2:3], s[2:3], v2, 36, s[20:21]
	v_mad_i32_i24 v3, v4, 36, v3
	global_load_dword v2, v[2:3], off
	s_waitcnt vmcnt(0)
	v_cvt_f32_f16_e32 v2, v2
	ds_write_b32 v27, v2
.LBB190_35:                             ;   in Loop: Header=BB190_5 Depth=1
	s_or_b64 exec, exec, s[22:23]
	s_mov_b32 s2, 24
	s_mov_b32 s33, 22
	;; [unrolled: 1-line block ×3, first 2 shown]
	v_mov_b32_e32 v120, v73
	v_mov_b32_e32 v121, v75
	s_waitcnt lgkmcnt(0)
	s_barrier
.LBB190_36:                             ;   Parent Loop BB190_5 Depth=1
                                        ; =>  This Inner Loop Header: Depth=2
	s_add_i32 s22, s33, 2
	s_lshr_b32 s36, s22, 4
	s_and_b32 s34, s22, 0x3ffffff8
	s_lshl_b32 s31, s36, 3
	s_lshl_b32 s34, s34, 2
	v_add_lshl_u32 v129, v31, s31, 2
	v_add_u32_e32 v123, s34, v33
	v_add_u32_e32 v126, 0x4200, v129
	ds_read_b32 v122, v121
	ds_read_b128 v[6:9], v120
	ds_read_b128 v[2:5], v120 offset:16
	ds_read2_b32 v[124:125], v123 offset1:1
	ds_read2_b32 v[126:127], v126 offset1:1
	s_sub_i32 s23, s33, 22
	s_and_b32 s35, s2, -16
	s_add_i32 s33, s33, s35
	s_waitcnt lgkmcnt(1)
	v_ashrrev_i32_e32 v124, s23, v124
	s_waitcnt lgkmcnt(0)
	v_ashrrev_i32_e32 v126, s3, v126
	v_lshlrev_b32_e32 v126, 2, v126
	v_and_b32_e32 v128, 0x3030303, v124
	v_bfe_u32 v124, v124, 24, 2
	v_and_b32_e32 v126, 0x4040404, v126
	v_sub_u16_e32 v130, v128, v126
	v_sub_u16_sdwa v131, v128, v126 dst_sel:BYTE_1 dst_unused:UNUSED_PAD src0_sel:BYTE_1 src1_sel:BYTE_1
	v_sub_u16_sdwa v124, v124, v126 dst_sel:BYTE_1 dst_unused:UNUSED_PAD src0_sel:DWORD src1_sel:BYTE_3
	v_sub_u16_sdwa v126, v128, v126 dst_sel:DWORD dst_unused:UNUSED_PAD src0_sel:WORD_1 src1_sel:WORD_1
	v_or_b32_sdwa v130, v130, v131 dst_sel:DWORD dst_unused:UNUSED_PAD src0_sel:BYTE_0 src1_sel:DWORD
	v_or_b32_sdwa v124, v126, v124 dst_sel:WORD_1 dst_unused:UNUSED_PAD src0_sel:BYTE_0 src1_sel:DWORD
	v_ashrrev_i32_e32 v126, s3, v127
	v_or_b32_sdwa v128, v130, v124 dst_sel:DWORD dst_unused:UNUSED_PAD src0_sel:WORD_0 src1_sel:DWORD
	v_ashrrev_i32_e32 v124, s23, v125
	v_lshlrev_b32_e32 v126, 2, v126
	v_and_b32_e32 v125, 0x3030303, v124
	v_bfe_u32 v124, v124, 24, 2
	v_and_b32_e32 v126, 0x4040404, v126
	v_sub_u16_e32 v127, v125, v126
	v_sub_u16_sdwa v130, v125, v126 dst_sel:BYTE_1 dst_unused:UNUSED_PAD src0_sel:BYTE_1 src1_sel:BYTE_1
	v_sub_u16_sdwa v124, v124, v126 dst_sel:BYTE_1 dst_unused:UNUSED_PAD src0_sel:DWORD src1_sel:BYTE_3
	v_sub_u16_sdwa v125, v125, v126 dst_sel:DWORD dst_unused:UNUSED_PAD src0_sel:WORD_1 src1_sel:WORD_1
	v_or_b32_sdwa v127, v127, v130 dst_sel:DWORD dst_unused:UNUSED_PAD src0_sel:BYTE_0 src1_sel:DWORD
	v_or_b32_sdwa v124, v125, v124 dst_sel:WORD_1 dst_unused:UNUSED_PAD src0_sel:BYTE_0 src1_sel:DWORD
	v_add_u32_e32 v126, 0x4208, v129
	v_or_b32_sdwa v130, v127, v124 dst_sel:DWORD dst_unused:UNUSED_PAD src0_sel:WORD_0 src1_sel:DWORD
	ds_read2_b32 v[124:125], v123 offset0:2 offset1:3
	ds_read2_b32 v[126:127], v126 offset1:1
	s_lshl_b32 s35, s36, 2
	s_add_i32 s2, s2, 2
	v_add_u32_e32 v121, 4, v121
	s_waitcnt lgkmcnt(1)
	v_ashrrev_i32_e32 v124, s23, v124
	s_waitcnt lgkmcnt(0)
	v_ashrrev_i32_e32 v126, s3, v126
	v_lshlrev_b32_e32 v126, 2, v126
	v_and_b32_e32 v131, 0x3030303, v124
	v_bfe_u32 v124, v124, 24, 2
	v_and_b32_e32 v126, 0x4040404, v126
	v_sub_u16_e32 v132, v131, v126
	v_sub_u16_sdwa v133, v131, v126 dst_sel:BYTE_1 dst_unused:UNUSED_PAD src0_sel:BYTE_1 src1_sel:BYTE_1
	v_sub_u16_sdwa v124, v124, v126 dst_sel:BYTE_1 dst_unused:UNUSED_PAD src0_sel:DWORD src1_sel:BYTE_3
	v_sub_u16_sdwa v126, v131, v126 dst_sel:DWORD dst_unused:UNUSED_PAD src0_sel:WORD_1 src1_sel:WORD_1
	v_or_b32_sdwa v132, v132, v133 dst_sel:DWORD dst_unused:UNUSED_PAD src0_sel:BYTE_0 src1_sel:DWORD
	v_or_b32_sdwa v124, v126, v124 dst_sel:WORD_1 dst_unused:UNUSED_PAD src0_sel:BYTE_0 src1_sel:DWORD
	v_ashrrev_i32_e32 v126, s3, v127
	v_or_b32_sdwa v131, v132, v124 dst_sel:DWORD dst_unused:UNUSED_PAD src0_sel:WORD_0 src1_sel:DWORD
	v_ashrrev_i32_e32 v124, s23, v125
	v_lshlrev_b32_e32 v126, 2, v126
	v_and_b32_e32 v125, 0x3030303, v124
	v_bfe_u32 v124, v124, 24, 2
	v_and_b32_e32 v126, 0x4040404, v126
	v_sub_u16_e32 v127, v125, v126
	v_sub_u16_sdwa v132, v125, v126 dst_sel:BYTE_1 dst_unused:UNUSED_PAD src0_sel:BYTE_1 src1_sel:BYTE_1
	v_sub_u16_sdwa v124, v124, v126 dst_sel:BYTE_1 dst_unused:UNUSED_PAD src0_sel:DWORD src1_sel:BYTE_3
	v_sub_u16_sdwa v125, v125, v126 dst_sel:DWORD dst_unused:UNUSED_PAD src0_sel:WORD_1 src1_sel:WORD_1
	v_or_b32_sdwa v127, v127, v132 dst_sel:DWORD dst_unused:UNUSED_PAD src0_sel:BYTE_0 src1_sel:DWORD
	v_or_b32_sdwa v124, v125, v124 dst_sel:WORD_1 dst_unused:UNUSED_PAD src0_sel:BYTE_0 src1_sel:DWORD
	v_add_u32_e32 v126, 0x4210, v129
	v_or_b32_sdwa v132, v127, v124 dst_sel:DWORD dst_unused:UNUSED_PAD src0_sel:WORD_0 src1_sel:DWORD
	ds_read2_b32 v[124:125], v123 offset0:4 offset1:5
	ds_read2_b32 v[126:127], v126 offset1:1
	v_add_u32_e32 v120, 32, v120
	s_waitcnt lgkmcnt(1)
	v_ashrrev_i32_e32 v124, s23, v124
	s_waitcnt lgkmcnt(0)
	v_ashrrev_i32_e32 v126, s3, v126
	v_lshlrev_b32_e32 v126, 2, v126
	v_and_b32_e32 v133, 0x3030303, v124
	v_bfe_u32 v124, v124, 24, 2
	v_and_b32_e32 v126, 0x4040404, v126
	v_sub_u16_e32 v134, v133, v126
	v_sub_u16_sdwa v135, v133, v126 dst_sel:BYTE_1 dst_unused:UNUSED_PAD src0_sel:BYTE_1 src1_sel:BYTE_1
	v_sub_u16_sdwa v124, v124, v126 dst_sel:BYTE_1 dst_unused:UNUSED_PAD src0_sel:DWORD src1_sel:BYTE_3
	v_sub_u16_sdwa v126, v133, v126 dst_sel:DWORD dst_unused:UNUSED_PAD src0_sel:WORD_1 src1_sel:WORD_1
	v_or_b32_sdwa v134, v134, v135 dst_sel:DWORD dst_unused:UNUSED_PAD src0_sel:BYTE_0 src1_sel:DWORD
	v_or_b32_sdwa v124, v126, v124 dst_sel:WORD_1 dst_unused:UNUSED_PAD src0_sel:BYTE_0 src1_sel:DWORD
	v_ashrrev_i32_e32 v126, s3, v127
	v_or_b32_sdwa v133, v134, v124 dst_sel:DWORD dst_unused:UNUSED_PAD src0_sel:WORD_0 src1_sel:DWORD
	v_ashrrev_i32_e32 v124, s23, v125
	v_lshlrev_b32_e32 v126, 2, v126
	v_and_b32_e32 v125, 0x3030303, v124
	v_bfe_u32 v124, v124, 24, 2
	v_and_b32_e32 v126, 0x4040404, v126
	v_sub_u16_e32 v127, v125, v126
	v_sub_u16_sdwa v134, v125, v126 dst_sel:BYTE_1 dst_unused:UNUSED_PAD src0_sel:BYTE_1 src1_sel:BYTE_1
	v_sub_u16_sdwa v124, v124, v126 dst_sel:BYTE_1 dst_unused:UNUSED_PAD src0_sel:DWORD src1_sel:BYTE_3
	v_sub_u16_sdwa v125, v125, v126 dst_sel:DWORD dst_unused:UNUSED_PAD src0_sel:WORD_1 src1_sel:WORD_1
	v_or_b32_sdwa v127, v127, v134 dst_sel:DWORD dst_unused:UNUSED_PAD src0_sel:BYTE_0 src1_sel:DWORD
	v_or_b32_sdwa v124, v125, v124 dst_sel:WORD_1 dst_unused:UNUSED_PAD src0_sel:BYTE_0 src1_sel:DWORD
	v_add_u32_e32 v126, 0x4218, v129
	v_or_b32_sdwa v134, v127, v124 dst_sel:DWORD dst_unused:UNUSED_PAD src0_sel:WORD_0 src1_sel:DWORD
	ds_read2_b32 v[124:125], v123 offset0:6 offset1:7
	ds_read2_b32 v[126:127], v126 offset1:1
	s_waitcnt lgkmcnt(1)
	v_ashrrev_i32_e32 v123, s23, v124
	s_waitcnt lgkmcnt(0)
	v_ashrrev_i32_e32 v126, s3, v126
	v_lshlrev_b32_e32 v126, 2, v126
	v_and_b32_e32 v124, 0x3030303, v123
	v_bfe_u32 v123, v123, 24, 2
	v_and_b32_e32 v126, 0x4040404, v126
	v_sub_u16_e32 v129, v124, v126
	v_sub_u16_sdwa v135, v124, v126 dst_sel:BYTE_1 dst_unused:UNUSED_PAD src0_sel:BYTE_1 src1_sel:BYTE_1
	v_sub_u16_sdwa v123, v123, v126 dst_sel:BYTE_1 dst_unused:UNUSED_PAD src0_sel:DWORD src1_sel:BYTE_3
	v_sub_u16_sdwa v124, v124, v126 dst_sel:DWORD dst_unused:UNUSED_PAD src0_sel:WORD_1 src1_sel:WORD_1
	v_ashrrev_i32_e32 v126, s3, v127
	v_or_b32_sdwa v123, v124, v123 dst_sel:WORD_1 dst_unused:UNUSED_PAD src0_sel:BYTE_0 src1_sel:DWORD
	v_ashrrev_i32_e32 v124, s23, v125
	v_lshlrev_b32_e32 v126, 2, v126
	v_or_b32_sdwa v129, v129, v135 dst_sel:DWORD dst_unused:UNUSED_PAD src0_sel:BYTE_0 src1_sel:DWORD
	v_and_b32_e32 v125, 0x3030303, v124
	v_bfe_u32 v124, v124, 24, 2
	v_and_b32_e32 v126, 0x4040404, v126
	v_or_b32_sdwa v123, v129, v123 dst_sel:DWORD dst_unused:UNUSED_PAD src0_sel:WORD_0 src1_sel:DWORD
	v_sub_u16_e32 v127, v125, v126
	v_sub_u16_sdwa v129, v125, v126 dst_sel:BYTE_1 dst_unused:UNUSED_PAD src0_sel:BYTE_1 src1_sel:BYTE_1
	v_sub_u16_sdwa v124, v124, v126 dst_sel:BYTE_1 dst_unused:UNUSED_PAD src0_sel:DWORD src1_sel:BYTE_3
	v_sub_u16_sdwa v125, v125, v126 dst_sel:DWORD dst_unused:UNUSED_PAD src0_sel:WORD_1 src1_sel:WORD_1
	v_or_b32_sdwa v127, v127, v129 dst_sel:DWORD dst_unused:UNUSED_PAD src0_sel:BYTE_0 src1_sel:DWORD
	v_or_b32_sdwa v124, v125, v124 dst_sel:WORD_1 dst_unused:UNUSED_PAD src0_sel:BYTE_0 src1_sel:DWORD
	v_or_b32_sdwa v125, v127, v124 dst_sel:DWORD dst_unused:UNUSED_PAD src0_sel:WORD_0 src1_sel:DWORD
	v_add_u32_e32 v124, s33, v91
	v_add_u32_e32 v126, s35, v35
	ds_read_b32 v126, v126
	ds_read_u16 v124, v124 offset:25330
	v_mov_b32_e32 v127, 0
	v_dot4c_i32_i8_e32 v127, v128, v6
	v_dot4c_i32_i8_e32 v127, v130, v7
	;; [unrolled: 1-line block ×4, first 2 shown]
	s_waitcnt lgkmcnt(0)
	v_lshrrev_b16_e32 v128, 8, v124
	v_bfe_i32 v124, v124, 0, 8
	v_add_lshl_u32 v129, v37, s31, 2
	v_mul_lo_u32 v124, v127, v124
	v_mov_b32_e32 v127, 0
	v_dot4c_i32_i8_e32 v127, v133, v2
	v_dot4c_i32_i8_e32 v127, v134, v3
	;; [unrolled: 1-line block ×4, first 2 shown]
	v_bfe_i32 v123, v128, 0, 8
                                        ; kill: def $vgpr125 killed $sgpr0 killed $exec
	s_nop 1
	v_mad_u64_u32 v[124:125], s[36:37], v127, v123, v[124:125]
	v_cvt_f32_i32_e32 v124, v124
	v_mul_f32_e32 v123, v122, v126
	v_add_u32_e32 v126, 0x4200, v129
	ds_read2_b32 v[126:127], v126 offset1:1
	v_fmac_f32_e32 v15, v123, v124
	v_add_u32_e32 v123, s34, v39
	ds_read2_b32 v[124:125], v123 offset1:1
	s_waitcnt lgkmcnt(1)
	v_ashrrev_i32_e32 v126, s3, v126
	v_lshlrev_b32_e32 v126, 2, v126
	v_and_b32_e32 v126, 0x4040404, v126
	s_waitcnt lgkmcnt(0)
	v_ashrrev_i32_e32 v124, s23, v124
	v_and_b32_e32 v128, 0x3030303, v124
	v_bfe_u32 v124, v124, 24, 2
	v_sub_u16_e32 v130, v128, v126
	v_sub_u16_sdwa v131, v128, v126 dst_sel:BYTE_1 dst_unused:UNUSED_PAD src0_sel:BYTE_1 src1_sel:BYTE_1
	v_sub_u16_sdwa v124, v124, v126 dst_sel:BYTE_1 dst_unused:UNUSED_PAD src0_sel:DWORD src1_sel:BYTE_3
	v_sub_u16_sdwa v126, v128, v126 dst_sel:DWORD dst_unused:UNUSED_PAD src0_sel:WORD_1 src1_sel:WORD_1
	v_or_b32_sdwa v130, v130, v131 dst_sel:DWORD dst_unused:UNUSED_PAD src0_sel:BYTE_0 src1_sel:DWORD
	v_or_b32_sdwa v124, v126, v124 dst_sel:WORD_1 dst_unused:UNUSED_PAD src0_sel:BYTE_0 src1_sel:DWORD
	v_ashrrev_i32_e32 v126, s3, v127
	v_or_b32_sdwa v128, v130, v124 dst_sel:DWORD dst_unused:UNUSED_PAD src0_sel:WORD_0 src1_sel:DWORD
	v_ashrrev_i32_e32 v124, s23, v125
	v_lshlrev_b32_e32 v126, 2, v126
	v_and_b32_e32 v125, 0x3030303, v124
	v_bfe_u32 v124, v124, 24, 2
	v_and_b32_e32 v126, 0x4040404, v126
	v_sub_u16_e32 v127, v125, v126
	v_sub_u16_sdwa v130, v125, v126 dst_sel:BYTE_1 dst_unused:UNUSED_PAD src0_sel:BYTE_1 src1_sel:BYTE_1
	v_sub_u16_sdwa v124, v124, v126 dst_sel:BYTE_1 dst_unused:UNUSED_PAD src0_sel:DWORD src1_sel:BYTE_3
	v_sub_u16_sdwa v125, v125, v126 dst_sel:DWORD dst_unused:UNUSED_PAD src0_sel:WORD_1 src1_sel:WORD_1
	v_or_b32_sdwa v127, v127, v130 dst_sel:DWORD dst_unused:UNUSED_PAD src0_sel:BYTE_0 src1_sel:DWORD
	v_or_b32_sdwa v124, v125, v124 dst_sel:WORD_1 dst_unused:UNUSED_PAD src0_sel:BYTE_0 src1_sel:DWORD
	v_add_u32_e32 v126, 0x4208, v129
	v_or_b32_sdwa v130, v127, v124 dst_sel:DWORD dst_unused:UNUSED_PAD src0_sel:WORD_0 src1_sel:DWORD
	ds_read2_b32 v[124:125], v123 offset0:2 offset1:3
	ds_read2_b32 v[126:127], v126 offset1:1
	s_waitcnt lgkmcnt(1)
	v_ashrrev_i32_e32 v124, s23, v124
	s_waitcnt lgkmcnt(0)
	v_ashrrev_i32_e32 v126, s3, v126
	v_lshlrev_b32_e32 v126, 2, v126
	v_and_b32_e32 v131, 0x3030303, v124
	v_bfe_u32 v124, v124, 24, 2
	v_and_b32_e32 v126, 0x4040404, v126
	v_sub_u16_e32 v132, v131, v126
	v_sub_u16_sdwa v133, v131, v126 dst_sel:BYTE_1 dst_unused:UNUSED_PAD src0_sel:BYTE_1 src1_sel:BYTE_1
	v_sub_u16_sdwa v124, v124, v126 dst_sel:BYTE_1 dst_unused:UNUSED_PAD src0_sel:DWORD src1_sel:BYTE_3
	v_sub_u16_sdwa v126, v131, v126 dst_sel:DWORD dst_unused:UNUSED_PAD src0_sel:WORD_1 src1_sel:WORD_1
	v_or_b32_sdwa v132, v132, v133 dst_sel:DWORD dst_unused:UNUSED_PAD src0_sel:BYTE_0 src1_sel:DWORD
	v_or_b32_sdwa v124, v126, v124 dst_sel:WORD_1 dst_unused:UNUSED_PAD src0_sel:BYTE_0 src1_sel:DWORD
	v_ashrrev_i32_e32 v126, s3, v127
	v_or_b32_sdwa v131, v132, v124 dst_sel:DWORD dst_unused:UNUSED_PAD src0_sel:WORD_0 src1_sel:DWORD
	v_ashrrev_i32_e32 v124, s23, v125
	v_lshlrev_b32_e32 v126, 2, v126
	v_and_b32_e32 v125, 0x3030303, v124
	v_bfe_u32 v124, v124, 24, 2
	v_and_b32_e32 v126, 0x4040404, v126
	v_sub_u16_e32 v127, v125, v126
	v_sub_u16_sdwa v132, v125, v126 dst_sel:BYTE_1 dst_unused:UNUSED_PAD src0_sel:BYTE_1 src1_sel:BYTE_1
	v_sub_u16_sdwa v124, v124, v126 dst_sel:BYTE_1 dst_unused:UNUSED_PAD src0_sel:DWORD src1_sel:BYTE_3
	v_sub_u16_sdwa v125, v125, v126 dst_sel:DWORD dst_unused:UNUSED_PAD src0_sel:WORD_1 src1_sel:WORD_1
	v_or_b32_sdwa v127, v127, v132 dst_sel:DWORD dst_unused:UNUSED_PAD src0_sel:BYTE_0 src1_sel:DWORD
	v_or_b32_sdwa v124, v125, v124 dst_sel:WORD_1 dst_unused:UNUSED_PAD src0_sel:BYTE_0 src1_sel:DWORD
	v_add_u32_e32 v126, 0x4210, v129
	v_or_b32_sdwa v132, v127, v124 dst_sel:DWORD dst_unused:UNUSED_PAD src0_sel:WORD_0 src1_sel:DWORD
	ds_read2_b32 v[124:125], v123 offset0:4 offset1:5
	ds_read2_b32 v[126:127], v126 offset1:1
	s_waitcnt lgkmcnt(1)
	v_ashrrev_i32_e32 v124, s23, v124
	s_waitcnt lgkmcnt(0)
	v_ashrrev_i32_e32 v126, s3, v126
	v_lshlrev_b32_e32 v126, 2, v126
	v_and_b32_e32 v133, 0x3030303, v124
	v_bfe_u32 v124, v124, 24, 2
	v_and_b32_e32 v126, 0x4040404, v126
	;; [unrolled: 31-line block ×3, first 2 shown]
	v_sub_u16_e32 v129, v124, v126
	v_sub_u16_sdwa v135, v124, v126 dst_sel:BYTE_1 dst_unused:UNUSED_PAD src0_sel:BYTE_1 src1_sel:BYTE_1
	v_sub_u16_sdwa v123, v123, v126 dst_sel:BYTE_1 dst_unused:UNUSED_PAD src0_sel:DWORD src1_sel:BYTE_3
	v_sub_u16_sdwa v124, v124, v126 dst_sel:DWORD dst_unused:UNUSED_PAD src0_sel:WORD_1 src1_sel:WORD_1
	v_ashrrev_i32_e32 v126, s3, v127
	v_or_b32_sdwa v123, v124, v123 dst_sel:WORD_1 dst_unused:UNUSED_PAD src0_sel:BYTE_0 src1_sel:DWORD
	v_ashrrev_i32_e32 v124, s23, v125
	v_lshlrev_b32_e32 v126, 2, v126
	v_or_b32_sdwa v129, v129, v135 dst_sel:DWORD dst_unused:UNUSED_PAD src0_sel:BYTE_0 src1_sel:DWORD
	v_and_b32_e32 v125, 0x3030303, v124
	v_bfe_u32 v124, v124, 24, 2
	v_and_b32_e32 v126, 0x4040404, v126
	v_or_b32_sdwa v123, v129, v123 dst_sel:DWORD dst_unused:UNUSED_PAD src0_sel:WORD_0 src1_sel:DWORD
	v_sub_u16_e32 v127, v125, v126
	v_sub_u16_sdwa v129, v125, v126 dst_sel:BYTE_1 dst_unused:UNUSED_PAD src0_sel:BYTE_1 src1_sel:BYTE_1
	v_sub_u16_sdwa v124, v124, v126 dst_sel:BYTE_1 dst_unused:UNUSED_PAD src0_sel:DWORD src1_sel:BYTE_3
	v_sub_u16_sdwa v125, v125, v126 dst_sel:DWORD dst_unused:UNUSED_PAD src0_sel:WORD_1 src1_sel:WORD_1
	v_or_b32_sdwa v127, v127, v129 dst_sel:DWORD dst_unused:UNUSED_PAD src0_sel:BYTE_0 src1_sel:DWORD
	v_or_b32_sdwa v124, v125, v124 dst_sel:WORD_1 dst_unused:UNUSED_PAD src0_sel:BYTE_0 src1_sel:DWORD
	v_or_b32_sdwa v125, v127, v124 dst_sel:DWORD dst_unused:UNUSED_PAD src0_sel:WORD_0 src1_sel:DWORD
	v_add_u32_e32 v124, s33, v89
	v_add_u32_e32 v126, s35, v41
	ds_read_b32 v126, v126
	ds_read_u16 v124, v124 offset:26354
	v_mov_b32_e32 v127, 0
	v_dot4c_i32_i8_e32 v127, v128, v6
	v_dot4c_i32_i8_e32 v127, v130, v7
	;; [unrolled: 1-line block ×4, first 2 shown]
	s_waitcnt lgkmcnt(0)
	v_lshrrev_b16_e32 v128, 8, v124
	v_bfe_i32 v124, v124, 0, 8
	v_add_lshl_u32 v129, v43, s31, 2
	v_mul_lo_u32 v124, v127, v124
	v_mov_b32_e32 v127, 0
	v_dot4c_i32_i8_e32 v127, v133, v2
	v_dot4c_i32_i8_e32 v127, v134, v3
	;; [unrolled: 1-line block ×4, first 2 shown]
	v_bfe_i32 v123, v128, 0, 8
                                        ; kill: def $vgpr125 killed $sgpr0 killed $exec
	s_nop 1
	v_mad_u64_u32 v[124:125], s[36:37], v127, v123, v[124:125]
	v_cvt_f32_i32_e32 v124, v124
	v_mul_f32_e32 v123, v122, v126
	v_add_u32_e32 v126, 0x4200, v129
	ds_read2_b32 v[126:127], v126 offset1:1
	v_fmac_f32_e32 v63, v123, v124
	v_add_u32_e32 v123, s34, v45
	ds_read2_b32 v[124:125], v123 offset1:1
	s_waitcnt lgkmcnt(1)
	v_ashrrev_i32_e32 v126, s3, v126
	v_lshlrev_b32_e32 v126, 2, v126
	v_and_b32_e32 v126, 0x4040404, v126
	s_waitcnt lgkmcnt(0)
	v_ashrrev_i32_e32 v124, s23, v124
	v_and_b32_e32 v128, 0x3030303, v124
	v_bfe_u32 v124, v124, 24, 2
	v_sub_u16_e32 v130, v128, v126
	v_sub_u16_sdwa v131, v128, v126 dst_sel:BYTE_1 dst_unused:UNUSED_PAD src0_sel:BYTE_1 src1_sel:BYTE_1
	v_sub_u16_sdwa v124, v124, v126 dst_sel:BYTE_1 dst_unused:UNUSED_PAD src0_sel:DWORD src1_sel:BYTE_3
	v_sub_u16_sdwa v126, v128, v126 dst_sel:DWORD dst_unused:UNUSED_PAD src0_sel:WORD_1 src1_sel:WORD_1
	v_or_b32_sdwa v130, v130, v131 dst_sel:DWORD dst_unused:UNUSED_PAD src0_sel:BYTE_0 src1_sel:DWORD
	v_or_b32_sdwa v124, v126, v124 dst_sel:WORD_1 dst_unused:UNUSED_PAD src0_sel:BYTE_0 src1_sel:DWORD
	v_ashrrev_i32_e32 v126, s3, v127
	v_or_b32_sdwa v128, v130, v124 dst_sel:DWORD dst_unused:UNUSED_PAD src0_sel:WORD_0 src1_sel:DWORD
	v_ashrrev_i32_e32 v124, s23, v125
	v_lshlrev_b32_e32 v126, 2, v126
	v_and_b32_e32 v125, 0x3030303, v124
	v_bfe_u32 v124, v124, 24, 2
	v_and_b32_e32 v126, 0x4040404, v126
	v_sub_u16_e32 v127, v125, v126
	v_sub_u16_sdwa v130, v125, v126 dst_sel:BYTE_1 dst_unused:UNUSED_PAD src0_sel:BYTE_1 src1_sel:BYTE_1
	v_sub_u16_sdwa v124, v124, v126 dst_sel:BYTE_1 dst_unused:UNUSED_PAD src0_sel:DWORD src1_sel:BYTE_3
	v_sub_u16_sdwa v125, v125, v126 dst_sel:DWORD dst_unused:UNUSED_PAD src0_sel:WORD_1 src1_sel:WORD_1
	v_or_b32_sdwa v127, v127, v130 dst_sel:DWORD dst_unused:UNUSED_PAD src0_sel:BYTE_0 src1_sel:DWORD
	v_or_b32_sdwa v124, v125, v124 dst_sel:WORD_1 dst_unused:UNUSED_PAD src0_sel:BYTE_0 src1_sel:DWORD
	v_add_u32_e32 v126, 0x4208, v129
	v_or_b32_sdwa v130, v127, v124 dst_sel:DWORD dst_unused:UNUSED_PAD src0_sel:WORD_0 src1_sel:DWORD
	ds_read2_b32 v[124:125], v123 offset0:2 offset1:3
	ds_read2_b32 v[126:127], v126 offset1:1
	s_waitcnt lgkmcnt(1)
	v_ashrrev_i32_e32 v124, s23, v124
	s_waitcnt lgkmcnt(0)
	v_ashrrev_i32_e32 v126, s3, v126
	v_lshlrev_b32_e32 v126, 2, v126
	v_and_b32_e32 v131, 0x3030303, v124
	v_bfe_u32 v124, v124, 24, 2
	v_and_b32_e32 v126, 0x4040404, v126
	v_sub_u16_e32 v132, v131, v126
	v_sub_u16_sdwa v133, v131, v126 dst_sel:BYTE_1 dst_unused:UNUSED_PAD src0_sel:BYTE_1 src1_sel:BYTE_1
	v_sub_u16_sdwa v124, v124, v126 dst_sel:BYTE_1 dst_unused:UNUSED_PAD src0_sel:DWORD src1_sel:BYTE_3
	v_sub_u16_sdwa v126, v131, v126 dst_sel:DWORD dst_unused:UNUSED_PAD src0_sel:WORD_1 src1_sel:WORD_1
	v_or_b32_sdwa v132, v132, v133 dst_sel:DWORD dst_unused:UNUSED_PAD src0_sel:BYTE_0 src1_sel:DWORD
	v_or_b32_sdwa v124, v126, v124 dst_sel:WORD_1 dst_unused:UNUSED_PAD src0_sel:BYTE_0 src1_sel:DWORD
	v_ashrrev_i32_e32 v126, s3, v127
	v_or_b32_sdwa v131, v132, v124 dst_sel:DWORD dst_unused:UNUSED_PAD src0_sel:WORD_0 src1_sel:DWORD
	v_ashrrev_i32_e32 v124, s23, v125
	v_lshlrev_b32_e32 v126, 2, v126
	v_and_b32_e32 v125, 0x3030303, v124
	v_bfe_u32 v124, v124, 24, 2
	v_and_b32_e32 v126, 0x4040404, v126
	v_sub_u16_e32 v127, v125, v126
	v_sub_u16_sdwa v132, v125, v126 dst_sel:BYTE_1 dst_unused:UNUSED_PAD src0_sel:BYTE_1 src1_sel:BYTE_1
	v_sub_u16_sdwa v124, v124, v126 dst_sel:BYTE_1 dst_unused:UNUSED_PAD src0_sel:DWORD src1_sel:BYTE_3
	v_sub_u16_sdwa v125, v125, v126 dst_sel:DWORD dst_unused:UNUSED_PAD src0_sel:WORD_1 src1_sel:WORD_1
	v_or_b32_sdwa v127, v127, v132 dst_sel:DWORD dst_unused:UNUSED_PAD src0_sel:BYTE_0 src1_sel:DWORD
	v_or_b32_sdwa v124, v125, v124 dst_sel:WORD_1 dst_unused:UNUSED_PAD src0_sel:BYTE_0 src1_sel:DWORD
	v_add_u32_e32 v126, 0x4210, v129
	v_or_b32_sdwa v132, v127, v124 dst_sel:DWORD dst_unused:UNUSED_PAD src0_sel:WORD_0 src1_sel:DWORD
	ds_read2_b32 v[124:125], v123 offset0:4 offset1:5
	ds_read2_b32 v[126:127], v126 offset1:1
	s_waitcnt lgkmcnt(1)
	v_ashrrev_i32_e32 v124, s23, v124
	s_waitcnt lgkmcnt(0)
	v_ashrrev_i32_e32 v126, s3, v126
	v_lshlrev_b32_e32 v126, 2, v126
	v_and_b32_e32 v133, 0x3030303, v124
	v_bfe_u32 v124, v124, 24, 2
	v_and_b32_e32 v126, 0x4040404, v126
	;; [unrolled: 31-line block ×3, first 2 shown]
	v_sub_u16_e32 v129, v124, v126
	v_sub_u16_sdwa v135, v124, v126 dst_sel:BYTE_1 dst_unused:UNUSED_PAD src0_sel:BYTE_1 src1_sel:BYTE_1
	v_sub_u16_sdwa v123, v123, v126 dst_sel:BYTE_1 dst_unused:UNUSED_PAD src0_sel:DWORD src1_sel:BYTE_3
	v_sub_u16_sdwa v124, v124, v126 dst_sel:DWORD dst_unused:UNUSED_PAD src0_sel:WORD_1 src1_sel:WORD_1
	v_ashrrev_i32_e32 v126, s3, v127
	v_or_b32_sdwa v123, v124, v123 dst_sel:WORD_1 dst_unused:UNUSED_PAD src0_sel:BYTE_0 src1_sel:DWORD
	v_ashrrev_i32_e32 v124, s23, v125
	v_lshlrev_b32_e32 v126, 2, v126
	v_or_b32_sdwa v129, v129, v135 dst_sel:DWORD dst_unused:UNUSED_PAD src0_sel:BYTE_0 src1_sel:DWORD
	v_and_b32_e32 v125, 0x3030303, v124
	v_bfe_u32 v124, v124, 24, 2
	v_and_b32_e32 v126, 0x4040404, v126
	v_or_b32_sdwa v123, v129, v123 dst_sel:DWORD dst_unused:UNUSED_PAD src0_sel:WORD_0 src1_sel:DWORD
	v_sub_u16_e32 v127, v125, v126
	v_sub_u16_sdwa v129, v125, v126 dst_sel:BYTE_1 dst_unused:UNUSED_PAD src0_sel:BYTE_1 src1_sel:BYTE_1
	v_sub_u16_sdwa v124, v124, v126 dst_sel:BYTE_1 dst_unused:UNUSED_PAD src0_sel:DWORD src1_sel:BYTE_3
	v_sub_u16_sdwa v125, v125, v126 dst_sel:DWORD dst_unused:UNUSED_PAD src0_sel:WORD_1 src1_sel:WORD_1
	v_or_b32_sdwa v127, v127, v129 dst_sel:DWORD dst_unused:UNUSED_PAD src0_sel:BYTE_0 src1_sel:DWORD
	v_or_b32_sdwa v124, v125, v124 dst_sel:WORD_1 dst_unused:UNUSED_PAD src0_sel:BYTE_0 src1_sel:DWORD
	v_or_b32_sdwa v125, v127, v124 dst_sel:DWORD dst_unused:UNUSED_PAD src0_sel:WORD_0 src1_sel:DWORD
	v_add_u32_e32 v124, s33, v87
	v_add_u32_e32 v126, s35, v47
	ds_read_b32 v126, v126
	ds_read_u16 v124, v124 offset:27378
	v_mov_b32_e32 v127, 0
	v_dot4c_i32_i8_e32 v127, v128, v6
	v_dot4c_i32_i8_e32 v127, v130, v7
	;; [unrolled: 1-line block ×4, first 2 shown]
	s_waitcnt lgkmcnt(0)
	v_lshrrev_b16_e32 v128, 8, v124
	v_bfe_i32 v124, v124, 0, 8
	v_add_lshl_u32 v129, v49, s31, 2
	v_mul_lo_u32 v124, v127, v124
	v_mov_b32_e32 v127, 0
	v_dot4c_i32_i8_e32 v127, v133, v2
	v_dot4c_i32_i8_e32 v127, v134, v3
	;; [unrolled: 1-line block ×4, first 2 shown]
	v_bfe_i32 v123, v128, 0, 8
                                        ; kill: def $vgpr125 killed $sgpr0 killed $exec
	s_nop 1
	v_mad_u64_u32 v[124:125], s[36:37], v127, v123, v[124:125]
	v_cvt_f32_i32_e32 v124, v124
	v_mul_f32_e32 v123, v122, v126
	v_add_u32_e32 v126, 0x4200, v129
	ds_read2_b32 v[126:127], v126 offset1:1
	v_fmac_f32_e32 v53, v123, v124
	v_add_u32_e32 v123, s34, v51
	ds_read2_b32 v[124:125], v123 offset1:1
	s_waitcnt lgkmcnt(1)
	v_ashrrev_i32_e32 v126, s3, v126
	v_lshlrev_b32_e32 v126, 2, v126
	v_and_b32_e32 v126, 0x4040404, v126
	s_waitcnt lgkmcnt(0)
	v_ashrrev_i32_e32 v124, s23, v124
	v_and_b32_e32 v128, 0x3030303, v124
	v_bfe_u32 v124, v124, 24, 2
	v_sub_u16_e32 v130, v128, v126
	v_sub_u16_sdwa v131, v128, v126 dst_sel:BYTE_1 dst_unused:UNUSED_PAD src0_sel:BYTE_1 src1_sel:BYTE_1
	v_sub_u16_sdwa v124, v124, v126 dst_sel:BYTE_1 dst_unused:UNUSED_PAD src0_sel:DWORD src1_sel:BYTE_3
	v_sub_u16_sdwa v126, v128, v126 dst_sel:DWORD dst_unused:UNUSED_PAD src0_sel:WORD_1 src1_sel:WORD_1
	v_or_b32_sdwa v130, v130, v131 dst_sel:DWORD dst_unused:UNUSED_PAD src0_sel:BYTE_0 src1_sel:DWORD
	v_or_b32_sdwa v124, v126, v124 dst_sel:WORD_1 dst_unused:UNUSED_PAD src0_sel:BYTE_0 src1_sel:DWORD
	v_ashrrev_i32_e32 v126, s3, v127
	v_or_b32_sdwa v128, v130, v124 dst_sel:DWORD dst_unused:UNUSED_PAD src0_sel:WORD_0 src1_sel:DWORD
	v_ashrrev_i32_e32 v124, s23, v125
	v_lshlrev_b32_e32 v126, 2, v126
	v_and_b32_e32 v125, 0x3030303, v124
	v_bfe_u32 v124, v124, 24, 2
	v_and_b32_e32 v126, 0x4040404, v126
	v_sub_u16_e32 v127, v125, v126
	v_sub_u16_sdwa v130, v125, v126 dst_sel:BYTE_1 dst_unused:UNUSED_PAD src0_sel:BYTE_1 src1_sel:BYTE_1
	v_sub_u16_sdwa v124, v124, v126 dst_sel:BYTE_1 dst_unused:UNUSED_PAD src0_sel:DWORD src1_sel:BYTE_3
	v_sub_u16_sdwa v125, v125, v126 dst_sel:DWORD dst_unused:UNUSED_PAD src0_sel:WORD_1 src1_sel:WORD_1
	v_or_b32_sdwa v127, v127, v130 dst_sel:DWORD dst_unused:UNUSED_PAD src0_sel:BYTE_0 src1_sel:DWORD
	v_or_b32_sdwa v124, v125, v124 dst_sel:WORD_1 dst_unused:UNUSED_PAD src0_sel:BYTE_0 src1_sel:DWORD
	v_add_u32_e32 v126, 0x4208, v129
	v_or_b32_sdwa v130, v127, v124 dst_sel:DWORD dst_unused:UNUSED_PAD src0_sel:WORD_0 src1_sel:DWORD
	ds_read2_b32 v[124:125], v123 offset0:2 offset1:3
	ds_read2_b32 v[126:127], v126 offset1:1
	s_waitcnt lgkmcnt(1)
	v_ashrrev_i32_e32 v124, s23, v124
	s_waitcnt lgkmcnt(0)
	v_ashrrev_i32_e32 v126, s3, v126
	v_lshlrev_b32_e32 v126, 2, v126
	v_and_b32_e32 v131, 0x3030303, v124
	v_bfe_u32 v124, v124, 24, 2
	v_and_b32_e32 v126, 0x4040404, v126
	v_sub_u16_e32 v132, v131, v126
	v_sub_u16_sdwa v133, v131, v126 dst_sel:BYTE_1 dst_unused:UNUSED_PAD src0_sel:BYTE_1 src1_sel:BYTE_1
	v_sub_u16_sdwa v124, v124, v126 dst_sel:BYTE_1 dst_unused:UNUSED_PAD src0_sel:DWORD src1_sel:BYTE_3
	v_sub_u16_sdwa v126, v131, v126 dst_sel:DWORD dst_unused:UNUSED_PAD src0_sel:WORD_1 src1_sel:WORD_1
	v_or_b32_sdwa v132, v132, v133 dst_sel:DWORD dst_unused:UNUSED_PAD src0_sel:BYTE_0 src1_sel:DWORD
	v_or_b32_sdwa v124, v126, v124 dst_sel:WORD_1 dst_unused:UNUSED_PAD src0_sel:BYTE_0 src1_sel:DWORD
	v_ashrrev_i32_e32 v126, s3, v127
	v_or_b32_sdwa v131, v132, v124 dst_sel:DWORD dst_unused:UNUSED_PAD src0_sel:WORD_0 src1_sel:DWORD
	v_ashrrev_i32_e32 v124, s23, v125
	v_lshlrev_b32_e32 v126, 2, v126
	v_and_b32_e32 v125, 0x3030303, v124
	v_bfe_u32 v124, v124, 24, 2
	v_and_b32_e32 v126, 0x4040404, v126
	v_sub_u16_e32 v127, v125, v126
	v_sub_u16_sdwa v132, v125, v126 dst_sel:BYTE_1 dst_unused:UNUSED_PAD src0_sel:BYTE_1 src1_sel:BYTE_1
	v_sub_u16_sdwa v124, v124, v126 dst_sel:BYTE_1 dst_unused:UNUSED_PAD src0_sel:DWORD src1_sel:BYTE_3
	v_sub_u16_sdwa v125, v125, v126 dst_sel:DWORD dst_unused:UNUSED_PAD src0_sel:WORD_1 src1_sel:WORD_1
	v_or_b32_sdwa v127, v127, v132 dst_sel:DWORD dst_unused:UNUSED_PAD src0_sel:BYTE_0 src1_sel:DWORD
	v_or_b32_sdwa v124, v125, v124 dst_sel:WORD_1 dst_unused:UNUSED_PAD src0_sel:BYTE_0 src1_sel:DWORD
	v_add_u32_e32 v126, 0x4210, v129
	v_or_b32_sdwa v132, v127, v124 dst_sel:DWORD dst_unused:UNUSED_PAD src0_sel:WORD_0 src1_sel:DWORD
	ds_read2_b32 v[124:125], v123 offset0:4 offset1:5
	ds_read2_b32 v[126:127], v126 offset1:1
	s_waitcnt lgkmcnt(1)
	v_ashrrev_i32_e32 v124, s23, v124
	s_waitcnt lgkmcnt(0)
	v_ashrrev_i32_e32 v126, s3, v126
	v_lshlrev_b32_e32 v126, 2, v126
	v_and_b32_e32 v133, 0x3030303, v124
	v_bfe_u32 v124, v124, 24, 2
	v_and_b32_e32 v126, 0x4040404, v126
	;; [unrolled: 31-line block ×3, first 2 shown]
	v_sub_u16_e32 v129, v124, v126
	v_sub_u16_sdwa v135, v124, v126 dst_sel:BYTE_1 dst_unused:UNUSED_PAD src0_sel:BYTE_1 src1_sel:BYTE_1
	v_sub_u16_sdwa v123, v123, v126 dst_sel:BYTE_1 dst_unused:UNUSED_PAD src0_sel:DWORD src1_sel:BYTE_3
	v_sub_u16_sdwa v124, v124, v126 dst_sel:DWORD dst_unused:UNUSED_PAD src0_sel:WORD_1 src1_sel:WORD_1
	v_ashrrev_i32_e32 v126, s3, v127
	v_or_b32_sdwa v123, v124, v123 dst_sel:WORD_1 dst_unused:UNUSED_PAD src0_sel:BYTE_0 src1_sel:DWORD
	v_ashrrev_i32_e32 v124, s23, v125
	v_lshlrev_b32_e32 v126, 2, v126
	v_or_b32_sdwa v129, v129, v135 dst_sel:DWORD dst_unused:UNUSED_PAD src0_sel:BYTE_0 src1_sel:DWORD
	v_and_b32_e32 v125, 0x3030303, v124
	v_bfe_u32 v124, v124, 24, 2
	v_and_b32_e32 v126, 0x4040404, v126
	v_or_b32_sdwa v123, v129, v123 dst_sel:DWORD dst_unused:UNUSED_PAD src0_sel:WORD_0 src1_sel:DWORD
	v_sub_u16_e32 v127, v125, v126
	v_sub_u16_sdwa v129, v125, v126 dst_sel:BYTE_1 dst_unused:UNUSED_PAD src0_sel:BYTE_1 src1_sel:BYTE_1
	v_sub_u16_sdwa v124, v124, v126 dst_sel:BYTE_1 dst_unused:UNUSED_PAD src0_sel:DWORD src1_sel:BYTE_3
	v_sub_u16_sdwa v125, v125, v126 dst_sel:DWORD dst_unused:UNUSED_PAD src0_sel:WORD_1 src1_sel:WORD_1
	v_or_b32_sdwa v127, v127, v129 dst_sel:DWORD dst_unused:UNUSED_PAD src0_sel:BYTE_0 src1_sel:DWORD
	v_or_b32_sdwa v124, v125, v124 dst_sel:WORD_1 dst_unused:UNUSED_PAD src0_sel:BYTE_0 src1_sel:DWORD
	v_or_b32_sdwa v124, v127, v124 dst_sel:DWORD dst_unused:UNUSED_PAD src0_sel:WORD_0 src1_sel:DWORD
	v_add_u32_e32 v125, s33, v85
	v_add_u32_e32 v126, s35, v55
	v_mov_b32_e32 v127, 0
	ds_read_b32 v126, v126
	v_dot4c_i32_i8_e32 v127, v128, v6
	ds_read_u16 v6, v125 offset:28402
	v_dot4c_i32_i8_e32 v127, v130, v7
	v_dot4c_i32_i8_e32 v127, v131, v8
	v_mov_b32_e32 v8, 0
	v_dot4c_i32_i8_e32 v8, v133, v2
	v_dot4c_i32_i8_e32 v8, v134, v3
	;; [unrolled: 1-line block ×3, first 2 shown]
	s_waitcnt lgkmcnt(0)
	v_lshrrev_b16_e32 v7, 8, v6
	v_bfe_i32 v6, v6, 0, 8
	v_dot4c_i32_i8_e32 v8, v123, v4
	v_mul_lo_u32 v6, v127, v6
	v_dot4c_i32_i8_e32 v8, v124, v5
	v_bfe_i32 v2, v7, 0, 8
	s_add_i32 s3, s3, 1
	s_cmp_lt_u32 s22, 30
	v_mad_u64_u32 v[2:3], s[34:35], v8, v2, v[6:7]
	v_cvt_f32_i32_e32 v2, v2
	v_mul_f32_e32 v3, v122, v126
	s_mov_b32 s33, s22
	v_fmac_f32_e32 v11, v3, v2
	s_cbranch_scc1 .LBB190_36
; %bb.37:                               ;   in Loop: Header=BB190_5 Depth=1
	s_barrier
	s_branch .LBB190_4
.LBB190_38:
	v_mov_b32_e32 v53, 0
	v_mov_b32_e32 v63, 0
	;; [unrolled: 1-line block ×3, first 2 shown]
.LBB190_39:
	s_mul_i32 s0, s14, s11
	s_waitcnt vmcnt(0)
	v_cmp_gt_i32_e32 vcc, s0, v13
	s_and_saveexec_b64 s[0:1], vcc
	s_cbranch_execz .LBB190_48
; %bb.40:
	v_and_b32_e32 v0, 0x3ff, v0
	v_add_u32_e32 v1, s15, v0
	v_mul_lo_u32 v0, v13, s13
	v_cmp_gt_u32_e32 vcc, s13, v1
	s_and_saveexec_b64 s[0:1], vcc
	s_cbranch_execz .LBB190_42
; %bb.41:
	v_add_u32_e32 v2, v0, v1
	v_mov_b32_e32 v3, 0
	v_lshlrev_b64 v[2:3], 2, v[2:3]
	v_mov_b32_e32 v4, s17
	v_add_co_u32_e32 v2, vcc, s16, v2
	v_addc_co_u32_e32 v3, vcc, v4, v3, vcc
	global_store_dword v[2:3], v15, off
.LBB190_42:
	s_or_b64 exec, exec, s[0:1]
	v_add_u32_e32 v2, 32, v1
	v_cmp_gt_u32_e32 vcc, s13, v2
	s_and_saveexec_b64 s[0:1], vcc
	s_cbranch_execz .LBB190_44
; %bb.43:
	v_add_u32_e32 v2, v0, v2
	v_mov_b32_e32 v3, 0
	v_lshlrev_b64 v[2:3], 2, v[2:3]
	v_mov_b32_e32 v4, s17
	v_add_co_u32_e32 v2, vcc, s16, v2
	v_addc_co_u32_e32 v3, vcc, v4, v3, vcc
	global_store_dword v[2:3], v63, off
.LBB190_44:
	s_or_b64 exec, exec, s[0:1]
	v_add_u32_e32 v2, 64, v1
	;; [unrolled: 14-line block ×3, first 2 shown]
	v_cmp_gt_u32_e32 vcc, s13, v1
	s_and_b64 exec, exec, vcc
	s_cbranch_execz .LBB190_48
; %bb.47:
	v_add_u32_e32 v0, v0, v1
	v_mov_b32_e32 v1, 0
	v_lshlrev_b64 v[0:1], 2, v[0:1]
	v_mov_b32_e32 v2, s17
	v_add_co_u32_e32 v0, vcc, s16, v0
	v_addc_co_u32_e32 v1, vcc, v2, v1, vcc
	global_store_dword v[0:1], v11, off
.LBB190_48:
	s_endpgm
	.section	.rodata,"a",@progbits
	.p2align	6, 0x0
	.amdhsa_kernel _ZL8moe_q3_KIfLb1EEvPKvS1_PT_PKiS5_S5_iiiiiii
		.amdhsa_group_segment_fixed_size 31776
		.amdhsa_private_segment_fixed_size 0
		.amdhsa_kernarg_size 76
		.amdhsa_user_sgpr_count 6
		.amdhsa_user_sgpr_private_segment_buffer 1
		.amdhsa_user_sgpr_dispatch_ptr 0
		.amdhsa_user_sgpr_queue_ptr 0
		.amdhsa_user_sgpr_kernarg_segment_ptr 1
		.amdhsa_user_sgpr_dispatch_id 0
		.amdhsa_user_sgpr_flat_scratch_init 0
		.amdhsa_user_sgpr_kernarg_preload_length 0
		.amdhsa_user_sgpr_kernarg_preload_offset 0
		.amdhsa_user_sgpr_private_segment_size 0
		.amdhsa_uses_dynamic_stack 0
		.amdhsa_system_sgpr_private_segment_wavefront_offset 0
		.amdhsa_system_sgpr_workgroup_id_x 1
		.amdhsa_system_sgpr_workgroup_id_y 1
		.amdhsa_system_sgpr_workgroup_id_z 0
		.amdhsa_system_sgpr_workgroup_info 0
		.amdhsa_system_vgpr_workitem_id 1
		.amdhsa_next_free_vgpr 150
		.amdhsa_next_free_sgpr 40
		.amdhsa_accum_offset 152
		.amdhsa_reserve_vcc 1
		.amdhsa_reserve_flat_scratch 0
		.amdhsa_float_round_mode_32 0
		.amdhsa_float_round_mode_16_64 0
		.amdhsa_float_denorm_mode_32 3
		.amdhsa_float_denorm_mode_16_64 3
		.amdhsa_dx10_clamp 1
		.amdhsa_ieee_mode 1
		.amdhsa_fp16_overflow 0
		.amdhsa_tg_split 0
		.amdhsa_exception_fp_ieee_invalid_op 0
		.amdhsa_exception_fp_denorm_src 0
		.amdhsa_exception_fp_ieee_div_zero 0
		.amdhsa_exception_fp_ieee_overflow 0
		.amdhsa_exception_fp_ieee_underflow 0
		.amdhsa_exception_fp_ieee_inexact 0
		.amdhsa_exception_int_div_zero 0
	.end_amdhsa_kernel
	.section	.text._ZL8moe_q3_KIfLb1EEvPKvS1_PT_PKiS5_S5_iiiiiii,"axG",@progbits,_ZL8moe_q3_KIfLb1EEvPKvS1_PT_PKiS5_S5_iiiiiii,comdat
.Lfunc_end190:
	.size	_ZL8moe_q3_KIfLb1EEvPKvS1_PT_PKiS5_S5_iiiiiii, .Lfunc_end190-_ZL8moe_q3_KIfLb1EEvPKvS1_PT_PKiS5_S5_iiiiiii
                                        ; -- End function
	.section	.AMDGPU.csdata,"",@progbits
; Kernel info:
; codeLenInByte = 20496
; NumSgprs: 44
; NumVgprs: 150
; NumAgprs: 0
; TotalNumVgprs: 150
; ScratchSize: 0
; MemoryBound: 0
; FloatMode: 240
; IeeeMode: 1
; LDSByteSize: 31776 bytes/workgroup (compile time only)
; SGPRBlocks: 5
; VGPRBlocks: 18
; NumSGPRsForWavesPerEU: 44
; NumVGPRsForWavesPerEU: 150
; AccumOffset: 152
; Occupancy: 2
; WaveLimiterHint : 1
; COMPUTE_PGM_RSRC2:SCRATCH_EN: 0
; COMPUTE_PGM_RSRC2:USER_SGPR: 6
; COMPUTE_PGM_RSRC2:TRAP_HANDLER: 0
; COMPUTE_PGM_RSRC2:TGID_X_EN: 1
; COMPUTE_PGM_RSRC2:TGID_Y_EN: 1
; COMPUTE_PGM_RSRC2:TGID_Z_EN: 0
; COMPUTE_PGM_RSRC2:TIDIG_COMP_CNT: 1
; COMPUTE_PGM_RSRC3_GFX90A:ACCUM_OFFSET: 37
; COMPUTE_PGM_RSRC3_GFX90A:TG_SPLIT: 0
	.section	.text._ZL8moe_q4_KIfLb0EEvPKvS1_PT_PKiS5_S5_iiiiiii,"axG",@progbits,_ZL8moe_q4_KIfLb0EEvPKvS1_PT_PKiS5_S5_iiiiiii,comdat
	.globl	_ZL8moe_q4_KIfLb0EEvPKvS1_PT_PKiS5_S5_iiiiiii ; -- Begin function _ZL8moe_q4_KIfLb0EEvPKvS1_PT_PKiS5_S5_iiiiiii
	.p2align	8
	.type	_ZL8moe_q4_KIfLb0EEvPKvS1_PT_PKiS5_S5_iiiiiii,@function
_ZL8moe_q4_KIfLb0EEvPKvS1_PT_PKiS5_S5_iiiiiii: ; @_ZL8moe_q4_KIfLb0EEvPKvS1_PT_PKiS5_S5_iiiiiii
; %bb.0:
	s_load_dwordx4 s[0:3], s[4:5], 0x18
	s_mov_b32 s8, s7
	s_mov_b32 s9, 0
	s_lshl_b64 s[10:11], s[8:9], 2
	s_waitcnt lgkmcnt(0)
	s_add_u32 s2, s2, s10
	s_addc_u32 s3, s3, s11
	s_load_dword s2, s[2:3], 0x0
	s_waitcnt lgkmcnt(0)
	s_cmpk_gt_u32 s2, 0xff
	s_cbranch_scc1 .LBB191_28
; %bb.1:
	s_load_dwordx2 s[10:11], s[4:5], 0x28
	s_lshl_b32 s3, s8, 3
	s_waitcnt lgkmcnt(0)
	s_load_dword s7, s[10:11], 0x0
	s_waitcnt lgkmcnt(0)
	s_cmp_gt_u32 s3, s7
	s_cbranch_scc1 .LBB191_28
; %bb.2:
	v_bfe_u32 v2, v0, 10, 10
	v_add_u32_e32 v48, s3, v2
	v_mov_b32_e32 v49, 0
	v_lshlrev_b64 v[4:5], 2, v[48:49]
	v_mov_b32_e32 v1, s1
	v_add_co_u32_e32 v4, vcc, s0, v4
	v_addc_co_u32_e32 v5, vcc, v1, v5, vcc
	global_load_dword v90, v[4:5], off
	s_load_dwordx2 s[18:19], s[4:5], 0x30
	s_load_dwordx2 s[16:17], s[4:5], 0x10
	s_load_dwordx4 s[8:11], s[4:5], 0x3c
	s_lshl_b32 s24, s6, 7
	s_mov_b32 s20, 0
	s_waitcnt lgkmcnt(0)
	s_cmpk_lt_i32 s19, 0x100
	s_cbranch_scc1 .LBB191_18
; %bb.3:
	s_ashr_i32 s0, s19, 31
	s_lshr_b32 s0, s0, 24
	s_add_i32 s0, s19, s0
	s_ashr_i32 s25, s0, 8
	s_ashr_i32 s0, s9, 31
	s_lshr_b32 s0, s0, 27
	s_add_i32 s0, s9, s0
	v_and_b32_e32 v91, 0x3ff, v0
	s_ashr_i32 s9, s0, 5
	v_lshlrev_b32_e32 v1, 2, v91
	s_movk_i32 s0, 0x84
	v_mad_u32_u24 v92, v2, s0, v1
	s_lshl_b32 s0, s25, 3
	v_mov_b32_e32 v4, s0
	v_mad_i32_i24 v9, s25, v2, v4
	v_add_u32_e32 v10, s0, v9
	v_add_u32_e32 v11, s0, v10
	;; [unrolled: 1-line block ×6, first 2 shown]
	v_lshlrev_b32_e32 v4, 5, v2
	v_add_u32_e32 v16, s0, v15
	v_add_u32_e32 v5, v4, v91
	v_and_b32_e32 v24, 3, v91
	v_add_u32_e32 v17, s0, v16
	v_and_b32_e32 v7, 0x7f, v5
	v_lshrrev_b32_e32 v22, 3, v5
	v_add_u32_e32 v25, 0xfe, v24
	v_cmp_gt_u32_e32 vcc, 2, v24
	s_mul_i32 s18, s2, s18
	v_add_u32_e32 v18, s0, v17
	v_mul_i32_i24_e32 v58, s25, v7
	v_and_b32_e32 v22, 12, v22
	v_lshlrev_b32_e32 v7, 2, v7
	s_movk_i32 s2, 0x4e40
	v_cndmask_b32_e32 v25, v25, v24, vcc
	v_add_u32_e32 v19, s0, v18
	v_add3_u32 v108, v7, v22, s2
	v_lshlrev_b32_e32 v7, 3, v2
	v_lshrrev_b32_e32 v22, 2, v91
	v_and_b32_e32 v25, 0xff, v25
	v_cmp_ne_u32_e32 vcc, 0, v24
	v_add_u32_e32 v20, s0, v19
	v_add_u32_e32 v23, v22, v7
	v_addc_co_u32_e32 v59, vcc, 0, v25, vcc
	v_add_u16_e32 v7, v22, v7
	v_add_u32_e32 v21, s0, v20
	v_cmp_lt_u32_e32 vcc, 1, v24
	v_and_b32_e32 v23, 0x7f, v23
	v_lshlrev_b32_e32 v24, 2, v24
	v_lshrrev_b16_e32 v7, 1, v7
	s_load_dwordx4 s[12:15], s[4:5], 0x0
	v_add_u32_e32 v49, s0, v21
	v_lshlrev_b32_e32 v110, 1, v25
	v_lshl_or_b32 v25, v23, 4, v24
	v_and_b32_e32 v7, 60, v7
	s_movk_i32 s0, 0x4200
	v_add3_u32 v111, v25, v7, s0
	v_xor_b32_e32 v7, 64, v23
	v_mul_i32_i24_e32 v66, s25, v7
	v_lshl_or_b32 v22, v7, 4, v24
	v_lshrrev_b32_e32 v7, 1, v7
	v_and_b32_e32 v7, 60, v7
	v_add3_u32 v112, v22, v7, s0
	v_and_b32_e32 v7, 28, v1
	v_and_or_b32 v4, v91, 31, v4
	s_waitcnt lgkmcnt(0)
	v_add_co_u32_e64 v22, s[0:1], s14, v7
	v_mov_b32_e32 v7, 0x4a40
	s_movk_i32 s3, 0xffe4
	v_lshl_add_u32 v113, v4, 2, v7
	v_mad_i32_i24 v4, v2, s3, v5
	v_mov_b32_e32 v5, 0x5050
	v_lshrrev_b32_e32 v115, 3, v91
	v_lshrrev_b32_e32 v3, 5, v91
	v_lshl_add_u32 v114, v4, 2, v5
	v_add_u32_e32 v4, v115, v1
	v_mov_b32_e32 v5, 0x4200
	v_lshl_add_u32 v118, v4, 2, v5
	v_lshlrev_b32_e32 v4, 2, v3
	v_add3_u32 v120, v4, v1, s2
	v_add_u32_e32 v4, 32, v91
	v_lshrrev_b32_e32 v121, 3, v4
	v_lshl_add_u32 v4, v4, 2, v121
	v_lshl_add_u32 v122, v4, 2, v5
	v_and_b32_e32 v4, 60, v121
	v_add3_u32 v123, v1, v4, s2
	v_add_u32_e32 v4, 64, v91
	v_lshl_add_u32 v116, v2, 7, v7
	v_lshrrev_b32_e32 v7, 3, v4
	v_lshl_add_u32 v4, v4, 2, v7
	s_abs_i32 s4, s11
	v_lshl_add_u32 v124, v4, 2, v5
	v_and_b32_e32 v4, 60, v7
	v_cvt_f32_u32_e32 v24, s4
	v_add3_u32 v125, v1, v4, s2
	v_add_u32_e32 v4, 0x60, v91
	v_lshrrev_b32_e32 v7, 3, v4
	v_lshl_add_u32 v4, v4, 2, v7
	v_lshl_add_u32 v126, v4, 2, v5
	v_rcp_iflag_f32_e32 v5, v24
	v_and_b32_e32 v4, 60, v7
	v_add3_u32 v127, v1, v4, s2
	s_sub_i32 s2, 0, s4
	v_mul_f32_e32 v4, 0x4f7ffffe, v5
	v_cvt_u32_f32_e32 v4, v4
	s_waitcnt vmcnt(0)
	v_sub_u32_e32 v5, 0, v90
	v_max_i32_e32 v5, v90, v5
	v_and_b32_e32 v8, 0x7c, v1
	v_mul_lo_u32 v7, s2, v4
	v_mul_hi_u32 v7, v4, v7
	v_add_u32_e32 v4, v4, v7
	v_mul_hi_u32 v4, v5, v4
	v_mul_lo_u32 v7, v4, s4
	v_sub_u32_e32 v5, v5, v7
	v_add_u32_e32 v7, 1, v4
	v_cmp_le_u32_e64 s[2:3], s4, v5
	v_cndmask_b32_e64 v4, v4, v7, s[2:3]
	v_subrev_u32_e32 v7, s4, v5
	v_cndmask_b32_e64 v5, v5, v7, s[2:3]
	v_and_b32_e32 v26, 4, v1
	v_xor_b32_e32 v1, s11, v90
	v_add_u32_e32 v7, 1, v4
	v_cmp_le_u32_e64 s[2:3], s4, v5
	s_mul_i32 s21, s25, s24
	v_ashrrev_i32_e32 v1, 31, v1
	v_cndmask_b32_e64 v4, v4, v7, s[2:3]
	v_xor_b32_e32 v4, v4, v1
	s_mul_hi_i32 s23, s21, 0x90
	s_mul_i32 s22, s21, 0x90
	v_sub_u32_e32 v1, v4, v1
	s_movk_i32 s27, 0x90
	v_pk_mov_b32 v[4:5], s[22:23], s[22:23] op_sel:[0,1]
	v_mul_i32_i24_e32 v6, s25, v2
	v_mad_u64_u32 v[4:5], s[4:5], v3, s27, v[4:5]
	v_mad_u64_u32 v[6:7], s[4:5], v6, s27, v[4:5]
	v_add_co_u32_e64 v3, s[4:5], v6, v8
	v_addc_co_u32_e64 v6, s[4:5], 0, v7, s[4:5]
	v_mov_b32_e32 v68, s13
	v_add_co_u32_e64 v3, s[4:5], s12, v3
	v_addc_co_u32_e64 v6, s[4:5], v6, v68, s[4:5]
	v_cndmask_b32_e32 v109, 0, v26, vcc
	v_add_co_u32_e64 v26, s[4:5], 16, v3
	v_addc_co_u32_e64 v25, s[4:5], 0, v6, s[4:5]
	v_mad_u64_u32 v[6:7], s[4:5], v9, s27, v[4:5]
	v_add_co_u32_e64 v3, s[4:5], v6, v8
	v_addc_co_u32_e64 v6, s[4:5], 0, v7, s[4:5]
	v_add_co_u32_e64 v3, s[4:5], s12, v3
	v_addc_co_u32_e64 v6, s[4:5], v6, v68, s[4:5]
	v_add_co_u32_e64 v28, s[4:5], 16, v3
	v_addc_co_u32_e64 v27, s[4:5], 0, v6, s[4:5]
	v_mad_u64_u32 v[6:7], s[4:5], v10, s27, v[4:5]
	v_add_co_u32_e64 v3, s[4:5], v6, v8
	v_addc_co_u32_e64 v6, s[4:5], 0, v7, s[4:5]
	v_add_co_u32_e64 v3, s[4:5], s12, v3
	v_addc_co_u32_e64 v6, s[4:5], v6, v68, s[4:5]
	;; [unrolled: 7-line block ×14, first 2 shown]
	v_add_co_u32_e64 v54, s[4:5], 16, v3
	v_addc_co_u32_e64 v55, s[4:5], 0, v6, s[4:5]
	s_mul_i32 s4, s25, 0x78
	v_mov_b32_e32 v3, s4
	v_lshlrev_b32_e32 v117, 4, v2
	v_mad_i32_i24 v2, s25, v2, v3
	v_mad_u64_u32 v[2:3], s[4:5], v2, s27, v[4:5]
	v_add_co_u32_e64 v2, s[4:5], v2, v8
	v_addc_co_u32_e64 v3, s[4:5], 0, v3, s[4:5]
	v_add_co_u32_e64 v2, s[4:5], s12, v2
	s_ashr_i32 s26, s18, 31
	v_addc_co_u32_e64 v3, s[4:5], v3, v68, s[4:5]
	s_add_u32 s6, s14, 0x90
	v_add_co_u32_e64 v56, s[4:5], 16, v2
	s_addc_u32 s7, s15, 0
	v_addc_co_u32_e64 v57, s[4:5], 0, v3, s[4:5]
	s_add_u32 s4, s12, s22
	s_addc_u32 s5, s13, s23
	v_mul_i32_i24_e32 v62, s25, v23
	v_pk_mov_b32 v[2:3], s[4:5], s[4:5] op_sel:[0,1]
	v_mad_u64_u32 v[60:61], s[4:5], v58, s27, v[2:3]
	v_mad_u64_u32 v[2:3], s[4:5], v62, s27, 0
	v_mov_b32_e32 v4, 0x90
	v_mad_i64_i32 v[2:3], s[4:5], s21, v4, v[2:3]
	v_lshlrev_b32_e32 v5, 2, v59
	v_add_co_u32_e64 v6, s[4:5], v2, v5
	v_addc_co_u32_e64 v7, s[4:5], 0, v3, s[4:5]
	v_add_co_u32_e64 v6, s[4:5], s12, v6
	v_addc_co_u32_e64 v7, s[4:5], v7, v68, s[4:5]
	v_add_co_u32_e64 v62, s[4:5], 4, v6
	v_cndmask_b32_e64 v6, 0, 1, vcc
	v_lshlrev_b32_e32 v6, 2, v6
	v_or_b32_e32 v2, v2, v6
	v_add_co_u32_e32 v2, vcc, s12, v2
	v_addc_co_u32_e32 v3, vcc, v3, v68, vcc
	v_add_co_u32_e32 v64, vcc, 4, v2
	v_addc_co_u32_e64 v63, s[4:5], 0, v7, s[4:5]
	v_addc_co_u32_e32 v65, vcc, 0, v3, vcc
	v_mad_u64_u32 v[2:3], s[4:5], v66, s27, 0
	v_mad_i64_i32 v[2:3], s[4:5], s21, v4, v[2:3]
	v_add_co_u32_e32 v4, vcc, v2, v5
	v_addc_co_u32_e32 v5, vcc, 0, v3, vcc
	v_add_co_u32_e32 v4, vcc, s12, v4
	v_addc_co_u32_e32 v5, vcc, v5, v68, vcc
	;; [unrolled: 2-line block ×3, first 2 shown]
	v_or_b32_e32 v2, v2, v6
	v_add_co_u32_e32 v2, vcc, s12, v2
	v_mov_b32_e32 v23, s15
	v_addc_co_u32_e32 v3, vcc, v3, v68, vcc
	v_addc_co_u32_e64 v23, s[0:1], 0, v23, s[0:1]
	v_mul_lo_u32 v24, v1, s9
	v_add_co_u32_e32 v68, vcc, 4, v2
	s_mov_b32 s21, s20
	v_mov_b32_e32 v83, 0
	v_add_u32_e32 v93, 0x420, v92
	v_add_u32_e32 v94, 0x840, v92
	;; [unrolled: 1-line block ×15, first 2 shown]
	v_cmp_gt_u32_e64 s[0:1], 4, v91
	v_mul_u32_u24_e32 v119, 0x84, v91
	v_cmp_gt_i32_e64 s[2:3], s8, v1
	v_ashrrev_i32_e32 v1, 31, v24
	v_addc_co_u32_e32 v69, vcc, 0, v3, vcc
	s_movk_i32 s12, 0x80
	v_pk_mov_b32 v[58:59], s[20:21], s[20:21] op_sel:[0,1]
	s_mov_b32 s13, 0x30303030
	v_mov_b32_e32 v49, 0
	s_branch .LBB191_6
.LBB191_4:                              ;   in Loop: Header=BB191_6 Depth=1
	s_or_b64 exec, exec, s[4:5]
	s_waitcnt lgkmcnt(0)
	s_barrier
	ds_read_b128 v[2:5], v117 offset:20560
	ds_read2_b32 v[70:71], v119 offset0:16 offset1:17
	ds_read_b128 v[18:21], v116
	ds_read_b128 v[14:17], v116 offset:16
	ds_read_b128 v[10:13], v116 offset:32
	ds_read_b128 v[6:9], v116 offset:48
	ds_read_b32 v82, v120
	s_waitcnt lgkmcnt(5)
	v_and_b32_e32 v72, 0xf0f0f0f, v70
	v_mov_b32_e32 v128, 0
	s_waitcnt lgkmcnt(4)
	v_dot4c_i32_i8_e32 v128, v72, v18
	ds_read2_b32 v[72:73], v119 offset0:18 offset1:19
	v_lshrrev_b32_e32 v70, 4, v70
	v_and_b32_e32 v70, 0xf0f0f0f, v70
	v_mov_b32_e32 v141, 0
	s_waitcnt lgkmcnt(3)
	v_dot4c_i32_i8_e32 v141, v70, v10
	v_lshrrev_b32_e32 v70, 4, v71
	v_and_b32_e32 v70, 0xf0f0f0f, v70
	v_and_b32_e32 v74, 0xf0f0f0f, v71
	v_dot4c_i32_i8_e32 v141, v70, v11
	s_waitcnt lgkmcnt(0)
	v_lshrrev_b32_e32 v70, 4, v72
	v_dot4c_i32_i8_e32 v128, v74, v19
	ds_read2_b32 v[74:75], v119 offset0:20 offset1:21
	ds_read2_b32 v[80:81], v119 offset0:22 offset1:23
	;; [unrolled: 1-line block ×3, first 2 shown]
	v_and_b32_e32 v70, 0xf0f0f0f, v70
	v_dot4c_i32_i8_e32 v141, v70, v12
	v_lshrrev_b32_e32 v70, 4, v73
	v_and_b32_e32 v70, 0xf0f0f0f, v70
	v_dot4c_i32_i8_e32 v141, v70, v13
	s_waitcnt lgkmcnt(2)
	v_lshrrev_b32_e32 v70, 4, v74
	v_and_b32_e32 v70, 0xf0f0f0f, v70
	v_dot4c_i32_i8_e32 v141, v70, v6
	v_lshrrev_b32_e32 v70, 4, v75
	v_and_b32_e32 v78, 0xf0f0f0f, v72
	v_and_b32_e32 v70, 0xf0f0f0f, v70
	v_dot4c_i32_i8_e32 v128, v78, v20
	v_and_b32_e32 v78, 0xf0f0f0f, v73
	v_dot4c_i32_i8_e32 v141, v70, v7
	s_waitcnt lgkmcnt(1)
	v_lshrrev_b32_e32 v70, 4, v80
	v_dot4c_i32_i8_e32 v128, v78, v21
	v_and_b32_e32 v78, 0xf0f0f0f, v74
	v_and_b32_e32 v70, 0xf0f0f0f, v70
	v_dot4c_i32_i8_e32 v128, v78, v14
	v_and_b32_e32 v78, 0xf0f0f0f, v75
	v_dot4c_i32_i8_e32 v141, v70, v8
	v_lshrrev_b32_e32 v70, 4, v81
	v_dot4c_i32_i8_e32 v128, v78, v15
	v_and_b32_e32 v84, 0xf0f0f0f, v80
	v_and_b32_e32 v70, 0xf0f0f0f, v70
	v_dot4c_i32_i8_e32 v128, v84, v16
	v_and_b32_e32 v84, 0xf0f0f0f, v81
	v_dot4c_i32_i8_e32 v141, v70, v9
	v_add_u32_e32 v70, 0x10c0, v119
	ds_read2_b32 v[78:79], v118 offset0:1 offset1:3
	v_dot4c_i32_i8_e32 v128, v84, v17
	ds_read2_b32 v[84:85], v119 offset0:26 offset1:27
	ds_read2_b32 v[86:87], v119 offset0:28 offset1:29
	;; [unrolled: 1-line block ×3, first 2 shown]
	ds_read2_b32 v[70:71], v70 offset1:1
	v_mov_b32_e32 v130, 0
	ds_read_b32 v131, v123 offset:128
	ds_read_b32 v129, v125 offset:256
	;; [unrolled: 1-line block ×3, first 2 shown]
	v_add_u32_e32 v74, 0x10d0, v119
	v_add_u32_e32 v136, 0x2140, v119
	s_waitcnt lgkmcnt(3)
	v_and_b32_e32 v72, 0xf0f0f0f, v70
	v_dot4c_i32_i8_e32 v130, v72, v18
	v_and_b32_e32 v72, 0xf0f0f0f, v71
	v_dot4c_i32_i8_e32 v130, v72, v19
	v_add_u32_e32 v72, 0x10c8, v119
	ds_read2_b32 v[72:73], v72 offset1:1
	v_add_u32_e32 v75, 0x10d8, v119
	ds_read2_b32 v[132:133], v74 offset1:1
	ds_read2_b32 v[134:135], v75 offset1:1
	;; [unrolled: 1-line block ×3, first 2 shown]
	v_lshrrev_b32_e32 v70, 4, v70
	v_and_b32_e32 v70, 0xf0f0f0f, v70
	s_waitcnt lgkmcnt(3)
	v_and_b32_e32 v74, 0xf0f0f0f, v72
	v_dot4c_i32_i8_e32 v130, v74, v20
	v_and_b32_e32 v74, 0xf0f0f0f, v73
	v_dot4c_i32_i8_e32 v130, v74, v21
	s_waitcnt lgkmcnt(2)
	v_and_b32_e32 v74, 0xf0f0f0f, v132
	v_dot4c_i32_i8_e32 v130, v74, v14
	v_and_b32_e32 v74, 0xf0f0f0f, v133
	v_dot4c_i32_i8_e32 v130, v74, v15
	ds_read2_b32 v[74:75], v122 offset0:1 offset1:3
	s_waitcnt lgkmcnt(2)
	v_and_b32_e32 v138, 0xf0f0f0f, v134
	v_dot4c_i32_i8_e32 v130, v138, v16
	v_and_b32_e32 v138, 0xf0f0f0f, v135
	v_dot4c_i32_i8_e32 v130, v138, v17
	s_waitcnt lgkmcnt(0)
	v_and_b32_e32 v138, 0xff, v74
	v_mov_b32_e32 v147, 0
	v_mov_b32_e32 v149, 0
	v_mul_lo_u32 v130, v130, v138
	v_cvt_f32_i32_e32 v143, v130
	v_mov_b32_e32 v130, 0
	v_dot4c_i32_i8_e32 v130, v70, v10
	v_lshrrev_b32_e32 v70, 4, v71
	v_and_b32_e32 v70, 0xf0f0f0f, v70
	v_dot4c_i32_i8_e32 v130, v70, v11
	v_lshrrev_b32_e32 v70, 4, v72
	v_and_b32_e32 v70, 0xf0f0f0f, v70
	;; [unrolled: 3-line block ×7, first 2 shown]
	v_dot4c_i32_i8_e32 v130, v70, v9
	v_bfe_u32 v70, v74, 8, 8
	v_add_u32_e32 v71, 0x2150, v119
	v_mov_b32_e32 v151, 0
	v_mul_lo_u32 v70, v130, v70
	v_cvt_f32_i32_e32 v145, v70
	v_and_b32_e32 v70, 0xf0f0f0f, v136
	v_dot4c_i32_i8_e32 v147, v70, v18
	v_and_b32_e32 v70, 0xf0f0f0f, v137
	v_dot4c_i32_i8_e32 v147, v70, v19
	v_add_u32_e32 v70, 0x2148, v119
	ds_read2_b32 v[72:73], v70 offset1:1
	v_lshrrev_b32_e32 v136, 4, v136
	v_and_b32_e32 v136, 0xf0f0f0f, v136
	v_add_u32_e32 v70, 0x31c0, v119
	v_dot4c_i32_i8_e32 v149, v136, v10
	v_lshrrev_b32_e32 v136, 4, v137
	v_add_u32_e32 v130, 0x2158, v119
	ds_read2_b32 v[132:133], v71 offset1:1
	ds_read2_b32 v[134:135], v130 offset1:1
	;; [unrolled: 1-line block ×3, first 2 shown]
	s_waitcnt lgkmcnt(3)
	v_and_b32_e32 v70, 0xf0f0f0f, v72
	v_and_b32_e32 v136, 0xf0f0f0f, v136
	v_lshrrev_b32_e32 v72, 4, v72
	v_dot4c_i32_i8_e32 v149, v136, v11
	v_and_b32_e32 v72, 0xf0f0f0f, v72
	v_dot4c_i32_i8_e32 v149, v72, v12
	v_lshrrev_b32_e32 v72, 4, v73
	v_and_b32_e32 v72, 0xf0f0f0f, v72
	v_dot4c_i32_i8_e32 v147, v70, v20
	v_and_b32_e32 v70, 0xf0f0f0f, v73
	v_dot4c_i32_i8_e32 v149, v72, v13
	s_waitcnt lgkmcnt(2)
	v_lshrrev_b32_e32 v72, 4, v132
	v_dot4c_i32_i8_e32 v147, v70, v21
	v_and_b32_e32 v70, 0xf0f0f0f, v132
	v_and_b32_e32 v72, 0xf0f0f0f, v72
	v_dot4c_i32_i8_e32 v147, v70, v14
	v_and_b32_e32 v70, 0xf0f0f0f, v133
	v_dot4c_i32_i8_e32 v149, v72, v6
	v_lshrrev_b32_e32 v72, 4, v133
	v_dot4c_i32_i8_e32 v147, v70, v15
	ds_read2_b32 v[70:71], v124 offset0:1 offset1:3
	v_and_b32_e32 v72, 0xf0f0f0f, v72
	v_dot4c_i32_i8_e32 v149, v72, v7
	s_waitcnt lgkmcnt(2)
	v_lshrrev_b32_e32 v72, 4, v134
	v_and_b32_e32 v72, 0xf0f0f0f, v72
	v_dot4c_i32_i8_e32 v149, v72, v8
	v_lshrrev_b32_e32 v72, 4, v135
	v_and_b32_e32 v72, 0xf0f0f0f, v72
	v_dot4c_i32_i8_e32 v149, v72, v9
	s_waitcnt lgkmcnt(0)
	v_bfe_u32 v72, v70, 8, 8
	v_and_b32_e32 v130, 0xf0f0f0f, v134
	v_add_u32_e32 v136, 0x10e0, v119
	v_mul_lo_u32 v72, v149, v72
	v_cvt_f32_i32_e32 v149, v72
	v_and_b32_e32 v72, 0xf0f0f0f, v138
	v_dot4c_i32_i8_e32 v151, v72, v18
	v_and_b32_e32 v18, 0xf0f0f0f, v139
	v_dot4c_i32_i8_e32 v151, v18, v19
	v_add_u32_e32 v18, 0x31c8, v119
	ds_read2_b32 v[18:19], v18 offset1:1
	v_add_u32_e32 v72, 0x31d0, v119
	v_dot4c_i32_i8_e32 v147, v130, v16
	v_and_b32_e32 v130, 0xf0f0f0f, v135
	v_add_u32_e32 v73, 0x31d8, v119
	ds_read2_b32 v[132:133], v72 offset1:1
	ds_read2_b32 v[134:135], v73 offset1:1
	;; [unrolled: 1-line block ×3, first 2 shown]
	s_waitcnt lgkmcnt(3)
	v_and_b32_e32 v72, 0xf0f0f0f, v18
	v_dot4c_i32_i8_e32 v151, v72, v20
	v_and_b32_e32 v20, 0xf0f0f0f, v19
	ds_read2_b32 v[72:73], v126 offset0:1 offset1:3
	v_dot4c_i32_i8_e32 v151, v20, v21
	s_waitcnt lgkmcnt(3)
	v_and_b32_e32 v20, 0xf0f0f0f, v132
	v_dot4c_i32_i8_e32 v151, v20, v14
	v_and_b32_e32 v14, 0xf0f0f0f, v133
	v_dot4c_i32_i8_e32 v151, v14, v15
	s_waitcnt lgkmcnt(2)
	v_and_b32_e32 v14, 0xf0f0f0f, v134
	v_dot4c_i32_i8_e32 v151, v14, v16
	v_and_b32_e32 v14, 0xf0f0f0f, v135
	v_dot4c_i32_i8_e32 v151, v14, v17
	s_waitcnt lgkmcnt(0)
	v_and_b32_e32 v14, 0xff, v72
	v_mov_b32_e32 v15, 0
	v_dot4c_i32_i8_e32 v147, v130, v17
	v_mul_lo_u32 v14, v151, v14
	v_cvt_f32_i32_e32 v151, v14
	v_lshrrev_b32_e32 v14, 4, v138
	v_and_b32_e32 v14, 0xf0f0f0f, v14
	v_dot4c_i32_i8_e32 v15, v14, v10
	v_lshrrev_b32_e32 v10, 4, v139
	v_and_b32_e32 v10, 0xf0f0f0f, v10
	v_dot4c_i32_i8_e32 v15, v10, v11
	;; [unrolled: 3-line block ×8, first 2 shown]
	v_bfe_u32 v6, v72, 8, 8
	v_and_b32_e32 v132, 0xf0f0f0f, v76
	v_mov_b32_e32 v133, 0
	v_mul_lo_u32 v6, v15, v6
	v_cvt_f32_i32_e32 v138, v6
	ds_read_b128 v[18:21], v116 offset:64
	ds_read_b128 v[14:17], v116 offset:80
	;; [unrolled: 1-line block ×4, first 2 shown]
	v_lshrrev_b32_e32 v76, 4, v76
	s_waitcnt lgkmcnt(3)
	v_dot4c_i32_i8_e32 v133, v132, v18
	v_and_b32_e32 v132, 0xf0f0f0f, v77
	v_dot4c_i32_i8_e32 v133, v132, v19
	v_and_b32_e32 v132, 0xf0f0f0f, v84
	;; [unrolled: 2-line block ×4, first 2 shown]
	s_waitcnt lgkmcnt(2)
	v_dot4c_i32_i8_e32 v133, v132, v14
	v_and_b32_e32 v132, 0xf0f0f0f, v87
	v_dot4c_i32_i8_e32 v133, v132, v15
	v_and_b32_e32 v132, 0xf0f0f0f, v88
	;; [unrolled: 2-line block ×4, first 2 shown]
	v_mov_b32_e32 v132, 0
	s_waitcnt lgkmcnt(1)
	v_dot4c_i32_i8_e32 v132, v76, v10
	v_lshrrev_b32_e32 v76, 4, v77
	v_and_b32_e32 v76, 0xf0f0f0f, v76
	v_dot4c_i32_i8_e32 v132, v76, v11
	v_lshrrev_b32_e32 v76, 4, v84
	v_and_b32_e32 v76, 0xf0f0f0f, v76
	;; [unrolled: 3-line block ×4, first 2 shown]
	s_waitcnt lgkmcnt(0)
	v_dot4c_i32_i8_e32 v132, v76, v6
	v_lshrrev_b32_e32 v76, 4, v87
	v_and_b32_e32 v76, 0xf0f0f0f, v76
	v_dot4c_i32_i8_e32 v132, v76, v7
	v_lshrrev_b32_e32 v76, 4, v88
	v_cvt_f32_f16_e32 v85, v4
	v_cvt_f32_f16_sdwa v77, v4 dst_sel:DWORD dst_unused:UNUSED_PAD src0_sel:WORD_1
	v_and_b32_e32 v4, 0xff, v78
	v_bfe_u32 v86, v78, 16, 8
	v_and_b32_e32 v76, 0xf0f0f0f, v76
	v_mul_lo_u32 v4, v128, v4
	v_mul_lo_u32 v86, v133, v86
	v_dot4c_i32_i8_e32 v132, v76, v8
	v_lshrrev_b32_e32 v76, 4, v89
	v_cvt_f32_f16_e32 v84, v2
	v_cvt_f32_i32_e32 v89, v86
	v_cvt_f32_i32_e32 v88, v4
	v_and_b32_e32 v76, 0xf0f0f0f, v76
	v_lshrrev_b32_e32 v140, 24, v78
	v_dot4c_i32_i8_e32 v132, v76, v9
	v_bfe_u32 v78, v78, 8, 8
	v_pk_fma_f32 v[88:89], v[84:85], v[88:89], 0 op_sel_hi:[1,1,0]
	v_mul_lo_u32 v78, v141, v78
	v_mul_lo_u32 v84, v132, v140
	v_cvt_f32_f16_sdwa v76, v2 dst_sel:DWORD dst_unused:UNUSED_PAD src0_sel:WORD_1
	v_cvt_f32_f16_e32 v87, v5
	v_cvt_f32_f16_e32 v86, v3
	v_cvt_f32_i32_e32 v133, v84
	v_cvt_f32_i32_e32 v132, v78
	v_and_b32_e32 v148, 0xff, v70
	v_cvt_f32_f16_sdwa v5, v5 dst_sel:DWORD dst_unused:UNUSED_PAD src0_sel:WORD_1
	v_cvt_f32_f16_sdwa v4, v3 dst_sel:DWORD dst_unused:UNUSED_PAD src0_sel:WORD_1
	v_cvt_f32_f16_e32 v80, v82
	v_cvt_f32_f16_sdwa v82, v82 dst_sel:DWORD dst_unused:UNUSED_PAD src0_sel:WORD_1
	v_mul_lo_u32 v147, v147, v148
	v_cvt_f32_i32_e32 v147, v147
	v_cvt_f32_ubyte2_e32 v135, v79
	v_cvt_f32_ubyte0_e32 v134, v79
	v_pk_fma_f32 v[134:135], v[76:77], v[134:135], 0 op_sel_hi:[1,1,0]
	v_pk_fma_f32 v[88:89], v[86:87], v[132:133], v[88:89]
	v_cvt_f32_ubyte3_e32 v133, v79
	v_cvt_f32_ubyte1_e32 v132, v79
	v_pk_fma_f32 v[78:79], v[4:5], v[132:133], v[134:135]
	v_cvt_f32_ubyte0_e32 v144, v75
	v_cvt_f32_ubyte0_e32 v148, v71
	;; [unrolled: 1-line block ×3, first 2 shown]
	v_pk_mul_f32 v[78:79], v[78:79], v[82:83] op_sel_hi:[1,0]
	v_cvt_f32_ubyte1_e32 v139, v73
	v_pk_fma_f32 v[78:79], v[88:89], v[80:81], v[78:79] op_sel_hi:[1,0,1] neg_lo:[0,0,1] neg_hi:[0,0,1]
	v_fma_mix_f32 v4, v2, v143, 0 op_sel_hi:[1,0,0]
	v_fma_mix_f32 v76, v2, v144, 0 op_sel:[1,0,0] op_sel_hi:[1,0,0]
	v_fma_mix_f32 v80, v2, v147, 0 op_sel_hi:[1,0,0]
	v_fma_mix_f32 v82, v2, v148, 0 op_sel:[1,0,0] op_sel_hi:[1,0,0]
	;; [unrolled: 2-line block ×4, first 2 shown]
	v_and_b32_e32 v2, 0xf0f0f0f, v136
	v_mov_b32_e32 v84, 0
	v_dot4c_i32_i8_e32 v84, v2, v18
	v_and_b32_e32 v2, 0xf0f0f0f, v137
	v_cvt_f32_ubyte1_e32 v146, v75
	v_cvt_f32_ubyte1_e32 v150, v71
	v_dot4c_i32_i8_e32 v84, v2, v19
	v_add_u32_e32 v2, 0x10e8, v119
	v_fma_mix_f32 v4, v3, v145, v4 op_sel_hi:[1,0,0]
	v_fma_mix_f32 v76, v3, v146, v76 op_sel:[1,0,0] op_sel_hi:[1,0,0]
	v_fma_mix_f32 v80, v3, v149, v80 op_sel_hi:[1,0,0]
	v_fma_mix_f32 v82, v3, v150, v82 op_sel:[1,0,0] op_sel_hi:[1,0,0]
	ds_read2_b32 v[2:3], v2 offset1:1
	v_add_u32_e32 v86, 0x10f0, v119
	v_add_u32_e32 v132, 0x10f8, v119
	;; [unrolled: 1-line block ×3, first 2 shown]
	ds_read2_b32 v[88:89], v86 offset1:1
	ds_read2_b32 v[132:133], v132 offset1:1
	;; [unrolled: 1-line block ×3, first 2 shown]
	s_waitcnt lgkmcnt(3)
	v_and_b32_e32 v86, 0xf0f0f0f, v2
	v_dot4c_i32_i8_e32 v84, v86, v20
	v_and_b32_e32 v86, 0xf0f0f0f, v3
	v_dot4c_i32_i8_e32 v84, v86, v21
	s_waitcnt lgkmcnt(2)
	v_and_b32_e32 v86, 0xf0f0f0f, v88
	v_dot4c_i32_i8_e32 v84, v86, v14
	v_and_b32_e32 v86, 0xf0f0f0f, v89
	v_dot4c_i32_i8_e32 v84, v86, v15
	s_waitcnt lgkmcnt(1)
	v_and_b32_e32 v86, 0xf0f0f0f, v132
	v_dot4c_i32_i8_e32 v84, v86, v16
	v_and_b32_e32 v86, 0xf0f0f0f, v133
	v_lshrrev_b32_e32 v142, 24, v74
	v_dot4c_i32_i8_e32 v84, v86, v17
	v_bfe_u32 v74, v74, 16, 8
	v_lshrrev_b32_e32 v2, 4, v2
	v_and_b32_e32 v2, 0xf0f0f0f, v2
	v_mul_lo_u32 v74, v84, v74
	v_cvt_f32_i32_e32 v138, v74
	v_lshrrev_b32_e32 v74, 4, v136
	v_and_b32_e32 v74, 0xf0f0f0f, v74
	v_mov_b32_e32 v84, 0
	v_dot4c_i32_i8_e32 v84, v74, v10
	v_lshrrev_b32_e32 v74, 4, v137
	v_and_b32_e32 v74, 0xf0f0f0f, v74
	v_dot4c_i32_i8_e32 v84, v74, v11
	v_dot4c_i32_i8_e32 v84, v2, v12
	v_lshrrev_b32_e32 v2, 4, v3
	v_and_b32_e32 v2, 0xf0f0f0f, v2
	v_dot4c_i32_i8_e32 v84, v2, v13
	v_lshrrev_b32_e32 v2, 4, v88
	v_and_b32_e32 v2, 0xf0f0f0f, v2
	;; [unrolled: 3-line block ×5, first 2 shown]
	v_cvt_f32_f16_sdwa v3, v131 dst_sel:DWORD dst_unused:UNUSED_PAD src0_sel:WORD_1
	v_dot4c_i32_i8_e32 v84, v2, v9
	v_cvt_f32_ubyte2_e32 v139, v75
	v_cvt_f32_ubyte3_e32 v75, v75
	v_mul_f32_e32 v76, v76, v3
	v_mul_lo_u32 v2, v84, v142
	v_cvt_f32_i32_e32 v74, v2
	v_cvt_f32_f16_e32 v2, v131
	v_fma_mix_f32 v89, v4, v131, -v76 op_sel_hi:[0,1,0]
	v_mov_b32_e32 v76, v85
	v_pk_fma_f32 v[84:85], v[76:77], v[138:139], 0 op_sel_hi:[1,1,0]
	v_mov_b32_e32 v4, v87
	v_pk_fma_f32 v[74:75], v[4:5], v[74:75], v[84:85]
	v_pk_mul_f32 v[84:85], v[74:75], v[2:3]
	v_mov_b32_e32 v85, v84
	v_mov_b32_e32 v88, v78
	v_pk_fma_f32 v[2:3], v[74:75], v[2:3], v[84:85] neg_lo:[1,0,0] neg_hi:[1,0,0]
	v_pk_add_f32 v[58:59], v[58:59], v[88:89]
	v_mov_b32_e32 v2, v79
	v_pk_add_f32 v[58:59], v[58:59], v[2:3]
	s_waitcnt lgkmcnt(0)
	v_and_b32_e32 v2, 0xf0f0f0f, v134
	v_mov_b32_e32 v86, 0
	v_dot4c_i32_i8_e32 v86, v2, v18
	v_and_b32_e32 v2, 0xf0f0f0f, v135
	v_dot4c_i32_i8_e32 v86, v2, v19
	v_add_u32_e32 v2, 0x2168, v119
	ds_read2_b32 v[2:3], v2 offset1:1
	v_add_u32_e32 v74, 0x2170, v119
	v_add_u32_e32 v78, 0x2178, v119
	;; [unrolled: 1-line block ×3, first 2 shown]
	ds_read2_b32 v[74:75], v74 offset1:1
	ds_read2_b32 v[78:79], v78 offset1:1
	;; [unrolled: 1-line block ×3, first 2 shown]
	s_waitcnt lgkmcnt(3)
	v_and_b32_e32 v87, 0xf0f0f0f, v2
	v_dot4c_i32_i8_e32 v86, v87, v20
	v_and_b32_e32 v87, 0xf0f0f0f, v3
	v_dot4c_i32_i8_e32 v86, v87, v21
	s_waitcnt lgkmcnt(2)
	v_and_b32_e32 v87, 0xf0f0f0f, v74
	v_dot4c_i32_i8_e32 v86, v87, v14
	v_and_b32_e32 v87, 0xf0f0f0f, v75
	v_dot4c_i32_i8_e32 v86, v87, v15
	s_waitcnt lgkmcnt(1)
	v_and_b32_e32 v87, 0xf0f0f0f, v78
	v_dot4c_i32_i8_e32 v86, v87, v16
	v_and_b32_e32 v87, 0xf0f0f0f, v79
	v_lshrrev_b32_e32 v130, 24, v70
	v_dot4c_i32_i8_e32 v86, v87, v17
	v_bfe_u32 v70, v70, 16, 8
	v_mov_b32_e32 v88, 0
	v_lshrrev_b32_e32 v2, 4, v2
	v_mul_lo_u32 v70, v86, v70
	v_cvt_f32_i32_e32 v86, v70
	v_lshrrev_b32_e32 v70, 4, v134
	v_and_b32_e32 v70, 0xf0f0f0f, v70
	v_dot4c_i32_i8_e32 v88, v70, v10
	v_lshrrev_b32_e32 v70, 4, v135
	v_and_b32_e32 v70, 0xf0f0f0f, v70
	v_dot4c_i32_i8_e32 v88, v70, v11
	v_and_b32_e32 v2, 0xf0f0f0f, v2
	v_dot4c_i32_i8_e32 v88, v2, v12
	v_lshrrev_b32_e32 v2, 4, v3
	v_and_b32_e32 v2, 0xf0f0f0f, v2
	v_dot4c_i32_i8_e32 v88, v2, v13
	v_lshrrev_b32_e32 v2, 4, v74
	;; [unrolled: 3-line block ×5, first 2 shown]
	v_and_b32_e32 v2, 0xf0f0f0f, v2
	v_cvt_f32_f16_sdwa v3, v129 dst_sel:DWORD dst_unused:UNUSED_PAD src0_sel:WORD_1
	v_dot4c_i32_i8_e32 v88, v2, v9
	v_cvt_f32_ubyte2_e32 v87, v71
	v_cvt_f32_ubyte3_e32 v71, v71
	v_mul_f32_e32 v74, v82, v3
	v_mul_lo_u32 v2, v88, v130
	v_cvt_f32_i32_e32 v70, v2
	v_cvt_f32_f16_e32 v2, v129
	v_fma_mix_f32 v74, v80, v129, -v74 op_sel_hi:[0,1,0]
	v_add_f32_e32 v78, v83, v74
	v_pk_fma_f32 v[74:75], v[76:77], v[86:87], 0 op_sel_hi:[1,1,0]
	v_pk_fma_f32 v[70:71], v[4:5], v[70:71], v[74:75]
	v_pk_mul_f32 v[2:3], v[70:71], v[2:3]
	v_sub_f32_e32 v2, v2, v3
	v_add_f32_e32 v83, v78, v2
	s_waitcnt lgkmcnt(0)
	v_and_b32_e32 v2, 0xf0f0f0f, v84
	v_mov_b32_e32 v74, 0
	v_dot4c_i32_i8_e32 v74, v2, v18
	v_and_b32_e32 v2, 0xf0f0f0f, v85
	v_dot4c_i32_i8_e32 v74, v2, v19
	v_add_u32_e32 v2, 0x31e8, v119
	ds_read2_b32 v[2:3], v2 offset1:1
	v_add_u32_e32 v18, 0x31f0, v119
	v_add_u32_e32 v70, 0x31f8, v119
	ds_read2_b32 v[18:19], v18 offset1:1
	ds_read2_b32 v[70:71], v70 offset1:1
	v_lshrrev_b32_e32 v152, 24, v72
	s_waitcnt lgkmcnt(2)
	v_and_b32_e32 v75, 0xf0f0f0f, v2
	v_dot4c_i32_i8_e32 v74, v75, v20
	v_and_b32_e32 v20, 0xf0f0f0f, v3
	v_dot4c_i32_i8_e32 v74, v20, v21
	s_waitcnt lgkmcnt(1)
	v_and_b32_e32 v20, 0xf0f0f0f, v18
	v_dot4c_i32_i8_e32 v74, v20, v14
	v_and_b32_e32 v14, 0xf0f0f0f, v19
	v_dot4c_i32_i8_e32 v74, v14, v15
	s_waitcnt lgkmcnt(0)
	v_and_b32_e32 v14, 0xf0f0f0f, v70
	v_dot4c_i32_i8_e32 v74, v14, v16
	v_and_b32_e32 v14, 0xf0f0f0f, v71
	v_lshrrev_b32_e32 v16, 4, v84
	v_dot4c_i32_i8_e32 v74, v14, v17
	v_and_b32_e32 v16, 0xf0f0f0f, v16
	v_mov_b32_e32 v17, 0
	v_dot4c_i32_i8_e32 v17, v16, v10
	v_lshrrev_b32_e32 v10, 4, v85
	v_and_b32_e32 v10, 0xf0f0f0f, v10
	v_lshrrev_b32_e32 v2, 4, v2
	v_dot4c_i32_i8_e32 v17, v10, v11
	v_and_b32_e32 v2, 0xf0f0f0f, v2
	v_dot4c_i32_i8_e32 v17, v2, v12
	v_lshrrev_b32_e32 v2, 4, v3
	v_and_b32_e32 v2, 0xf0f0f0f, v2
	v_dot4c_i32_i8_e32 v17, v2, v13
	v_lshrrev_b32_e32 v2, 4, v18
	;; [unrolled: 3-line block ×5, first 2 shown]
	v_bfe_u32 v14, v72, 16, 8
	v_and_b32_e32 v2, 0xf0f0f0f, v2
	v_cvt_f32_f16_sdwa v3, v81 dst_sel:DWORD dst_unused:UNUSED_PAD src0_sel:WORD_1
	v_mul_lo_u32 v14, v74, v14
	v_dot4c_i32_i8_e32 v17, v2, v9
	v_cvt_f32_i32_e32 v14, v14
	v_mul_f32_e32 v8, v140, v3
	v_cvt_f32_ubyte2_e32 v15, v73
	v_mul_lo_u32 v2, v17, v152
	v_cvt_f32_i32_e32 v6, v2
	v_cvt_f32_f16_e32 v2, v81
	v_fma_mix_f32 v8, v128, v81, -v8 op_sel_hi:[0,1,0]
	v_cvt_f32_ubyte3_e32 v7, v73
	v_add_f32_e32 v10, v49, v8
	v_pk_fma_f32 v[8:9], v[76:77], v[14:15], 0 op_sel_hi:[1,1,0]
	v_pk_fma_f32 v[4:5], v[4:5], v[6:7], v[8:9]
	v_pk_mul_f32 v[2:3], v[4:5], v[2:3]
	v_sub_f32_e32 v2, v2, v3
	v_add_f32_e32 v49, v10, v2
	s_barrier
.LBB191_5:                              ;   in Loop: Header=BB191_6 Depth=1
	v_add_co_u32_e32 v26, vcc, 0x90, v26
	v_addc_co_u32_e32 v25, vcc, 0, v25, vcc
	v_add_co_u32_e32 v28, vcc, 0x90, v28
	v_addc_co_u32_e32 v27, vcc, 0, v27, vcc
	;; [unrolled: 2-line block ×20, first 2 shown]
	s_add_i32 s25, s25, -1
	s_addk_i32 s12, 0x100
	v_add_co_u32_e32 v68, vcc, 0x90, v68
	v_add_u32_e32 v91, 8, v91
	v_add_u32_e32 v121, 8, v121
	;; [unrolled: 1-line block ×3, first 2 shown]
	s_cmp_eq_u32 s25, 0
	v_addc_co_u32_e32 v69, vcc, 0, v69, vcc
	s_cbranch_scc1 .LBB191_19
.LBB191_6:                              ; =>This Inner Loop Header: Depth=1
	v_mov_b32_e32 v4, s26
	v_add_co_u32_e32 v2, vcc, s18, v26
	v_addc_co_u32_e32 v3, vcc, v25, v4, vcc
	global_load_dword v5, v[2:3], off
	v_add_co_u32_e32 v2, vcc, s18, v28
	v_addc_co_u32_e32 v3, vcc, v27, v4, vcc
	global_load_dword v6, v[2:3], off
	;; [unrolled: 3-line block ×21, first 2 shown]
	s_waitcnt vmcnt(20)
	ds_write_b32 v92, v5
	s_waitcnt vmcnt(19)
	ds_write_b32 v93, v6
	;; [unrolled: 2-line block ×17, first 2 shown]
	s_add_i32 s4, s12, 0xffffff80
	s_cmp_lt_i32 s4, s19
	s_waitcnt vmcnt(3)
	v_ashrrev_i32_e32 v3, v109, v70
	v_and_b32_e32 v3, 0xf0f0f0f, v3
	s_waitcnt vmcnt(2)
	v_ashrrev_i32_e32 v4, v110, v71
	v_and_or_b32 v3, v4, s13, v3
	ds_write_b32 v111, v3
	s_waitcnt vmcnt(1)
	v_ashrrev_i32_e32 v3, v109, v72
	v_and_b32_e32 v3, 0xf0f0f0f, v3
	s_waitcnt vmcnt(0)
	v_ashrrev_i32_e32 v2, v110, v2
	v_and_or_b32 v2, v2, s13, v3
	ds_write_b32 v112, v2
	s_cbranch_scc0 .LBB191_5
; %bb.7:                                ;   in Loop: Header=BB191_6 Depth=1
	v_cmp_gt_i32_e32 vcc, s9, v115
	s_and_b64 s[20:21], s[2:3], vcc
	s_and_saveexec_b64 s[4:5], s[20:21]
	s_cbranch_execz .LBB191_9
; %bb.8:                                ;   in Loop: Header=BB191_6 Depth=1
	v_add_u32_e32 v2, v24, v115
	v_mad_i64_i32 v[2:3], s[20:21], v2, 36, v[22:23]
	global_load_dword v2, v[2:3], off offset:4
	s_waitcnt vmcnt(0)
	ds_write_b32 v113, v2
.LBB191_9:                              ;   in Loop: Header=BB191_6 Depth=1
	s_or_b64 exec, exec, s[4:5]
	s_and_saveexec_b64 s[4:5], s[0:1]
	s_cbranch_execz .LBB191_12
; %bb.10:                               ;   in Loop: Header=BB191_6 Depth=1
	v_cmp_gt_i32_e32 vcc, s9, v91
	s_and_b64 s[20:21], s[2:3], vcc
	s_and_b64 exec, exec, s[20:21]
	s_cbranch_execz .LBB191_12
; %bb.11:                               ;   in Loop: Header=BB191_6 Depth=1
	v_add_u32_e32 v2, v24, v91
	v_mad_i64_i32 v[2:3], s[20:21], v2, 36, s[14:15]
	global_load_dword v2, v[2:3], off
	s_waitcnt vmcnt(0)
	ds_write_b32 v114, v2
.LBB191_12:                             ;   in Loop: Header=BB191_6 Depth=1
	s_or_b64 exec, exec, s[4:5]
	s_waitcnt lgkmcnt(0)
	s_barrier
	ds_read_b128 v[2:5], v117 offset:20560
	ds_read2_b32 v[70:71], v119 offset1:1
	ds_read_b128 v[18:21], v116
	ds_read_b128 v[14:17], v116 offset:16
	ds_read_b128 v[10:13], v116 offset:32
	;; [unrolled: 1-line block ×3, first 2 shown]
	ds_read_b32 v82, v120
	s_waitcnt lgkmcnt(5)
	v_and_b32_e32 v72, 0xf0f0f0f, v70
	v_mov_b32_e32 v128, 0
	s_waitcnt lgkmcnt(4)
	v_dot4c_i32_i8_e32 v128, v72, v18
	ds_read2_b32 v[72:73], v119 offset0:2 offset1:3
	v_lshrrev_b32_e32 v70, 4, v70
	v_and_b32_e32 v70, 0xf0f0f0f, v70
	v_mov_b32_e32 v141, 0
	s_waitcnt lgkmcnt(3)
	v_dot4c_i32_i8_e32 v141, v70, v10
	v_lshrrev_b32_e32 v70, 4, v71
	v_and_b32_e32 v70, 0xf0f0f0f, v70
	v_and_b32_e32 v74, 0xf0f0f0f, v71
	v_dot4c_i32_i8_e32 v141, v70, v11
	s_waitcnt lgkmcnt(0)
	v_lshrrev_b32_e32 v70, 4, v72
	v_dot4c_i32_i8_e32 v128, v74, v19
	ds_read2_b32 v[74:75], v119 offset0:4 offset1:5
	ds_read2_b32 v[80:81], v119 offset0:6 offset1:7
	;; [unrolled: 1-line block ×3, first 2 shown]
	v_and_b32_e32 v70, 0xf0f0f0f, v70
	v_dot4c_i32_i8_e32 v141, v70, v12
	v_lshrrev_b32_e32 v70, 4, v73
	v_and_b32_e32 v70, 0xf0f0f0f, v70
	v_dot4c_i32_i8_e32 v141, v70, v13
	s_waitcnt lgkmcnt(2)
	v_lshrrev_b32_e32 v70, 4, v74
	v_and_b32_e32 v70, 0xf0f0f0f, v70
	v_dot4c_i32_i8_e32 v141, v70, v6
	v_lshrrev_b32_e32 v70, 4, v75
	v_and_b32_e32 v78, 0xf0f0f0f, v72
	v_and_b32_e32 v70, 0xf0f0f0f, v70
	v_dot4c_i32_i8_e32 v128, v78, v20
	v_and_b32_e32 v78, 0xf0f0f0f, v73
	v_dot4c_i32_i8_e32 v141, v70, v7
	s_waitcnt lgkmcnt(1)
	v_lshrrev_b32_e32 v70, 4, v80
	v_dot4c_i32_i8_e32 v128, v78, v21
	v_and_b32_e32 v78, 0xf0f0f0f, v74
	v_and_b32_e32 v70, 0xf0f0f0f, v70
	v_dot4c_i32_i8_e32 v128, v78, v14
	v_and_b32_e32 v78, 0xf0f0f0f, v75
	v_dot4c_i32_i8_e32 v141, v70, v8
	v_lshrrev_b32_e32 v70, 4, v81
	v_dot4c_i32_i8_e32 v128, v78, v15
	v_and_b32_e32 v84, 0xf0f0f0f, v80
	v_and_b32_e32 v70, 0xf0f0f0f, v70
	v_dot4c_i32_i8_e32 v128, v84, v16
	v_and_b32_e32 v84, 0xf0f0f0f, v81
	v_dot4c_i32_i8_e32 v141, v70, v9
	v_add_u32_e32 v70, 0x1080, v119
	ds_read2_b32 v[78:79], v118 offset1:2
	v_dot4c_i32_i8_e32 v128, v84, v17
	ds_read2_b32 v[84:85], v119 offset0:10 offset1:11
	ds_read2_b32 v[86:87], v119 offset0:12 offset1:13
	;; [unrolled: 1-line block ×3, first 2 shown]
	ds_read2_b32 v[70:71], v70 offset1:1
	v_mov_b32_e32 v130, 0
	ds_read_b32 v131, v123 offset:128
	ds_read_b32 v129, v125 offset:256
	ds_read_b32 v81, v127 offset:384
	v_add_u32_e32 v74, 0x1090, v119
	v_add_u32_e32 v136, 0x2100, v119
	s_waitcnt lgkmcnt(3)
	v_and_b32_e32 v72, 0xf0f0f0f, v70
	v_dot4c_i32_i8_e32 v130, v72, v18
	v_and_b32_e32 v72, 0xf0f0f0f, v71
	v_dot4c_i32_i8_e32 v130, v72, v19
	v_add_u32_e32 v72, 0x1088, v119
	ds_read2_b32 v[72:73], v72 offset1:1
	v_add_u32_e32 v75, 0x1098, v119
	ds_read2_b32 v[132:133], v74 offset1:1
	ds_read2_b32 v[134:135], v75 offset1:1
	;; [unrolled: 1-line block ×3, first 2 shown]
	v_lshrrev_b32_e32 v70, 4, v70
	v_and_b32_e32 v70, 0xf0f0f0f, v70
	s_waitcnt lgkmcnt(3)
	v_and_b32_e32 v74, 0xf0f0f0f, v72
	v_dot4c_i32_i8_e32 v130, v74, v20
	v_and_b32_e32 v74, 0xf0f0f0f, v73
	v_dot4c_i32_i8_e32 v130, v74, v21
	s_waitcnt lgkmcnt(2)
	v_and_b32_e32 v74, 0xf0f0f0f, v132
	v_dot4c_i32_i8_e32 v130, v74, v14
	v_and_b32_e32 v74, 0xf0f0f0f, v133
	v_dot4c_i32_i8_e32 v130, v74, v15
	ds_read2_b32 v[74:75], v122 offset1:2
	s_waitcnt lgkmcnt(2)
	v_and_b32_e32 v138, 0xf0f0f0f, v134
	v_dot4c_i32_i8_e32 v130, v138, v16
	v_and_b32_e32 v138, 0xf0f0f0f, v135
	v_dot4c_i32_i8_e32 v130, v138, v17
	s_waitcnt lgkmcnt(0)
	v_and_b32_e32 v138, 0xff, v74
	v_mov_b32_e32 v147, 0
	v_mov_b32_e32 v149, 0
	v_mul_lo_u32 v130, v130, v138
	v_cvt_f32_i32_e32 v143, v130
	v_mov_b32_e32 v130, 0
	v_dot4c_i32_i8_e32 v130, v70, v10
	v_lshrrev_b32_e32 v70, 4, v71
	v_and_b32_e32 v70, 0xf0f0f0f, v70
	v_dot4c_i32_i8_e32 v130, v70, v11
	v_lshrrev_b32_e32 v70, 4, v72
	v_and_b32_e32 v70, 0xf0f0f0f, v70
	;; [unrolled: 3-line block ×7, first 2 shown]
	v_dot4c_i32_i8_e32 v130, v70, v9
	v_bfe_u32 v70, v74, 8, 8
	v_add_u32_e32 v71, 0x2110, v119
	v_mov_b32_e32 v151, 0
	v_mul_lo_u32 v70, v130, v70
	v_cvt_f32_i32_e32 v145, v70
	v_and_b32_e32 v70, 0xf0f0f0f, v136
	v_dot4c_i32_i8_e32 v147, v70, v18
	v_and_b32_e32 v70, 0xf0f0f0f, v137
	v_dot4c_i32_i8_e32 v147, v70, v19
	v_add_u32_e32 v70, 0x2108, v119
	ds_read2_b32 v[72:73], v70 offset1:1
	v_lshrrev_b32_e32 v136, 4, v136
	v_and_b32_e32 v136, 0xf0f0f0f, v136
	v_add_u32_e32 v70, 0x3180, v119
	v_dot4c_i32_i8_e32 v149, v136, v10
	v_lshrrev_b32_e32 v136, 4, v137
	v_add_u32_e32 v130, 0x2118, v119
	ds_read2_b32 v[132:133], v71 offset1:1
	ds_read2_b32 v[134:135], v130 offset1:1
	;; [unrolled: 1-line block ×3, first 2 shown]
	s_waitcnt lgkmcnt(3)
	v_and_b32_e32 v70, 0xf0f0f0f, v72
	v_and_b32_e32 v136, 0xf0f0f0f, v136
	v_lshrrev_b32_e32 v72, 4, v72
	v_dot4c_i32_i8_e32 v149, v136, v11
	v_and_b32_e32 v72, 0xf0f0f0f, v72
	v_dot4c_i32_i8_e32 v149, v72, v12
	v_lshrrev_b32_e32 v72, 4, v73
	v_and_b32_e32 v72, 0xf0f0f0f, v72
	v_dot4c_i32_i8_e32 v147, v70, v20
	v_and_b32_e32 v70, 0xf0f0f0f, v73
	v_dot4c_i32_i8_e32 v149, v72, v13
	s_waitcnt lgkmcnt(2)
	v_lshrrev_b32_e32 v72, 4, v132
	v_dot4c_i32_i8_e32 v147, v70, v21
	v_and_b32_e32 v70, 0xf0f0f0f, v132
	v_and_b32_e32 v72, 0xf0f0f0f, v72
	v_dot4c_i32_i8_e32 v147, v70, v14
	v_and_b32_e32 v70, 0xf0f0f0f, v133
	v_dot4c_i32_i8_e32 v149, v72, v6
	v_lshrrev_b32_e32 v72, 4, v133
	v_dot4c_i32_i8_e32 v147, v70, v15
	ds_read2_b32 v[70:71], v124 offset1:2
	v_and_b32_e32 v72, 0xf0f0f0f, v72
	v_dot4c_i32_i8_e32 v149, v72, v7
	s_waitcnt lgkmcnt(2)
	v_lshrrev_b32_e32 v72, 4, v134
	v_and_b32_e32 v72, 0xf0f0f0f, v72
	v_dot4c_i32_i8_e32 v149, v72, v8
	v_lshrrev_b32_e32 v72, 4, v135
	v_and_b32_e32 v72, 0xf0f0f0f, v72
	v_dot4c_i32_i8_e32 v149, v72, v9
	s_waitcnt lgkmcnt(0)
	v_bfe_u32 v72, v70, 8, 8
	v_and_b32_e32 v130, 0xf0f0f0f, v134
	v_add_u32_e32 v136, 0x10a0, v119
	v_mul_lo_u32 v72, v149, v72
	v_cvt_f32_i32_e32 v149, v72
	v_and_b32_e32 v72, 0xf0f0f0f, v138
	v_dot4c_i32_i8_e32 v151, v72, v18
	v_and_b32_e32 v18, 0xf0f0f0f, v139
	v_dot4c_i32_i8_e32 v151, v18, v19
	v_add_u32_e32 v18, 0x3188, v119
	ds_read2_b32 v[18:19], v18 offset1:1
	v_add_u32_e32 v72, 0x3190, v119
	v_dot4c_i32_i8_e32 v147, v130, v16
	v_and_b32_e32 v130, 0xf0f0f0f, v135
	v_add_u32_e32 v73, 0x3198, v119
	ds_read2_b32 v[132:133], v72 offset1:1
	ds_read2_b32 v[134:135], v73 offset1:1
	;; [unrolled: 1-line block ×3, first 2 shown]
	s_waitcnt lgkmcnt(3)
	v_and_b32_e32 v72, 0xf0f0f0f, v18
	v_dot4c_i32_i8_e32 v151, v72, v20
	v_and_b32_e32 v20, 0xf0f0f0f, v19
	ds_read2_b32 v[72:73], v126 offset1:2
	v_dot4c_i32_i8_e32 v151, v20, v21
	s_waitcnt lgkmcnt(3)
	v_and_b32_e32 v20, 0xf0f0f0f, v132
	v_dot4c_i32_i8_e32 v151, v20, v14
	v_and_b32_e32 v14, 0xf0f0f0f, v133
	v_dot4c_i32_i8_e32 v151, v14, v15
	s_waitcnt lgkmcnt(2)
	v_and_b32_e32 v14, 0xf0f0f0f, v134
	v_dot4c_i32_i8_e32 v151, v14, v16
	v_and_b32_e32 v14, 0xf0f0f0f, v135
	v_dot4c_i32_i8_e32 v151, v14, v17
	s_waitcnt lgkmcnt(0)
	v_and_b32_e32 v14, 0xff, v72
	v_mov_b32_e32 v15, 0
	v_dot4c_i32_i8_e32 v147, v130, v17
	v_mul_lo_u32 v14, v151, v14
	v_cvt_f32_i32_e32 v151, v14
	v_lshrrev_b32_e32 v14, 4, v138
	v_and_b32_e32 v14, 0xf0f0f0f, v14
	v_dot4c_i32_i8_e32 v15, v14, v10
	v_lshrrev_b32_e32 v10, 4, v139
	v_and_b32_e32 v10, 0xf0f0f0f, v10
	v_dot4c_i32_i8_e32 v15, v10, v11
	;; [unrolled: 3-line block ×8, first 2 shown]
	v_bfe_u32 v6, v72, 8, 8
	v_and_b32_e32 v132, 0xf0f0f0f, v76
	v_mov_b32_e32 v133, 0
	v_mul_lo_u32 v6, v15, v6
	v_cvt_f32_i32_e32 v138, v6
	ds_read_b128 v[18:21], v116 offset:64
	ds_read_b128 v[14:17], v116 offset:80
	;; [unrolled: 1-line block ×4, first 2 shown]
	v_lshrrev_b32_e32 v76, 4, v76
	s_waitcnt lgkmcnt(3)
	v_dot4c_i32_i8_e32 v133, v132, v18
	v_and_b32_e32 v132, 0xf0f0f0f, v77
	v_dot4c_i32_i8_e32 v133, v132, v19
	v_and_b32_e32 v132, 0xf0f0f0f, v84
	;; [unrolled: 2-line block ×4, first 2 shown]
	s_waitcnt lgkmcnt(2)
	v_dot4c_i32_i8_e32 v133, v132, v14
	v_and_b32_e32 v132, 0xf0f0f0f, v87
	v_dot4c_i32_i8_e32 v133, v132, v15
	v_and_b32_e32 v132, 0xf0f0f0f, v88
	;; [unrolled: 2-line block ×4, first 2 shown]
	v_mov_b32_e32 v132, 0
	s_waitcnt lgkmcnt(1)
	v_dot4c_i32_i8_e32 v132, v76, v10
	v_lshrrev_b32_e32 v76, 4, v77
	v_and_b32_e32 v76, 0xf0f0f0f, v76
	v_dot4c_i32_i8_e32 v132, v76, v11
	v_lshrrev_b32_e32 v76, 4, v84
	v_and_b32_e32 v76, 0xf0f0f0f, v76
	;; [unrolled: 3-line block ×4, first 2 shown]
	s_waitcnt lgkmcnt(0)
	v_dot4c_i32_i8_e32 v132, v76, v6
	v_lshrrev_b32_e32 v76, 4, v87
	v_and_b32_e32 v76, 0xf0f0f0f, v76
	v_dot4c_i32_i8_e32 v132, v76, v7
	v_lshrrev_b32_e32 v76, 4, v88
	v_cvt_f32_f16_e32 v85, v4
	v_cvt_f32_f16_sdwa v77, v4 dst_sel:DWORD dst_unused:UNUSED_PAD src0_sel:WORD_1
	v_and_b32_e32 v4, 0xff, v78
	v_bfe_u32 v86, v78, 16, 8
	v_and_b32_e32 v76, 0xf0f0f0f, v76
	v_mul_lo_u32 v4, v128, v4
	v_mul_lo_u32 v86, v133, v86
	v_dot4c_i32_i8_e32 v132, v76, v8
	v_lshrrev_b32_e32 v76, 4, v89
	v_cvt_f32_f16_e32 v84, v2
	v_cvt_f32_i32_e32 v89, v86
	v_cvt_f32_i32_e32 v88, v4
	v_and_b32_e32 v76, 0xf0f0f0f, v76
	v_lshrrev_b32_e32 v140, 24, v78
	v_dot4c_i32_i8_e32 v132, v76, v9
	v_bfe_u32 v78, v78, 8, 8
	v_pk_fma_f32 v[88:89], v[84:85], v[88:89], 0 op_sel_hi:[1,1,0]
	v_mul_lo_u32 v78, v141, v78
	v_mul_lo_u32 v84, v132, v140
	v_cvt_f32_f16_sdwa v76, v2 dst_sel:DWORD dst_unused:UNUSED_PAD src0_sel:WORD_1
	v_cvt_f32_f16_e32 v87, v5
	v_cvt_f32_f16_e32 v86, v3
	v_cvt_f32_i32_e32 v133, v84
	v_cvt_f32_i32_e32 v132, v78
	v_and_b32_e32 v148, 0xff, v70
	v_cvt_f32_f16_sdwa v5, v5 dst_sel:DWORD dst_unused:UNUSED_PAD src0_sel:WORD_1
	v_cvt_f32_f16_sdwa v4, v3 dst_sel:DWORD dst_unused:UNUSED_PAD src0_sel:WORD_1
	v_cvt_f32_f16_e32 v80, v82
	v_cvt_f32_f16_sdwa v82, v82 dst_sel:DWORD dst_unused:UNUSED_PAD src0_sel:WORD_1
	v_mul_lo_u32 v147, v147, v148
	v_cvt_f32_i32_e32 v147, v147
	v_cvt_f32_ubyte2_e32 v135, v79
	v_cvt_f32_ubyte0_e32 v134, v79
	v_pk_fma_f32 v[134:135], v[76:77], v[134:135], 0 op_sel_hi:[1,1,0]
	v_pk_fma_f32 v[88:89], v[86:87], v[132:133], v[88:89]
	v_cvt_f32_ubyte3_e32 v133, v79
	v_cvt_f32_ubyte1_e32 v132, v79
	v_pk_fma_f32 v[78:79], v[4:5], v[132:133], v[134:135]
	v_cvt_f32_ubyte0_e32 v144, v75
	v_cvt_f32_ubyte0_e32 v148, v71
	;; [unrolled: 1-line block ×3, first 2 shown]
	v_pk_mul_f32 v[78:79], v[78:79], v[82:83] op_sel_hi:[1,0]
	v_cvt_f32_ubyte1_e32 v139, v73
	v_pk_fma_f32 v[78:79], v[88:89], v[80:81], v[78:79] op_sel_hi:[1,0,1] neg_lo:[0,0,1] neg_hi:[0,0,1]
	v_fma_mix_f32 v4, v2, v143, 0 op_sel_hi:[1,0,0]
	v_fma_mix_f32 v76, v2, v144, 0 op_sel:[1,0,0] op_sel_hi:[1,0,0]
	v_fma_mix_f32 v80, v2, v147, 0 op_sel_hi:[1,0,0]
	v_fma_mix_f32 v82, v2, v148, 0 op_sel:[1,0,0] op_sel_hi:[1,0,0]
	;; [unrolled: 2-line block ×4, first 2 shown]
	v_and_b32_e32 v2, 0xf0f0f0f, v136
	v_mov_b32_e32 v84, 0
	v_dot4c_i32_i8_e32 v84, v2, v18
	v_and_b32_e32 v2, 0xf0f0f0f, v137
	v_cvt_f32_ubyte1_e32 v146, v75
	v_cvt_f32_ubyte1_e32 v150, v71
	v_dot4c_i32_i8_e32 v84, v2, v19
	v_add_u32_e32 v2, 0x10a8, v119
	v_fma_mix_f32 v4, v3, v145, v4 op_sel_hi:[1,0,0]
	v_fma_mix_f32 v76, v3, v146, v76 op_sel:[1,0,0] op_sel_hi:[1,0,0]
	v_fma_mix_f32 v80, v3, v149, v80 op_sel_hi:[1,0,0]
	v_fma_mix_f32 v82, v3, v150, v82 op_sel:[1,0,0] op_sel_hi:[1,0,0]
	ds_read2_b32 v[2:3], v2 offset1:1
	v_add_u32_e32 v86, 0x10b0, v119
	v_add_u32_e32 v132, 0x10b8, v119
	;; [unrolled: 1-line block ×3, first 2 shown]
	ds_read2_b32 v[88:89], v86 offset1:1
	ds_read2_b32 v[132:133], v132 offset1:1
	;; [unrolled: 1-line block ×3, first 2 shown]
	s_waitcnt lgkmcnt(3)
	v_and_b32_e32 v86, 0xf0f0f0f, v2
	v_dot4c_i32_i8_e32 v84, v86, v20
	v_and_b32_e32 v86, 0xf0f0f0f, v3
	v_dot4c_i32_i8_e32 v84, v86, v21
	s_waitcnt lgkmcnt(2)
	v_and_b32_e32 v86, 0xf0f0f0f, v88
	v_dot4c_i32_i8_e32 v84, v86, v14
	v_and_b32_e32 v86, 0xf0f0f0f, v89
	v_dot4c_i32_i8_e32 v84, v86, v15
	s_waitcnt lgkmcnt(1)
	v_and_b32_e32 v86, 0xf0f0f0f, v132
	v_dot4c_i32_i8_e32 v84, v86, v16
	v_and_b32_e32 v86, 0xf0f0f0f, v133
	v_lshrrev_b32_e32 v142, 24, v74
	v_dot4c_i32_i8_e32 v84, v86, v17
	v_bfe_u32 v74, v74, 16, 8
	v_lshrrev_b32_e32 v2, 4, v2
	v_and_b32_e32 v2, 0xf0f0f0f, v2
	v_mul_lo_u32 v74, v84, v74
	v_cvt_f32_i32_e32 v138, v74
	v_lshrrev_b32_e32 v74, 4, v136
	v_and_b32_e32 v74, 0xf0f0f0f, v74
	v_mov_b32_e32 v84, 0
	v_dot4c_i32_i8_e32 v84, v74, v10
	v_lshrrev_b32_e32 v74, 4, v137
	v_and_b32_e32 v74, 0xf0f0f0f, v74
	v_dot4c_i32_i8_e32 v84, v74, v11
	v_dot4c_i32_i8_e32 v84, v2, v12
	v_lshrrev_b32_e32 v2, 4, v3
	v_and_b32_e32 v2, 0xf0f0f0f, v2
	v_dot4c_i32_i8_e32 v84, v2, v13
	v_lshrrev_b32_e32 v2, 4, v88
	v_and_b32_e32 v2, 0xf0f0f0f, v2
	;; [unrolled: 3-line block ×5, first 2 shown]
	v_cvt_f32_f16_sdwa v3, v131 dst_sel:DWORD dst_unused:UNUSED_PAD src0_sel:WORD_1
	v_dot4c_i32_i8_e32 v84, v2, v9
	v_cvt_f32_ubyte2_e32 v139, v75
	v_cvt_f32_ubyte3_e32 v75, v75
	v_mul_f32_e32 v76, v76, v3
	v_mul_lo_u32 v2, v84, v142
	v_cvt_f32_i32_e32 v74, v2
	v_cvt_f32_f16_e32 v2, v131
	v_fma_mix_f32 v89, v4, v131, -v76 op_sel_hi:[0,1,0]
	v_mov_b32_e32 v76, v85
	v_pk_fma_f32 v[84:85], v[76:77], v[138:139], 0 op_sel_hi:[1,1,0]
	v_mov_b32_e32 v4, v87
	v_pk_fma_f32 v[74:75], v[4:5], v[74:75], v[84:85]
	v_pk_mul_f32 v[84:85], v[74:75], v[2:3]
	v_mov_b32_e32 v85, v84
	v_mov_b32_e32 v88, v78
	v_pk_fma_f32 v[2:3], v[74:75], v[2:3], v[84:85] neg_lo:[1,0,0] neg_hi:[1,0,0]
	v_pk_add_f32 v[58:59], v[58:59], v[88:89]
	v_mov_b32_e32 v2, v79
	v_pk_add_f32 v[58:59], v[58:59], v[2:3]
	s_waitcnt lgkmcnt(0)
	v_and_b32_e32 v2, 0xf0f0f0f, v134
	v_mov_b32_e32 v86, 0
	v_dot4c_i32_i8_e32 v86, v2, v18
	v_and_b32_e32 v2, 0xf0f0f0f, v135
	v_dot4c_i32_i8_e32 v86, v2, v19
	v_add_u32_e32 v2, 0x2128, v119
	ds_read2_b32 v[2:3], v2 offset1:1
	v_add_u32_e32 v74, 0x2130, v119
	v_add_u32_e32 v78, 0x2138, v119
	;; [unrolled: 1-line block ×3, first 2 shown]
	ds_read2_b32 v[74:75], v74 offset1:1
	ds_read2_b32 v[78:79], v78 offset1:1
	;; [unrolled: 1-line block ×3, first 2 shown]
	s_waitcnt lgkmcnt(3)
	v_and_b32_e32 v87, 0xf0f0f0f, v2
	v_dot4c_i32_i8_e32 v86, v87, v20
	v_and_b32_e32 v87, 0xf0f0f0f, v3
	v_dot4c_i32_i8_e32 v86, v87, v21
	s_waitcnt lgkmcnt(2)
	v_and_b32_e32 v87, 0xf0f0f0f, v74
	v_dot4c_i32_i8_e32 v86, v87, v14
	v_and_b32_e32 v87, 0xf0f0f0f, v75
	v_dot4c_i32_i8_e32 v86, v87, v15
	s_waitcnt lgkmcnt(1)
	v_and_b32_e32 v87, 0xf0f0f0f, v78
	v_dot4c_i32_i8_e32 v86, v87, v16
	v_and_b32_e32 v87, 0xf0f0f0f, v79
	v_lshrrev_b32_e32 v130, 24, v70
	v_dot4c_i32_i8_e32 v86, v87, v17
	v_bfe_u32 v70, v70, 16, 8
	v_mov_b32_e32 v88, 0
	v_lshrrev_b32_e32 v2, 4, v2
	v_mul_lo_u32 v70, v86, v70
	v_cvt_f32_i32_e32 v86, v70
	v_lshrrev_b32_e32 v70, 4, v134
	v_and_b32_e32 v70, 0xf0f0f0f, v70
	v_dot4c_i32_i8_e32 v88, v70, v10
	v_lshrrev_b32_e32 v70, 4, v135
	v_and_b32_e32 v70, 0xf0f0f0f, v70
	v_dot4c_i32_i8_e32 v88, v70, v11
	v_and_b32_e32 v2, 0xf0f0f0f, v2
	v_dot4c_i32_i8_e32 v88, v2, v12
	v_lshrrev_b32_e32 v2, 4, v3
	v_and_b32_e32 v2, 0xf0f0f0f, v2
	v_dot4c_i32_i8_e32 v88, v2, v13
	v_lshrrev_b32_e32 v2, 4, v74
	;; [unrolled: 3-line block ×5, first 2 shown]
	v_and_b32_e32 v2, 0xf0f0f0f, v2
	v_cvt_f32_f16_sdwa v3, v129 dst_sel:DWORD dst_unused:UNUSED_PAD src0_sel:WORD_1
	v_dot4c_i32_i8_e32 v88, v2, v9
	v_cvt_f32_ubyte2_e32 v87, v71
	v_cvt_f32_ubyte3_e32 v71, v71
	v_mul_f32_e32 v74, v82, v3
	v_mul_lo_u32 v2, v88, v130
	v_cvt_f32_i32_e32 v70, v2
	v_cvt_f32_f16_e32 v2, v129
	v_fma_mix_f32 v74, v80, v129, -v74 op_sel_hi:[0,1,0]
	v_add_f32_e32 v78, v83, v74
	v_pk_fma_f32 v[74:75], v[76:77], v[86:87], 0 op_sel_hi:[1,1,0]
	v_pk_fma_f32 v[70:71], v[4:5], v[70:71], v[74:75]
	v_pk_mul_f32 v[2:3], v[70:71], v[2:3]
	v_sub_f32_e32 v2, v2, v3
	v_add_f32_e32 v83, v78, v2
	s_waitcnt lgkmcnt(0)
	v_and_b32_e32 v2, 0xf0f0f0f, v84
	v_mov_b32_e32 v74, 0
	v_dot4c_i32_i8_e32 v74, v2, v18
	v_and_b32_e32 v2, 0xf0f0f0f, v85
	v_dot4c_i32_i8_e32 v74, v2, v19
	v_add_u32_e32 v2, 0x31a8, v119
	ds_read2_b32 v[2:3], v2 offset1:1
	v_add_u32_e32 v18, 0x31b0, v119
	v_add_u32_e32 v70, 0x31b8, v119
	ds_read2_b32 v[18:19], v18 offset1:1
	ds_read2_b32 v[70:71], v70 offset1:1
	v_lshrrev_b32_e32 v152, 24, v72
	s_waitcnt lgkmcnt(2)
	v_and_b32_e32 v75, 0xf0f0f0f, v2
	v_dot4c_i32_i8_e32 v74, v75, v20
	v_and_b32_e32 v20, 0xf0f0f0f, v3
	v_dot4c_i32_i8_e32 v74, v20, v21
	s_waitcnt lgkmcnt(1)
	v_and_b32_e32 v20, 0xf0f0f0f, v18
	v_dot4c_i32_i8_e32 v74, v20, v14
	v_and_b32_e32 v14, 0xf0f0f0f, v19
	v_dot4c_i32_i8_e32 v74, v14, v15
	s_waitcnt lgkmcnt(0)
	v_and_b32_e32 v14, 0xf0f0f0f, v70
	v_dot4c_i32_i8_e32 v74, v14, v16
	v_and_b32_e32 v14, 0xf0f0f0f, v71
	v_lshrrev_b32_e32 v16, 4, v84
	v_dot4c_i32_i8_e32 v74, v14, v17
	v_and_b32_e32 v16, 0xf0f0f0f, v16
	v_mov_b32_e32 v17, 0
	v_dot4c_i32_i8_e32 v17, v16, v10
	v_lshrrev_b32_e32 v10, 4, v85
	v_and_b32_e32 v10, 0xf0f0f0f, v10
	v_lshrrev_b32_e32 v2, 4, v2
	v_dot4c_i32_i8_e32 v17, v10, v11
	v_and_b32_e32 v2, 0xf0f0f0f, v2
	v_dot4c_i32_i8_e32 v17, v2, v12
	v_lshrrev_b32_e32 v2, 4, v3
	v_and_b32_e32 v2, 0xf0f0f0f, v2
	v_dot4c_i32_i8_e32 v17, v2, v13
	v_lshrrev_b32_e32 v2, 4, v18
	;; [unrolled: 3-line block ×5, first 2 shown]
	v_bfe_u32 v14, v72, 16, 8
	v_and_b32_e32 v2, 0xf0f0f0f, v2
	v_cvt_f32_f16_sdwa v3, v81 dst_sel:DWORD dst_unused:UNUSED_PAD src0_sel:WORD_1
	v_mul_lo_u32 v14, v74, v14
	v_dot4c_i32_i8_e32 v17, v2, v9
	v_cvt_f32_i32_e32 v14, v14
	v_mul_f32_e32 v8, v140, v3
	v_cvt_f32_ubyte2_e32 v15, v73
	v_mul_lo_u32 v2, v17, v152
	v_cvt_f32_i32_e32 v6, v2
	v_cvt_f32_f16_e32 v2, v81
	v_fma_mix_f32 v8, v128, v81, -v8 op_sel_hi:[0,1,0]
	v_cvt_f32_ubyte3_e32 v7, v73
	v_add_f32_e32 v10, v49, v8
	v_pk_fma_f32 v[8:9], v[76:77], v[14:15], 0 op_sel_hi:[1,1,0]
	v_pk_fma_f32 v[4:5], v[4:5], v[6:7], v[8:9]
	v_pk_mul_f32 v[2:3], v[4:5], v[2:3]
	v_sub_f32_e32 v2, v2, v3
	v_add_f32_e32 v49, v10, v2
	s_cmp_ge_i32 s12, s19
	s_barrier
	s_cbranch_scc1 .LBB191_5
; %bb.13:                               ;   in Loop: Header=BB191_6 Depth=1
	v_cmp_gt_i32_e32 vcc, s9, v121
	s_and_b64 s[20:21], s[2:3], vcc
	s_and_saveexec_b64 s[4:5], s[20:21]
	s_cbranch_execz .LBB191_15
; %bb.14:                               ;   in Loop: Header=BB191_6 Depth=1
	v_add_u32_e32 v2, v24, v121
	v_mad_i64_i32 v[2:3], s[20:21], v2, 36, v[22:23]
	global_load_dword v2, v[2:3], off offset:4
	s_waitcnt vmcnt(0)
	ds_write_b32 v113, v2
.LBB191_15:                             ;   in Loop: Header=BB191_6 Depth=1
	s_or_b64 exec, exec, s[4:5]
	s_and_saveexec_b64 s[4:5], s[0:1]
	s_cbranch_execz .LBB191_4
; %bb.16:                               ;   in Loop: Header=BB191_6 Depth=1
	v_add_u32_e32 v2, 4, v91
	v_cmp_gt_i32_e32 vcc, s9, v2
	s_and_b64 s[20:21], s[2:3], vcc
	s_and_b64 exec, exec, s[20:21]
	s_cbranch_execz .LBB191_4
; %bb.17:                               ;   in Loop: Header=BB191_6 Depth=1
	v_ashrrev_i32_e32 v2, 31, v91
	v_add_co_u32_e32 v3, vcc, v24, v91
	v_addc_co_u32_e32 v4, vcc, v1, v2, vcc
	v_mad_u64_u32 v[2:3], s[20:21], v3, 36, s[6:7]
	v_mad_i32_i24 v3, v4, 36, v3
	global_load_dword v2, v[2:3], off
	s_waitcnt vmcnt(0)
	ds_write_b32 v114, v2
	s_branch .LBB191_4
.LBB191_18:
	v_mov_b32_e32 v83, 0
	v_mov_b32_e32 v59, 0
	;; [unrolled: 1-line block ×3, first 2 shown]
.LBB191_19:
	s_mul_i32 s0, s11, s8
	s_waitcnt vmcnt(0)
	v_cmp_gt_i32_e32 vcc, s0, v90
	s_and_saveexec_b64 s[0:1], vcc
	s_cbranch_execz .LBB191_28
; %bb.20:
	v_and_b32_e32 v0, 0x3ff, v0
	v_add_u32_e32 v1, s24, v0
	v_mul_lo_u32 v0, v90, s10
	v_cmp_gt_u32_e32 vcc, s10, v1
	s_and_saveexec_b64 s[0:1], vcc
	s_cbranch_execz .LBB191_22
; %bb.21:
	v_add_u32_e32 v2, v0, v1
	v_mov_b32_e32 v3, 0
	v_lshlrev_b64 v[2:3], 2, v[2:3]
	v_mov_b32_e32 v4, s17
	v_add_co_u32_e32 v2, vcc, s16, v2
	v_addc_co_u32_e32 v3, vcc, v4, v3, vcc
	global_store_dword v[2:3], v58, off
.LBB191_22:
	s_or_b64 exec, exec, s[0:1]
	v_add_u32_e32 v2, 32, v1
	v_cmp_gt_u32_e32 vcc, s10, v2
	s_and_saveexec_b64 s[0:1], vcc
	s_cbranch_execz .LBB191_24
; %bb.23:
	v_add_u32_e32 v2, v0, v2
	v_mov_b32_e32 v3, 0
	v_lshlrev_b64 v[2:3], 2, v[2:3]
	v_mov_b32_e32 v4, s17
	v_add_co_u32_e32 v2, vcc, s16, v2
	v_addc_co_u32_e32 v3, vcc, v4, v3, vcc
	global_store_dword v[2:3], v59, off
.LBB191_24:
	s_or_b64 exec, exec, s[0:1]
	v_add_u32_e32 v2, 64, v1
	;; [unrolled: 14-line block ×3, first 2 shown]
	v_cmp_gt_u32_e32 vcc, s10, v1
	s_and_b64 exec, exec, vcc
	s_cbranch_execz .LBB191_28
; %bb.27:
	v_add_u32_e32 v0, v0, v1
	v_mov_b32_e32 v1, 0
	v_lshlrev_b64 v[0:1], 2, v[0:1]
	v_mov_b32_e32 v2, s17
	v_add_co_u32_e32 v0, vcc, s16, v0
	v_addc_co_u32_e32 v1, vcc, v2, v1, vcc
	global_store_dword v[0:1], v49, off
.LBB191_28:
	s_endpgm
	.section	.rodata,"a",@progbits
	.p2align	6, 0x0
	.amdhsa_kernel _ZL8moe_q4_KIfLb0EEvPKvS1_PT_PKiS5_S5_iiiiiii
		.amdhsa_group_segment_fixed_size 20688
		.amdhsa_private_segment_fixed_size 0
		.amdhsa_kernarg_size 76
		.amdhsa_user_sgpr_count 6
		.amdhsa_user_sgpr_private_segment_buffer 1
		.amdhsa_user_sgpr_dispatch_ptr 0
		.amdhsa_user_sgpr_queue_ptr 0
		.amdhsa_user_sgpr_kernarg_segment_ptr 1
		.amdhsa_user_sgpr_dispatch_id 0
		.amdhsa_user_sgpr_flat_scratch_init 0
		.amdhsa_user_sgpr_kernarg_preload_length 0
		.amdhsa_user_sgpr_kernarg_preload_offset 0
		.amdhsa_user_sgpr_private_segment_size 0
		.amdhsa_uses_dynamic_stack 0
		.amdhsa_system_sgpr_private_segment_wavefront_offset 0
		.amdhsa_system_sgpr_workgroup_id_x 1
		.amdhsa_system_sgpr_workgroup_id_y 1
		.amdhsa_system_sgpr_workgroup_id_z 0
		.amdhsa_system_sgpr_workgroup_info 0
		.amdhsa_system_vgpr_workitem_id 1
		.amdhsa_next_free_vgpr 154
		.amdhsa_next_free_sgpr 28
		.amdhsa_accum_offset 156
		.amdhsa_reserve_vcc 1
		.amdhsa_reserve_flat_scratch 0
		.amdhsa_float_round_mode_32 0
		.amdhsa_float_round_mode_16_64 0
		.amdhsa_float_denorm_mode_32 3
		.amdhsa_float_denorm_mode_16_64 3
		.amdhsa_dx10_clamp 1
		.amdhsa_ieee_mode 1
		.amdhsa_fp16_overflow 0
		.amdhsa_tg_split 0
		.amdhsa_exception_fp_ieee_invalid_op 0
		.amdhsa_exception_fp_denorm_src 0
		.amdhsa_exception_fp_ieee_div_zero 0
		.amdhsa_exception_fp_ieee_overflow 0
		.amdhsa_exception_fp_ieee_underflow 0
		.amdhsa_exception_fp_ieee_inexact 0
		.amdhsa_exception_int_div_zero 0
	.end_amdhsa_kernel
	.section	.text._ZL8moe_q4_KIfLb0EEvPKvS1_PT_PKiS5_S5_iiiiiii,"axG",@progbits,_ZL8moe_q4_KIfLb0EEvPKvS1_PT_PKiS5_S5_iiiiiii,comdat
.Lfunc_end191:
	.size	_ZL8moe_q4_KIfLb0EEvPKvS1_PT_PKiS5_S5_iiiiiii, .Lfunc_end191-_ZL8moe_q4_KIfLb0EEvPKvS1_PT_PKiS5_S5_iiiiiii
                                        ; -- End function
	.section	.AMDGPU.csdata,"",@progbits
; Kernel info:
; codeLenInByte = 10460
; NumSgprs: 32
; NumVgprs: 154
; NumAgprs: 0
; TotalNumVgprs: 154
; ScratchSize: 0
; MemoryBound: 0
; FloatMode: 240
; IeeeMode: 1
; LDSByteSize: 20688 bytes/workgroup (compile time only)
; SGPRBlocks: 3
; VGPRBlocks: 19
; NumSGPRsForWavesPerEU: 32
; NumVGPRsForWavesPerEU: 154
; AccumOffset: 156
; Occupancy: 3
; WaveLimiterHint : 1
; COMPUTE_PGM_RSRC2:SCRATCH_EN: 0
; COMPUTE_PGM_RSRC2:USER_SGPR: 6
; COMPUTE_PGM_RSRC2:TRAP_HANDLER: 0
; COMPUTE_PGM_RSRC2:TGID_X_EN: 1
; COMPUTE_PGM_RSRC2:TGID_Y_EN: 1
; COMPUTE_PGM_RSRC2:TGID_Z_EN: 0
; COMPUTE_PGM_RSRC2:TIDIG_COMP_CNT: 1
; COMPUTE_PGM_RSRC3_GFX90A:ACCUM_OFFSET: 38
; COMPUTE_PGM_RSRC3_GFX90A:TG_SPLIT: 0
	.section	.text._ZL8moe_q4_KIfLb1EEvPKvS1_PT_PKiS5_S5_iiiiiii,"axG",@progbits,_ZL8moe_q4_KIfLb1EEvPKvS1_PT_PKiS5_S5_iiiiiii,comdat
	.globl	_ZL8moe_q4_KIfLb1EEvPKvS1_PT_PKiS5_S5_iiiiiii ; -- Begin function _ZL8moe_q4_KIfLb1EEvPKvS1_PT_PKiS5_S5_iiiiiii
	.p2align	8
	.type	_ZL8moe_q4_KIfLb1EEvPKvS1_PT_PKiS5_S5_iiiiiii,@function
_ZL8moe_q4_KIfLb1EEvPKvS1_PT_PKiS5_S5_iiiiiii: ; @_ZL8moe_q4_KIfLb1EEvPKvS1_PT_PKiS5_S5_iiiiiii
; %bb.0:
	s_load_dwordx4 s[0:3], s[4:5], 0x18
	s_mov_b32 s8, s7
	s_mov_b32 s9, 0
	s_lshl_b64 s[10:11], s[8:9], 2
	s_waitcnt lgkmcnt(0)
	s_add_u32 s2, s2, s10
	s_addc_u32 s3, s3, s11
	s_load_dword s2, s[2:3], 0x0
	s_waitcnt lgkmcnt(0)
	s_cmpk_gt_u32 s2, 0xff
	s_cbranch_scc1 .LBB192_28
; %bb.1:
	s_load_dwordx2 s[10:11], s[4:5], 0x28
	s_lshl_b32 s3, s8, 3
	s_waitcnt lgkmcnt(0)
	s_load_dword s7, s[10:11], 0x0
	s_waitcnt lgkmcnt(0)
	s_cmp_gt_u32 s3, s7
	s_cbranch_scc1 .LBB192_28
; %bb.2:
	v_bfe_u32 v1, v0, 10, 10
	v_add_u32_e32 v46, s3, v1
	v_mov_b32_e32 v47, 0
	v_lshlrev_b64 v[2:3], 2, v[46:47]
	v_mov_b32_e32 v4, s1
	v_add_co_u32_e32 v2, vcc, s0, v2
	v_addc_co_u32_e32 v3, vcc, v4, v3, vcc
	global_load_dword v69, v[2:3], off
	s_load_dwordx8 s[8:15], s[4:5], 0x30
	s_load_dwordx2 s[20:21], s[4:5], 0x10
	s_waitcnt lgkmcnt(0)
	s_lshl_b32 s15, s6, 7
	s_mov_b32 s22, 0
	s_cmpk_lt_i32 s9, 0x100
	s_cbranch_scc1 .LBB192_18
; %bb.3:
	s_ashr_i32 s0, s9, 31
	s_lshr_b32 s0, s0, 24
	s_add_i32 s0, s9, s0
	s_ashr_i32 s26, s0, 8
	s_ashr_i32 s0, s12, 31
	s_lshr_b32 s0, s0, 27
	s_add_i32 s0, s12, s0
	s_ashr_i32 s12, s0, 5
	s_not_b32 s0, s15
	s_mul_i32 s8, s2, s8
	s_add_i32 s2, s0, s10
	v_and_b32_e32 v71, 0x3ff, v0
	v_lshlrev_b32_e32 v2, 2, v71
	v_min_i32_e32 v3, s2, v1
	s_movk_i32 s3, 0x84
	v_mul_lo_u32 v5, v3, s26
	v_mad_u64_u32 v[22:23], s[0:1], v3, s3, v[2:3]
	v_add_u32_e32 v3, 8, v1
	v_min_i32_e32 v3, s2, v3
	v_mul_lo_u32 v7, v3, s26
	v_mad_u64_u32 v[24:25], s[0:1], v3, s3, v[2:3]
	v_add_u32_e32 v3, 16, v1
	v_min_i32_e32 v3, s2, v3
	;; [unrolled: 4-line block ×15, first 2 shown]
	v_mul_lo_u32 v21, v3, s26
	v_mad_u64_u32 v[52:53], s[0:1], v3, s3, v[2:3]
	v_lshlrev_b32_e32 v3, 5, v1
	v_add_u32_e32 v23, v3, v71
	v_and_b32_e32 v25, 0x7f, v23
	v_min_i32_e32 v25, s2, v25
	v_ashrrev_i32_e32 v27, 31, v25
	v_lshrrev_b32_e32 v27, 27, v27
	v_add_u32_e32 v27, v25, v27
	v_ashrrev_i32_e32 v27, 5, v27
	v_mul_lo_u32 v47, v25, s26
	v_lshlrev_b32_e32 v27, 2, v27
	v_lshlrev_b32_e32 v25, 2, v25
	s_movk_i32 s3, 0x4e40
	v_add3_u32 v73, v27, v25, s3
	v_and_b32_e32 v27, 3, v71
	v_add_u32_e32 v29, 0xfe, v27
	v_cmp_gt_u32_e32 vcc, 2, v27
	v_lshrrev_b32_e32 v25, 2, v71
	v_cndmask_b32_e32 v29, v29, v27, vcc
	v_lshl_add_u32 v25, v1, 3, v25
	v_and_b32_e32 v29, 0xff, v29
	v_cmp_ne_u32_e32 vcc, 0, v27
	v_addc_co_u32_e32 v59, vcc, 0, v29, vcc
	v_and_b32_e32 v25, 0x7f, v25
	v_and_b32_e32 v31, 4, v2
	v_cmp_lt_u32_e32 vcc, 1, v27
	v_lshlrev_b32_e32 v77, 1, v29
	v_min_i32_e32 v29, s2, v25
	v_cndmask_b32_e32 v75, 0, v31, vcc
	v_ashrrev_i32_e32 v31, 31, v29
	v_xor_b32_e32 v25, 64, v25
	v_lshrrev_b32_e32 v31, 29, v31
	v_min_i32_e32 v25, s2, v25
	s_load_dwordx4 s[16:19], s[4:5], 0x0
	v_mul_lo_u32 v61, v29, s26
	v_add_u32_e32 v31, v29, v31
	v_lshlrev_b32_e32 v103, 4, v29
	v_ashrrev_i32_e32 v29, 31, v25
	v_lshrrev_b32_e32 v29, 29, v29
	v_add_u32_e32 v29, v25, v29
	v_ashrrev_i32_e32 v31, 3, v31
	v_ashrrev_i32_e32 v29, 3, v29
	v_lshlrev_b32_e32 v31, 2, v31
	v_lshlrev_b32_e32 v27, 2, v27
	s_movk_i32 s0, 0x4200
	v_mul_lo_u32 v63, v25, s26
	v_lshlrev_b32_e32 v29, 2, v29
	v_lshlrev_b32_e32 v105, 4, v25
	v_and_b32_e32 v25, 28, v2
	v_add3_u32 v102, v31, v27, s0
	v_add3_u32 v104, v29, v27, s0
	v_and_or_b32 v3, v71, 31, v3
	s_waitcnt lgkmcnt(0)
	v_add_co_u32_e64 v54, s[0:1], s18, v25
	v_mov_b32_e32 v25, 0x4a40
	s_movk_i32 s2, 0xffe4
	v_lshl_add_u32 v79, v3, 2, v25
	v_mad_i32_i24 v3, v1, s2, v23
	v_mov_b32_e32 v23, 0x5050
	v_lshrrev_b32_e32 v83, 3, v71
	v_lshrrev_b32_e32 v4, 5, v71
	v_lshl_add_u32 v81, v3, 2, v23
	v_lshl_add_u32 v85, v1, 7, v25
	v_lshlrev_b32_e32 v87, 4, v1
	v_add_u32_e32 v1, v83, v2
	v_mov_b32_e32 v3, 0x4200
	v_lshl_add_u32 v89, v1, 2, v3
	v_lshlrev_b32_e32 v1, 2, v4
	v_add3_u32 v97, v1, v2, s3
	v_add_u32_e32 v1, 32, v71
	v_lshrrev_b32_e32 v99, 3, v1
	v_lshl_add_u32 v1, v1, 2, v99
	v_lshl_add_u32 v101, v1, 2, v3
	v_and_b32_e32 v1, 60, v99
	v_add3_u32 v115, v2, v1, s3
	v_add_u32_e32 v1, 64, v71
	v_lshrrev_b32_e32 v23, 3, v1
	v_lshl_add_u32 v1, v1, 2, v23
	s_abs_i32 s4, s14
	v_lshl_add_u32 v122, v1, 2, v3
	v_and_b32_e32 v1, 60, v23
	v_cvt_f32_u32_e32 v25, s4
	v_add3_u32 v123, v2, v1, s3
	v_add_u32_e32 v1, 0x60, v71
	v_lshrrev_b32_e32 v23, 3, v1
	v_lshl_add_u32 v1, v1, 2, v23
	v_lshl_add_u32 v124, v1, 2, v3
	v_rcp_iflag_f32_e32 v3, v25
	v_and_b32_e32 v1, 60, v23
	v_and_b32_e32 v6, 0x7c, v2
	v_add3_u32 v125, v2, v1, s3
	v_mul_f32_e32 v2, 0x4f7ffffe, v3
	v_cvt_u32_f32_e32 v2, v2
	s_sub_i32 s2, 0, s4
	s_waitcnt vmcnt(0)
	v_sub_u32_e32 v3, 0, v69
	v_max_i32_e32 v3, v69, v3
	v_mul_lo_u32 v23, s2, v2
	v_mul_hi_u32 v23, v2, v23
	v_add_u32_e32 v2, v2, v23
	v_mul_hi_u32 v2, v3, v2
	v_mul_lo_u32 v23, v2, s4
	v_sub_u32_e32 v3, v3, v23
	v_add_u32_e32 v23, 1, v2
	v_cmp_le_u32_e64 s[2:3], s4, v3
	v_cndmask_b32_e64 v2, v2, v23, s[2:3]
	v_subrev_u32_e32 v23, s4, v3
	v_cndmask_b32_e64 v3, v3, v23, s[2:3]
	v_xor_b32_e32 v1, s14, v69
	v_add_u32_e32 v23, 1, v2
	v_cmp_le_u32_e64 s[2:3], s4, v3
	s_mul_i32 s23, s26, s15
	v_ashrrev_i32_e32 v1, 31, v1
	v_cndmask_b32_e64 v2, v2, v23, s[2:3]
	v_xor_b32_e32 v2, v2, v1
	s_mul_hi_i32 s25, s23, 0x90
	s_mul_i32 s24, s23, 0x90
	v_sub_u32_e32 v1, v2, v1
	s_movk_i32 s10, 0x90
	v_pk_mov_b32 v[2:3], s[24:25], s[24:25] op_sel:[0,1]
	v_mad_u64_u32 v[2:3], s[4:5], v4, s10, v[2:3]
	v_mad_i64_i32 v[4:5], s[4:5], v5, s10, v[2:3]
	v_add_co_u32_e64 v4, s[4:5], v4, v6
	v_addc_co_u32_e64 v5, s[4:5], 0, v5, s[4:5]
	v_mov_b32_e32 v65, s17
	v_add_co_u32_e64 v4, s[4:5], s16, v4
	v_addc_co_u32_e64 v5, s[4:5], v5, v65, s[4:5]
	v_add_co_u32_e64 v58, s[4:5], 16, v4
	v_addc_co_u32_e64 v23, s[4:5], 0, v5, s[4:5]
	v_mad_i64_i32 v[4:5], s[4:5], v7, s10, v[2:3]
	v_add_co_u32_e64 v4, s[4:5], v4, v6
	v_addc_co_u32_e64 v5, s[4:5], 0, v5, s[4:5]
	v_add_co_u32_e64 v4, s[4:5], s16, v4
	v_addc_co_u32_e64 v5, s[4:5], v5, v65, s[4:5]
	;; [unrolled: 2-line block ×3, first 2 shown]
	v_mad_i64_i32 v[4:5], s[4:5], v8, s10, v[2:3]
	v_add_co_u32_e64 v4, s[4:5], v4, v6
	v_addc_co_u32_e64 v5, s[4:5], 0, v5, s[4:5]
	v_add_co_u32_e64 v4, s[4:5], s16, v4
	v_addc_co_u32_e64 v5, s[4:5], v5, v65, s[4:5]
	v_mov_b32_e32 v27, s19
	v_add_co_u32_e64 v62, s[4:5], 16, v4
	v_addc_co_u32_e64 v55, s[0:1], 0, v27, s[0:1]
	v_addc_co_u32_e64 v27, s[4:5], 0, v5, s[4:5]
	v_mad_i64_i32 v[4:5], s[4:5], v9, s10, v[2:3]
	v_add_co_u32_e64 v4, s[4:5], v4, v6
	v_addc_co_u32_e64 v5, s[4:5], 0, v5, s[4:5]
	v_add_co_u32_e64 v4, s[4:5], s16, v4
	v_addc_co_u32_e64 v5, s[4:5], v5, v65, s[4:5]
	v_add_co_u32_e64 v64, s[4:5], 16, v4
	v_addc_co_u32_e64 v29, s[4:5], 0, v5, s[4:5]
	v_mad_i64_i32 v[4:5], s[4:5], v10, s10, v[2:3]
	v_add_co_u32_e64 v4, s[4:5], v4, v6
	v_addc_co_u32_e64 v5, s[4:5], 0, v5, s[4:5]
	v_add_co_u32_e64 v4, s[4:5], s16, v4
	v_addc_co_u32_e64 v5, s[4:5], v5, v65, s[4:5]
	v_add_co_u32_e64 v66, s[4:5], 16, v4
	;; [unrolled: 7-line block ×12, first 2 shown]
	v_addc_co_u32_e64 v53, s[4:5], 0, v5, s[4:5]
	v_mad_i64_i32 v[2:3], s[4:5], v21, s10, v[2:3]
	v_add_co_u32_e64 v2, s[4:5], v2, v6
	v_addc_co_u32_e64 v3, s[4:5], 0, v3, s[4:5]
	v_add_co_u32_e64 v2, s[4:5], s16, v2
	s_ashr_i32 s27, s8, 31
	v_addc_co_u32_e64 v3, s[4:5], v3, v65, s[4:5]
	s_add_u32 s6, s18, 0x90
	v_add_co_u32_e64 v88, s[4:5], 16, v2
	s_addc_u32 s7, s19, 0
	v_addc_co_u32_e64 v57, s[4:5], 0, v3, s[4:5]
	s_add_u32 s4, s16, s24
	s_addc_u32 s5, s17, s25
	v_pk_mov_b32 v[2:3], s[4:5], s[4:5] op_sel:[0,1]
	v_mad_i64_i32 v[92:93], s[4:5], v47, s10, v[2:3]
	v_mad_i64_i32 v[2:3], s[4:5], v61, s10, 0
	v_mov_b32_e32 v4, 0x90
	v_mad_i64_i32 v[2:3], s[4:5], s23, v4, v[2:3]
	v_lshlrev_b32_e32 v5, 2, v59
	v_add_co_u32_e64 v6, s[4:5], v2, v5
	v_addc_co_u32_e64 v7, s[4:5], 0, v3, s[4:5]
	v_add_co_u32_e64 v6, s[4:5], s16, v6
	v_addc_co_u32_e64 v7, s[4:5], v7, v65, s[4:5]
	v_add_co_u32_e64 v94, s[4:5], 4, v6
	v_cndmask_b32_e64 v6, 0, 1, vcc
	v_lshlrev_b32_e32 v6, 2, v6
	v_or_b32_e32 v2, v2, v6
	v_add_co_u32_e32 v2, vcc, s16, v2
	v_addc_co_u32_e32 v3, vcc, v3, v65, vcc
	v_add_co_u32_e32 v96, vcc, 4, v2
	v_addc_co_u32_e64 v59, s[4:5], 0, v7, s[4:5]
	v_addc_co_u32_e32 v61, vcc, 0, v3, vcc
	v_mad_i64_i32 v[2:3], s[4:5], v63, s10, 0
	v_mad_i64_i32 v[2:3], s[4:5], s23, v4, v[2:3]
	v_add_co_u32_e32 v4, vcc, v2, v5
	v_addc_co_u32_e32 v5, vcc, 0, v3, vcc
	v_add_co_u32_e32 v4, vcc, s16, v4
	v_addc_co_u32_e32 v5, vcc, v5, v65, vcc
	;; [unrolled: 2-line block ×3, first 2 shown]
	v_or_b32_e32 v2, v2, v6
	v_add_co_u32_e32 v2, vcc, s16, v2
	v_addc_co_u32_e32 v3, vcc, v3, v65, vcc
	v_mul_lo_u32 v56, v1, s12
	v_add_co_u32_e32 v100, vcc, 4, v2
	s_mov_b32 s23, s22
	v_mov_b32_e32 v67, 0
	v_cmp_gt_u32_e64 s[0:1], 4, v71
	v_mul_u32_u24_e32 v95, 0x84, v71
	v_cmp_gt_i32_e64 s[2:3], s11, v1
	v_ashrrev_i32_e32 v1, 31, v56
	v_addc_co_u32_e32 v65, vcc, 0, v3, vcc
	s_movk_i32 s10, 0x80
	v_pk_mov_b32 v[90:91], s[22:23], s[22:23] op_sel:[0,1]
	s_mov_b32 s16, 0x30303030
	v_add_u32_e32 v126, v102, v103
	v_add_u32_e32 v127, v104, v105
	v_mov_b32_e32 v47, 0
	s_branch .LBB192_6
.LBB192_4:                              ;   in Loop: Header=BB192_6 Depth=1
	s_or_b64 exec, exec, s[4:5]
	s_waitcnt lgkmcnt(0)
	s_barrier
	ds_read_b128 v[2:5], v87 offset:20560
	ds_read2_b32 v[102:103], v95 offset0:16 offset1:17
	ds_read_b128 v[18:21], v85
	ds_read_b128 v[14:17], v85 offset:16
	ds_read_b128 v[10:13], v85 offset:32
	;; [unrolled: 1-line block ×3, first 2 shown]
	ds_read_b32 v114, v97
	s_waitcnt lgkmcnt(5)
	v_and_b32_e32 v104, 0xf0f0f0f, v102
	v_mov_b32_e32 v128, 0
	s_waitcnt lgkmcnt(4)
	v_dot4c_i32_i8_e32 v128, v104, v18
	ds_read2_b32 v[104:105], v95 offset0:18 offset1:19
	v_lshrrev_b32_e32 v102, 4, v102
	v_and_b32_e32 v102, 0xf0f0f0f, v102
	v_mov_b32_e32 v141, 0
	s_waitcnt lgkmcnt(3)
	v_dot4c_i32_i8_e32 v141, v102, v10
	v_lshrrev_b32_e32 v102, 4, v103
	v_and_b32_e32 v102, 0xf0f0f0f, v102
	v_and_b32_e32 v106, 0xf0f0f0f, v103
	v_dot4c_i32_i8_e32 v141, v102, v11
	s_waitcnt lgkmcnt(0)
	v_lshrrev_b32_e32 v102, 4, v104
	v_dot4c_i32_i8_e32 v128, v106, v19
	ds_read2_b32 v[106:107], v95 offset0:20 offset1:21
	ds_read2_b32 v[112:113], v95 offset0:22 offset1:23
	;; [unrolled: 1-line block ×3, first 2 shown]
	v_and_b32_e32 v102, 0xf0f0f0f, v102
	v_dot4c_i32_i8_e32 v141, v102, v12
	v_lshrrev_b32_e32 v102, 4, v105
	v_and_b32_e32 v102, 0xf0f0f0f, v102
	v_dot4c_i32_i8_e32 v141, v102, v13
	s_waitcnt lgkmcnt(2)
	v_lshrrev_b32_e32 v102, 4, v106
	v_and_b32_e32 v102, 0xf0f0f0f, v102
	v_dot4c_i32_i8_e32 v141, v102, v6
	v_lshrrev_b32_e32 v102, 4, v107
	v_and_b32_e32 v110, 0xf0f0f0f, v104
	v_and_b32_e32 v102, 0xf0f0f0f, v102
	v_dot4c_i32_i8_e32 v128, v110, v20
	v_and_b32_e32 v110, 0xf0f0f0f, v105
	v_dot4c_i32_i8_e32 v141, v102, v7
	s_waitcnt lgkmcnt(1)
	v_lshrrev_b32_e32 v102, 4, v112
	v_dot4c_i32_i8_e32 v128, v110, v21
	v_and_b32_e32 v110, 0xf0f0f0f, v106
	v_and_b32_e32 v102, 0xf0f0f0f, v102
	v_dot4c_i32_i8_e32 v128, v110, v14
	v_and_b32_e32 v110, 0xf0f0f0f, v107
	v_dot4c_i32_i8_e32 v141, v102, v8
	v_lshrrev_b32_e32 v102, 4, v113
	v_dot4c_i32_i8_e32 v128, v110, v15
	v_and_b32_e32 v116, 0xf0f0f0f, v112
	v_and_b32_e32 v102, 0xf0f0f0f, v102
	v_dot4c_i32_i8_e32 v128, v116, v16
	v_and_b32_e32 v116, 0xf0f0f0f, v113
	v_dot4c_i32_i8_e32 v141, v102, v9
	v_add_u32_e32 v102, 0x10c0, v95
	ds_read2_b32 v[110:111], v89 offset0:1 offset1:3
	v_dot4c_i32_i8_e32 v128, v116, v17
	ds_read2_b32 v[116:117], v95 offset0:26 offset1:27
	ds_read2_b32 v[118:119], v95 offset0:28 offset1:29
	;; [unrolled: 1-line block ×3, first 2 shown]
	ds_read2_b32 v[102:103], v102 offset1:1
	v_mov_b32_e32 v130, 0
	ds_read_b32 v131, v115 offset:128
	ds_read_b32 v129, v123 offset:256
	;; [unrolled: 1-line block ×3, first 2 shown]
	v_add_u32_e32 v106, 0x10d0, v95
	v_add_u32_e32 v136, 0x2140, v95
	s_waitcnt lgkmcnt(3)
	v_and_b32_e32 v104, 0xf0f0f0f, v102
	v_dot4c_i32_i8_e32 v130, v104, v18
	v_and_b32_e32 v104, 0xf0f0f0f, v103
	v_dot4c_i32_i8_e32 v130, v104, v19
	v_add_u32_e32 v104, 0x10c8, v95
	ds_read2_b32 v[104:105], v104 offset1:1
	v_add_u32_e32 v107, 0x10d8, v95
	ds_read2_b32 v[132:133], v106 offset1:1
	ds_read2_b32 v[134:135], v107 offset1:1
	;; [unrolled: 1-line block ×3, first 2 shown]
	v_lshrrev_b32_e32 v102, 4, v102
	v_and_b32_e32 v102, 0xf0f0f0f, v102
	s_waitcnt lgkmcnt(3)
	v_and_b32_e32 v106, 0xf0f0f0f, v104
	v_dot4c_i32_i8_e32 v130, v106, v20
	v_and_b32_e32 v106, 0xf0f0f0f, v105
	v_dot4c_i32_i8_e32 v130, v106, v21
	s_waitcnt lgkmcnt(2)
	v_and_b32_e32 v106, 0xf0f0f0f, v132
	v_dot4c_i32_i8_e32 v130, v106, v14
	v_and_b32_e32 v106, 0xf0f0f0f, v133
	v_dot4c_i32_i8_e32 v130, v106, v15
	ds_read2_b32 v[106:107], v101 offset0:1 offset1:3
	s_waitcnt lgkmcnt(2)
	v_and_b32_e32 v138, 0xf0f0f0f, v134
	v_dot4c_i32_i8_e32 v130, v138, v16
	v_and_b32_e32 v138, 0xf0f0f0f, v135
	v_dot4c_i32_i8_e32 v130, v138, v17
	s_waitcnt lgkmcnt(0)
	v_and_b32_e32 v138, 0xff, v106
	v_mov_b32_e32 v147, 0
	v_mov_b32_e32 v149, 0
	v_mul_lo_u32 v130, v130, v138
	v_cvt_f32_i32_e32 v143, v130
	v_mov_b32_e32 v130, 0
	v_dot4c_i32_i8_e32 v130, v102, v10
	v_lshrrev_b32_e32 v102, 4, v103
	v_and_b32_e32 v102, 0xf0f0f0f, v102
	v_dot4c_i32_i8_e32 v130, v102, v11
	v_lshrrev_b32_e32 v102, 4, v104
	v_and_b32_e32 v102, 0xf0f0f0f, v102
	v_dot4c_i32_i8_e32 v130, v102, v12
	v_lshrrev_b32_e32 v102, 4, v105
	v_and_b32_e32 v102, 0xf0f0f0f, v102
	v_dot4c_i32_i8_e32 v130, v102, v13
	v_lshrrev_b32_e32 v102, 4, v132
	v_and_b32_e32 v102, 0xf0f0f0f, v102
	v_dot4c_i32_i8_e32 v130, v102, v6
	v_lshrrev_b32_e32 v102, 4, v133
	v_and_b32_e32 v102, 0xf0f0f0f, v102
	v_dot4c_i32_i8_e32 v130, v102, v7
	v_lshrrev_b32_e32 v102, 4, v134
	v_and_b32_e32 v102, 0xf0f0f0f, v102
	v_dot4c_i32_i8_e32 v130, v102, v8
	v_lshrrev_b32_e32 v102, 4, v135
	v_and_b32_e32 v102, 0xf0f0f0f, v102
	v_dot4c_i32_i8_e32 v130, v102, v9
	v_bfe_u32 v102, v106, 8, 8
	v_add_u32_e32 v103, 0x2150, v95
	v_mov_b32_e32 v151, 0
	v_mul_lo_u32 v102, v130, v102
	v_cvt_f32_i32_e32 v145, v102
	v_and_b32_e32 v102, 0xf0f0f0f, v136
	v_dot4c_i32_i8_e32 v147, v102, v18
	v_and_b32_e32 v102, 0xf0f0f0f, v137
	v_dot4c_i32_i8_e32 v147, v102, v19
	v_add_u32_e32 v102, 0x2148, v95
	ds_read2_b32 v[104:105], v102 offset1:1
	v_lshrrev_b32_e32 v136, 4, v136
	v_and_b32_e32 v136, 0xf0f0f0f, v136
	v_add_u32_e32 v102, 0x31c0, v95
	v_dot4c_i32_i8_e32 v149, v136, v10
	v_lshrrev_b32_e32 v136, 4, v137
	v_add_u32_e32 v130, 0x2158, v95
	ds_read2_b32 v[132:133], v103 offset1:1
	ds_read2_b32 v[134:135], v130 offset1:1
	;; [unrolled: 1-line block ×3, first 2 shown]
	s_waitcnt lgkmcnt(3)
	v_and_b32_e32 v102, 0xf0f0f0f, v104
	v_and_b32_e32 v136, 0xf0f0f0f, v136
	v_lshrrev_b32_e32 v104, 4, v104
	v_dot4c_i32_i8_e32 v149, v136, v11
	v_and_b32_e32 v104, 0xf0f0f0f, v104
	v_dot4c_i32_i8_e32 v149, v104, v12
	v_lshrrev_b32_e32 v104, 4, v105
	v_and_b32_e32 v104, 0xf0f0f0f, v104
	v_dot4c_i32_i8_e32 v147, v102, v20
	v_and_b32_e32 v102, 0xf0f0f0f, v105
	v_dot4c_i32_i8_e32 v149, v104, v13
	s_waitcnt lgkmcnt(2)
	v_lshrrev_b32_e32 v104, 4, v132
	v_dot4c_i32_i8_e32 v147, v102, v21
	v_and_b32_e32 v102, 0xf0f0f0f, v132
	v_and_b32_e32 v104, 0xf0f0f0f, v104
	v_dot4c_i32_i8_e32 v147, v102, v14
	v_and_b32_e32 v102, 0xf0f0f0f, v133
	v_dot4c_i32_i8_e32 v149, v104, v6
	v_lshrrev_b32_e32 v104, 4, v133
	v_dot4c_i32_i8_e32 v147, v102, v15
	ds_read2_b32 v[102:103], v122 offset0:1 offset1:3
	v_and_b32_e32 v104, 0xf0f0f0f, v104
	v_dot4c_i32_i8_e32 v149, v104, v7
	s_waitcnt lgkmcnt(2)
	v_lshrrev_b32_e32 v104, 4, v134
	v_and_b32_e32 v104, 0xf0f0f0f, v104
	v_dot4c_i32_i8_e32 v149, v104, v8
	v_lshrrev_b32_e32 v104, 4, v135
	v_and_b32_e32 v104, 0xf0f0f0f, v104
	v_dot4c_i32_i8_e32 v149, v104, v9
	s_waitcnt lgkmcnt(0)
	v_bfe_u32 v104, v102, 8, 8
	v_and_b32_e32 v130, 0xf0f0f0f, v134
	v_add_u32_e32 v136, 0x10e0, v95
	v_mul_lo_u32 v104, v149, v104
	v_cvt_f32_i32_e32 v149, v104
	v_and_b32_e32 v104, 0xf0f0f0f, v138
	v_dot4c_i32_i8_e32 v151, v104, v18
	v_and_b32_e32 v18, 0xf0f0f0f, v139
	v_dot4c_i32_i8_e32 v151, v18, v19
	v_add_u32_e32 v18, 0x31c8, v95
	ds_read2_b32 v[18:19], v18 offset1:1
	v_add_u32_e32 v104, 0x31d0, v95
	v_dot4c_i32_i8_e32 v147, v130, v16
	v_and_b32_e32 v130, 0xf0f0f0f, v135
	v_add_u32_e32 v105, 0x31d8, v95
	ds_read2_b32 v[132:133], v104 offset1:1
	ds_read2_b32 v[134:135], v105 offset1:1
	;; [unrolled: 1-line block ×3, first 2 shown]
	s_waitcnt lgkmcnt(3)
	v_and_b32_e32 v104, 0xf0f0f0f, v18
	v_dot4c_i32_i8_e32 v151, v104, v20
	v_and_b32_e32 v20, 0xf0f0f0f, v19
	ds_read2_b32 v[104:105], v124 offset0:1 offset1:3
	v_dot4c_i32_i8_e32 v151, v20, v21
	s_waitcnt lgkmcnt(3)
	v_and_b32_e32 v20, 0xf0f0f0f, v132
	v_dot4c_i32_i8_e32 v151, v20, v14
	v_and_b32_e32 v14, 0xf0f0f0f, v133
	v_dot4c_i32_i8_e32 v151, v14, v15
	s_waitcnt lgkmcnt(2)
	v_and_b32_e32 v14, 0xf0f0f0f, v134
	v_dot4c_i32_i8_e32 v151, v14, v16
	v_and_b32_e32 v14, 0xf0f0f0f, v135
	v_dot4c_i32_i8_e32 v151, v14, v17
	s_waitcnt lgkmcnt(0)
	v_and_b32_e32 v14, 0xff, v104
	v_mov_b32_e32 v15, 0
	v_dot4c_i32_i8_e32 v147, v130, v17
	v_mul_lo_u32 v14, v151, v14
	v_cvt_f32_i32_e32 v151, v14
	v_lshrrev_b32_e32 v14, 4, v138
	v_and_b32_e32 v14, 0xf0f0f0f, v14
	v_dot4c_i32_i8_e32 v15, v14, v10
	v_lshrrev_b32_e32 v10, 4, v139
	v_and_b32_e32 v10, 0xf0f0f0f, v10
	v_dot4c_i32_i8_e32 v15, v10, v11
	;; [unrolled: 3-line block ×8, first 2 shown]
	v_bfe_u32 v6, v104, 8, 8
	v_and_b32_e32 v132, 0xf0f0f0f, v108
	v_mov_b32_e32 v133, 0
	v_mul_lo_u32 v6, v15, v6
	v_cvt_f32_i32_e32 v138, v6
	ds_read_b128 v[18:21], v85 offset:64
	ds_read_b128 v[14:17], v85 offset:80
	;; [unrolled: 1-line block ×4, first 2 shown]
	v_lshrrev_b32_e32 v108, 4, v108
	s_waitcnt lgkmcnt(3)
	v_dot4c_i32_i8_e32 v133, v132, v18
	v_and_b32_e32 v132, 0xf0f0f0f, v109
	v_dot4c_i32_i8_e32 v133, v132, v19
	v_and_b32_e32 v132, 0xf0f0f0f, v116
	;; [unrolled: 2-line block ×4, first 2 shown]
	s_waitcnt lgkmcnt(2)
	v_dot4c_i32_i8_e32 v133, v132, v14
	v_and_b32_e32 v132, 0xf0f0f0f, v119
	v_dot4c_i32_i8_e32 v133, v132, v15
	v_and_b32_e32 v132, 0xf0f0f0f, v120
	;; [unrolled: 2-line block ×4, first 2 shown]
	v_mov_b32_e32 v132, 0
	s_waitcnt lgkmcnt(1)
	v_dot4c_i32_i8_e32 v132, v108, v10
	v_lshrrev_b32_e32 v108, 4, v109
	v_and_b32_e32 v108, 0xf0f0f0f, v108
	v_dot4c_i32_i8_e32 v132, v108, v11
	v_lshrrev_b32_e32 v108, 4, v116
	v_and_b32_e32 v108, 0xf0f0f0f, v108
	;; [unrolled: 3-line block ×4, first 2 shown]
	s_waitcnt lgkmcnt(0)
	v_dot4c_i32_i8_e32 v132, v108, v6
	v_lshrrev_b32_e32 v108, 4, v119
	v_and_b32_e32 v108, 0xf0f0f0f, v108
	v_dot4c_i32_i8_e32 v132, v108, v7
	v_lshrrev_b32_e32 v108, 4, v120
	v_cvt_f32_f16_e32 v117, v4
	v_cvt_f32_f16_sdwa v109, v4 dst_sel:DWORD dst_unused:UNUSED_PAD src0_sel:WORD_1
	v_and_b32_e32 v4, 0xff, v110
	v_bfe_u32 v118, v110, 16, 8
	v_and_b32_e32 v108, 0xf0f0f0f, v108
	v_mul_lo_u32 v4, v128, v4
	v_mul_lo_u32 v118, v133, v118
	v_dot4c_i32_i8_e32 v132, v108, v8
	v_lshrrev_b32_e32 v108, 4, v121
	v_cvt_f32_f16_e32 v116, v2
	v_cvt_f32_i32_e32 v121, v118
	v_cvt_f32_i32_e32 v120, v4
	v_and_b32_e32 v108, 0xf0f0f0f, v108
	v_lshrrev_b32_e32 v140, 24, v110
	v_dot4c_i32_i8_e32 v132, v108, v9
	v_bfe_u32 v110, v110, 8, 8
	v_pk_fma_f32 v[120:121], v[116:117], v[120:121], 0 op_sel_hi:[1,1,0]
	v_mul_lo_u32 v110, v141, v110
	v_mul_lo_u32 v116, v132, v140
	v_cvt_f32_f16_sdwa v108, v2 dst_sel:DWORD dst_unused:UNUSED_PAD src0_sel:WORD_1
	v_cvt_f32_f16_e32 v119, v5
	v_cvt_f32_f16_e32 v118, v3
	v_cvt_f32_i32_e32 v133, v116
	v_cvt_f32_i32_e32 v132, v110
	v_and_b32_e32 v148, 0xff, v102
	v_cvt_f32_f16_sdwa v5, v5 dst_sel:DWORD dst_unused:UNUSED_PAD src0_sel:WORD_1
	v_cvt_f32_f16_sdwa v4, v3 dst_sel:DWORD dst_unused:UNUSED_PAD src0_sel:WORD_1
	v_cvt_f32_f16_e32 v112, v114
	v_cvt_f32_f16_sdwa v114, v114 dst_sel:DWORD dst_unused:UNUSED_PAD src0_sel:WORD_1
	v_mul_lo_u32 v147, v147, v148
	v_cvt_f32_i32_e32 v147, v147
	v_cvt_f32_ubyte2_e32 v135, v111
	v_cvt_f32_ubyte0_e32 v134, v111
	v_pk_fma_f32 v[134:135], v[108:109], v[134:135], 0 op_sel_hi:[1,1,0]
	v_pk_fma_f32 v[120:121], v[118:119], v[132:133], v[120:121]
	v_cvt_f32_ubyte3_e32 v133, v111
	v_cvt_f32_ubyte1_e32 v132, v111
	v_pk_fma_f32 v[110:111], v[4:5], v[132:133], v[134:135]
	v_cvt_f32_ubyte0_e32 v144, v107
	v_cvt_f32_ubyte0_e32 v148, v103
	;; [unrolled: 1-line block ×3, first 2 shown]
	v_pk_mul_f32 v[110:111], v[110:111], v[114:115] op_sel_hi:[1,0]
	v_cvt_f32_ubyte1_e32 v139, v105
	v_pk_fma_f32 v[110:111], v[120:121], v[112:113], v[110:111] op_sel_hi:[1,0,1] neg_lo:[0,0,1] neg_hi:[0,0,1]
	v_fma_mix_f32 v4, v2, v143, 0 op_sel_hi:[1,0,0]
	v_fma_mix_f32 v108, v2, v144, 0 op_sel:[1,0,0] op_sel_hi:[1,0,0]
	v_fma_mix_f32 v112, v2, v147, 0 op_sel_hi:[1,0,0]
	v_fma_mix_f32 v114, v2, v148, 0 op_sel:[1,0,0] op_sel_hi:[1,0,0]
	;; [unrolled: 2-line block ×4, first 2 shown]
	v_and_b32_e32 v2, 0xf0f0f0f, v136
	v_mov_b32_e32 v116, 0
	v_dot4c_i32_i8_e32 v116, v2, v18
	v_and_b32_e32 v2, 0xf0f0f0f, v137
	v_cvt_f32_ubyte1_e32 v146, v107
	v_cvt_f32_ubyte1_e32 v150, v103
	v_dot4c_i32_i8_e32 v116, v2, v19
	v_add_u32_e32 v2, 0x10e8, v95
	v_fma_mix_f32 v4, v3, v145, v4 op_sel_hi:[1,0,0]
	v_fma_mix_f32 v108, v3, v146, v108 op_sel:[1,0,0] op_sel_hi:[1,0,0]
	v_fma_mix_f32 v112, v3, v149, v112 op_sel_hi:[1,0,0]
	v_fma_mix_f32 v114, v3, v150, v114 op_sel:[1,0,0] op_sel_hi:[1,0,0]
	ds_read2_b32 v[2:3], v2 offset1:1
	v_add_u32_e32 v118, 0x10f0, v95
	v_add_u32_e32 v132, 0x10f8, v95
	;; [unrolled: 1-line block ×3, first 2 shown]
	ds_read2_b32 v[120:121], v118 offset1:1
	ds_read2_b32 v[132:133], v132 offset1:1
	;; [unrolled: 1-line block ×3, first 2 shown]
	s_waitcnt lgkmcnt(3)
	v_and_b32_e32 v118, 0xf0f0f0f, v2
	v_dot4c_i32_i8_e32 v116, v118, v20
	v_and_b32_e32 v118, 0xf0f0f0f, v3
	v_dot4c_i32_i8_e32 v116, v118, v21
	s_waitcnt lgkmcnt(2)
	v_and_b32_e32 v118, 0xf0f0f0f, v120
	v_dot4c_i32_i8_e32 v116, v118, v14
	v_and_b32_e32 v118, 0xf0f0f0f, v121
	v_dot4c_i32_i8_e32 v116, v118, v15
	s_waitcnt lgkmcnt(1)
	v_and_b32_e32 v118, 0xf0f0f0f, v132
	v_dot4c_i32_i8_e32 v116, v118, v16
	v_and_b32_e32 v118, 0xf0f0f0f, v133
	v_lshrrev_b32_e32 v142, 24, v106
	v_dot4c_i32_i8_e32 v116, v118, v17
	v_bfe_u32 v106, v106, 16, 8
	v_lshrrev_b32_e32 v2, 4, v2
	v_and_b32_e32 v2, 0xf0f0f0f, v2
	v_mul_lo_u32 v106, v116, v106
	v_cvt_f32_i32_e32 v138, v106
	v_lshrrev_b32_e32 v106, 4, v136
	v_and_b32_e32 v106, 0xf0f0f0f, v106
	v_mov_b32_e32 v116, 0
	v_dot4c_i32_i8_e32 v116, v106, v10
	v_lshrrev_b32_e32 v106, 4, v137
	v_and_b32_e32 v106, 0xf0f0f0f, v106
	v_dot4c_i32_i8_e32 v116, v106, v11
	v_dot4c_i32_i8_e32 v116, v2, v12
	v_lshrrev_b32_e32 v2, 4, v3
	v_and_b32_e32 v2, 0xf0f0f0f, v2
	v_dot4c_i32_i8_e32 v116, v2, v13
	v_lshrrev_b32_e32 v2, 4, v120
	v_and_b32_e32 v2, 0xf0f0f0f, v2
	;; [unrolled: 3-line block ×5, first 2 shown]
	v_cvt_f32_f16_sdwa v3, v131 dst_sel:DWORD dst_unused:UNUSED_PAD src0_sel:WORD_1
	v_dot4c_i32_i8_e32 v116, v2, v9
	v_cvt_f32_ubyte2_e32 v139, v107
	v_cvt_f32_ubyte3_e32 v107, v107
	v_mul_f32_e32 v108, v108, v3
	v_mul_lo_u32 v2, v116, v142
	v_cvt_f32_i32_e32 v106, v2
	v_cvt_f32_f16_e32 v2, v131
	v_fma_mix_f32 v121, v4, v131, -v108 op_sel_hi:[0,1,0]
	v_mov_b32_e32 v108, v117
	v_pk_fma_f32 v[116:117], v[108:109], v[138:139], 0 op_sel_hi:[1,1,0]
	v_mov_b32_e32 v4, v119
	v_pk_fma_f32 v[106:107], v[4:5], v[106:107], v[116:117]
	v_pk_mul_f32 v[116:117], v[106:107], v[2:3]
	v_mov_b32_e32 v117, v116
	v_mov_b32_e32 v120, v110
	v_pk_fma_f32 v[2:3], v[106:107], v[2:3], v[116:117] neg_lo:[1,0,0] neg_hi:[1,0,0]
	v_pk_add_f32 v[90:91], v[90:91], v[120:121]
	v_mov_b32_e32 v2, v111
	v_pk_add_f32 v[90:91], v[90:91], v[2:3]
	s_waitcnt lgkmcnt(0)
	v_and_b32_e32 v2, 0xf0f0f0f, v134
	v_mov_b32_e32 v118, 0
	v_dot4c_i32_i8_e32 v118, v2, v18
	v_and_b32_e32 v2, 0xf0f0f0f, v135
	v_dot4c_i32_i8_e32 v118, v2, v19
	v_add_u32_e32 v2, 0x2168, v95
	ds_read2_b32 v[2:3], v2 offset1:1
	v_add_u32_e32 v106, 0x2170, v95
	v_add_u32_e32 v110, 0x2178, v95
	;; [unrolled: 1-line block ×3, first 2 shown]
	ds_read2_b32 v[106:107], v106 offset1:1
	ds_read2_b32 v[110:111], v110 offset1:1
	;; [unrolled: 1-line block ×3, first 2 shown]
	s_waitcnt lgkmcnt(3)
	v_and_b32_e32 v119, 0xf0f0f0f, v2
	v_dot4c_i32_i8_e32 v118, v119, v20
	v_and_b32_e32 v119, 0xf0f0f0f, v3
	v_dot4c_i32_i8_e32 v118, v119, v21
	s_waitcnt lgkmcnt(2)
	v_and_b32_e32 v119, 0xf0f0f0f, v106
	v_dot4c_i32_i8_e32 v118, v119, v14
	v_and_b32_e32 v119, 0xf0f0f0f, v107
	v_dot4c_i32_i8_e32 v118, v119, v15
	s_waitcnt lgkmcnt(1)
	v_and_b32_e32 v119, 0xf0f0f0f, v110
	v_dot4c_i32_i8_e32 v118, v119, v16
	v_and_b32_e32 v119, 0xf0f0f0f, v111
	v_lshrrev_b32_e32 v130, 24, v102
	v_dot4c_i32_i8_e32 v118, v119, v17
	v_bfe_u32 v102, v102, 16, 8
	v_mov_b32_e32 v120, 0
	v_lshrrev_b32_e32 v2, 4, v2
	v_mul_lo_u32 v102, v118, v102
	v_cvt_f32_i32_e32 v118, v102
	v_lshrrev_b32_e32 v102, 4, v134
	v_and_b32_e32 v102, 0xf0f0f0f, v102
	v_dot4c_i32_i8_e32 v120, v102, v10
	v_lshrrev_b32_e32 v102, 4, v135
	v_and_b32_e32 v102, 0xf0f0f0f, v102
	v_dot4c_i32_i8_e32 v120, v102, v11
	v_and_b32_e32 v2, 0xf0f0f0f, v2
	v_dot4c_i32_i8_e32 v120, v2, v12
	v_lshrrev_b32_e32 v2, 4, v3
	v_and_b32_e32 v2, 0xf0f0f0f, v2
	v_dot4c_i32_i8_e32 v120, v2, v13
	v_lshrrev_b32_e32 v2, 4, v106
	;; [unrolled: 3-line block ×5, first 2 shown]
	v_and_b32_e32 v2, 0xf0f0f0f, v2
	v_cvt_f32_f16_sdwa v3, v129 dst_sel:DWORD dst_unused:UNUSED_PAD src0_sel:WORD_1
	v_dot4c_i32_i8_e32 v120, v2, v9
	v_cvt_f32_ubyte2_e32 v119, v103
	v_cvt_f32_ubyte3_e32 v103, v103
	v_mul_f32_e32 v106, v114, v3
	v_mul_lo_u32 v2, v120, v130
	v_cvt_f32_i32_e32 v102, v2
	v_cvt_f32_f16_e32 v2, v129
	v_fma_mix_f32 v106, v112, v129, -v106 op_sel_hi:[0,1,0]
	v_add_f32_e32 v67, v67, v106
	v_pk_fma_f32 v[106:107], v[108:109], v[118:119], 0 op_sel_hi:[1,1,0]
	v_pk_fma_f32 v[102:103], v[4:5], v[102:103], v[106:107]
	v_pk_mul_f32 v[2:3], v[102:103], v[2:3]
	v_sub_f32_e32 v2, v2, v3
	v_add_f32_e32 v67, v67, v2
	s_waitcnt lgkmcnt(0)
	v_and_b32_e32 v2, 0xf0f0f0f, v116
	v_mov_b32_e32 v106, 0
	v_dot4c_i32_i8_e32 v106, v2, v18
	v_and_b32_e32 v2, 0xf0f0f0f, v117
	v_dot4c_i32_i8_e32 v106, v2, v19
	v_add_u32_e32 v2, 0x31e8, v95
	ds_read2_b32 v[2:3], v2 offset1:1
	v_add_u32_e32 v18, 0x31f0, v95
	v_add_u32_e32 v102, 0x31f8, v95
	ds_read2_b32 v[18:19], v18 offset1:1
	ds_read2_b32 v[102:103], v102 offset1:1
	v_lshrrev_b32_e32 v152, 24, v104
	s_waitcnt lgkmcnt(2)
	v_and_b32_e32 v107, 0xf0f0f0f, v2
	v_dot4c_i32_i8_e32 v106, v107, v20
	v_and_b32_e32 v20, 0xf0f0f0f, v3
	v_dot4c_i32_i8_e32 v106, v20, v21
	s_waitcnt lgkmcnt(1)
	v_and_b32_e32 v20, 0xf0f0f0f, v18
	v_dot4c_i32_i8_e32 v106, v20, v14
	v_and_b32_e32 v14, 0xf0f0f0f, v19
	v_dot4c_i32_i8_e32 v106, v14, v15
	s_waitcnt lgkmcnt(0)
	v_and_b32_e32 v14, 0xf0f0f0f, v102
	v_dot4c_i32_i8_e32 v106, v14, v16
	v_and_b32_e32 v14, 0xf0f0f0f, v103
	v_lshrrev_b32_e32 v16, 4, v116
	v_dot4c_i32_i8_e32 v106, v14, v17
	v_and_b32_e32 v16, 0xf0f0f0f, v16
	v_mov_b32_e32 v17, 0
	v_dot4c_i32_i8_e32 v17, v16, v10
	v_lshrrev_b32_e32 v10, 4, v117
	v_and_b32_e32 v10, 0xf0f0f0f, v10
	v_lshrrev_b32_e32 v2, 4, v2
	v_dot4c_i32_i8_e32 v17, v10, v11
	v_and_b32_e32 v2, 0xf0f0f0f, v2
	v_dot4c_i32_i8_e32 v17, v2, v12
	v_lshrrev_b32_e32 v2, 4, v3
	v_and_b32_e32 v2, 0xf0f0f0f, v2
	v_dot4c_i32_i8_e32 v17, v2, v13
	v_lshrrev_b32_e32 v2, 4, v18
	;; [unrolled: 3-line block ×5, first 2 shown]
	v_bfe_u32 v14, v104, 16, 8
	v_and_b32_e32 v2, 0xf0f0f0f, v2
	v_cvt_f32_f16_sdwa v3, v113 dst_sel:DWORD dst_unused:UNUSED_PAD src0_sel:WORD_1
	v_mul_lo_u32 v14, v106, v14
	v_dot4c_i32_i8_e32 v17, v2, v9
	v_cvt_f32_i32_e32 v14, v14
	v_mul_f32_e32 v8, v140, v3
	v_cvt_f32_ubyte2_e32 v15, v105
	v_mul_lo_u32 v2, v17, v152
	v_cvt_f32_i32_e32 v6, v2
	v_cvt_f32_f16_e32 v2, v113
	v_fma_mix_f32 v8, v128, v113, -v8 op_sel_hi:[0,1,0]
	v_cvt_f32_ubyte3_e32 v7, v105
	v_add_f32_e32 v10, v47, v8
	v_pk_fma_f32 v[8:9], v[108:109], v[14:15], 0 op_sel_hi:[1,1,0]
	v_pk_fma_f32 v[4:5], v[4:5], v[6:7], v[8:9]
	v_pk_mul_f32 v[2:3], v[4:5], v[2:3]
	v_sub_f32_e32 v2, v2, v3
	v_add_f32_e32 v47, v10, v2
	s_barrier
.LBB192_5:                              ;   in Loop: Header=BB192_6 Depth=1
	v_add_co_u32_e32 v58, vcc, 0x90, v58
	v_addc_co_u32_e32 v23, vcc, 0, v23, vcc
	v_add_co_u32_e32 v60, vcc, 0x90, v60
	v_addc_co_u32_e32 v25, vcc, 0, v25, vcc
	;; [unrolled: 2-line block ×20, first 2 shown]
	s_add_i32 s26, s26, -1
	s_addk_i32 s10, 0x100
	v_add_co_u32_e32 v100, vcc, 0x90, v100
	v_add_u32_e32 v71, 8, v71
	v_add_u32_e32 v99, 8, v99
	v_add_u32_e32 v83, 8, v83
	s_cmp_eq_u32 s26, 0
	v_addc_co_u32_e32 v65, vcc, 0, v65, vcc
	s_cbranch_scc1 .LBB192_19
.LBB192_6:                              ; =>This Inner Loop Header: Depth=1
	v_mov_b32_e32 v4, s27
	v_add_co_u32_e32 v2, vcc, s8, v58
	v_addc_co_u32_e32 v3, vcc, v23, v4, vcc
	global_load_dword v5, v[2:3], off
	v_add_co_u32_e32 v2, vcc, s8, v60
	v_addc_co_u32_e32 v3, vcc, v25, v4, vcc
	global_load_dword v6, v[2:3], off
	;; [unrolled: 3-line block ×21, first 2 shown]
	s_waitcnt vmcnt(20)
	ds_write_b32 v22, v5
	s_waitcnt vmcnt(19)
	ds_write_b32 v24, v6
	;; [unrolled: 2-line block ×17, first 2 shown]
	s_add_i32 s4, s10, 0xffffff80
	s_cmp_lt_i32 s4, s9
	s_waitcnt vmcnt(3)
	v_ashrrev_i32_e32 v3, v75, v102
	v_and_b32_e32 v3, 0xf0f0f0f, v3
	s_waitcnt vmcnt(2)
	v_ashrrev_i32_e32 v4, v77, v103
	v_and_or_b32 v3, v4, s16, v3
	ds_write_b32 v126, v3
	s_waitcnt vmcnt(1)
	v_ashrrev_i32_e32 v3, v75, v104
	v_and_b32_e32 v3, 0xf0f0f0f, v3
	s_waitcnt vmcnt(0)
	v_ashrrev_i32_e32 v2, v77, v2
	v_and_or_b32 v2, v2, s16, v3
	ds_write_b32 v127, v2
	s_cbranch_scc0 .LBB192_5
; %bb.7:                                ;   in Loop: Header=BB192_6 Depth=1
	v_cmp_gt_i32_e32 vcc, s12, v83
	s_and_b64 s[22:23], s[2:3], vcc
	s_and_saveexec_b64 s[4:5], s[22:23]
	s_cbranch_execz .LBB192_9
; %bb.8:                                ;   in Loop: Header=BB192_6 Depth=1
	v_add_u32_e32 v2, v56, v83
	v_mad_i64_i32 v[2:3], s[22:23], v2, 36, v[54:55]
	global_load_dword v2, v[2:3], off offset:4
	s_waitcnt vmcnt(0)
	ds_write_b32 v79, v2
.LBB192_9:                              ;   in Loop: Header=BB192_6 Depth=1
	s_or_b64 exec, exec, s[4:5]
	s_and_saveexec_b64 s[4:5], s[0:1]
	s_cbranch_execz .LBB192_12
; %bb.10:                               ;   in Loop: Header=BB192_6 Depth=1
	v_cmp_gt_i32_e32 vcc, s12, v71
	s_and_b64 s[22:23], s[2:3], vcc
	s_and_b64 exec, exec, s[22:23]
	s_cbranch_execz .LBB192_12
; %bb.11:                               ;   in Loop: Header=BB192_6 Depth=1
	v_add_u32_e32 v2, v56, v71
	v_mad_i64_i32 v[2:3], s[22:23], v2, 36, s[18:19]
	global_load_dword v2, v[2:3], off
	s_waitcnt vmcnt(0)
	ds_write_b32 v81, v2
.LBB192_12:                             ;   in Loop: Header=BB192_6 Depth=1
	s_or_b64 exec, exec, s[4:5]
	s_waitcnt lgkmcnt(0)
	s_barrier
	ds_read_b128 v[2:5], v87 offset:20560
	ds_read2_b32 v[102:103], v95 offset1:1
	ds_read_b128 v[18:21], v85
	ds_read_b128 v[14:17], v85 offset:16
	ds_read_b128 v[10:13], v85 offset:32
	;; [unrolled: 1-line block ×3, first 2 shown]
	ds_read_b32 v114, v97
	s_waitcnt lgkmcnt(5)
	v_and_b32_e32 v104, 0xf0f0f0f, v102
	v_mov_b32_e32 v128, 0
	s_waitcnt lgkmcnt(4)
	v_dot4c_i32_i8_e32 v128, v104, v18
	ds_read2_b32 v[104:105], v95 offset0:2 offset1:3
	v_lshrrev_b32_e32 v102, 4, v102
	v_and_b32_e32 v102, 0xf0f0f0f, v102
	v_mov_b32_e32 v141, 0
	s_waitcnt lgkmcnt(3)
	v_dot4c_i32_i8_e32 v141, v102, v10
	v_lshrrev_b32_e32 v102, 4, v103
	v_and_b32_e32 v102, 0xf0f0f0f, v102
	v_and_b32_e32 v106, 0xf0f0f0f, v103
	v_dot4c_i32_i8_e32 v141, v102, v11
	s_waitcnt lgkmcnt(0)
	v_lshrrev_b32_e32 v102, 4, v104
	v_dot4c_i32_i8_e32 v128, v106, v19
	ds_read2_b32 v[106:107], v95 offset0:4 offset1:5
	ds_read2_b32 v[112:113], v95 offset0:6 offset1:7
	;; [unrolled: 1-line block ×3, first 2 shown]
	v_and_b32_e32 v102, 0xf0f0f0f, v102
	v_dot4c_i32_i8_e32 v141, v102, v12
	v_lshrrev_b32_e32 v102, 4, v105
	v_and_b32_e32 v102, 0xf0f0f0f, v102
	v_dot4c_i32_i8_e32 v141, v102, v13
	s_waitcnt lgkmcnt(2)
	v_lshrrev_b32_e32 v102, 4, v106
	v_and_b32_e32 v102, 0xf0f0f0f, v102
	v_dot4c_i32_i8_e32 v141, v102, v6
	v_lshrrev_b32_e32 v102, 4, v107
	v_and_b32_e32 v110, 0xf0f0f0f, v104
	v_and_b32_e32 v102, 0xf0f0f0f, v102
	v_dot4c_i32_i8_e32 v128, v110, v20
	v_and_b32_e32 v110, 0xf0f0f0f, v105
	v_dot4c_i32_i8_e32 v141, v102, v7
	s_waitcnt lgkmcnt(1)
	v_lshrrev_b32_e32 v102, 4, v112
	v_dot4c_i32_i8_e32 v128, v110, v21
	v_and_b32_e32 v110, 0xf0f0f0f, v106
	v_and_b32_e32 v102, 0xf0f0f0f, v102
	v_dot4c_i32_i8_e32 v128, v110, v14
	v_and_b32_e32 v110, 0xf0f0f0f, v107
	v_dot4c_i32_i8_e32 v141, v102, v8
	v_lshrrev_b32_e32 v102, 4, v113
	v_dot4c_i32_i8_e32 v128, v110, v15
	v_and_b32_e32 v116, 0xf0f0f0f, v112
	v_and_b32_e32 v102, 0xf0f0f0f, v102
	v_dot4c_i32_i8_e32 v128, v116, v16
	v_and_b32_e32 v116, 0xf0f0f0f, v113
	v_dot4c_i32_i8_e32 v141, v102, v9
	v_add_u32_e32 v102, 0x1080, v95
	ds_read2_b32 v[110:111], v89 offset1:2
	v_dot4c_i32_i8_e32 v128, v116, v17
	ds_read2_b32 v[116:117], v95 offset0:10 offset1:11
	ds_read2_b32 v[118:119], v95 offset0:12 offset1:13
	;; [unrolled: 1-line block ×3, first 2 shown]
	ds_read2_b32 v[102:103], v102 offset1:1
	v_mov_b32_e32 v130, 0
	ds_read_b32 v131, v115 offset:128
	ds_read_b32 v129, v123 offset:256
	;; [unrolled: 1-line block ×3, first 2 shown]
	v_add_u32_e32 v106, 0x1090, v95
	v_add_u32_e32 v136, 0x2100, v95
	s_waitcnt lgkmcnt(3)
	v_and_b32_e32 v104, 0xf0f0f0f, v102
	v_dot4c_i32_i8_e32 v130, v104, v18
	v_and_b32_e32 v104, 0xf0f0f0f, v103
	v_dot4c_i32_i8_e32 v130, v104, v19
	v_add_u32_e32 v104, 0x1088, v95
	ds_read2_b32 v[104:105], v104 offset1:1
	v_add_u32_e32 v107, 0x1098, v95
	ds_read2_b32 v[132:133], v106 offset1:1
	ds_read2_b32 v[134:135], v107 offset1:1
	ds_read2_b32 v[136:137], v136 offset1:1
	v_lshrrev_b32_e32 v102, 4, v102
	v_and_b32_e32 v102, 0xf0f0f0f, v102
	s_waitcnt lgkmcnt(3)
	v_and_b32_e32 v106, 0xf0f0f0f, v104
	v_dot4c_i32_i8_e32 v130, v106, v20
	v_and_b32_e32 v106, 0xf0f0f0f, v105
	v_dot4c_i32_i8_e32 v130, v106, v21
	s_waitcnt lgkmcnt(2)
	v_and_b32_e32 v106, 0xf0f0f0f, v132
	v_dot4c_i32_i8_e32 v130, v106, v14
	v_and_b32_e32 v106, 0xf0f0f0f, v133
	v_dot4c_i32_i8_e32 v130, v106, v15
	ds_read2_b32 v[106:107], v101 offset1:2
	s_waitcnt lgkmcnt(2)
	v_and_b32_e32 v138, 0xf0f0f0f, v134
	v_dot4c_i32_i8_e32 v130, v138, v16
	v_and_b32_e32 v138, 0xf0f0f0f, v135
	v_dot4c_i32_i8_e32 v130, v138, v17
	s_waitcnt lgkmcnt(0)
	v_and_b32_e32 v138, 0xff, v106
	v_mov_b32_e32 v147, 0
	v_mov_b32_e32 v149, 0
	v_mul_lo_u32 v130, v130, v138
	v_cvt_f32_i32_e32 v143, v130
	v_mov_b32_e32 v130, 0
	v_dot4c_i32_i8_e32 v130, v102, v10
	v_lshrrev_b32_e32 v102, 4, v103
	v_and_b32_e32 v102, 0xf0f0f0f, v102
	v_dot4c_i32_i8_e32 v130, v102, v11
	v_lshrrev_b32_e32 v102, 4, v104
	v_and_b32_e32 v102, 0xf0f0f0f, v102
	;; [unrolled: 3-line block ×7, first 2 shown]
	v_dot4c_i32_i8_e32 v130, v102, v9
	v_bfe_u32 v102, v106, 8, 8
	v_add_u32_e32 v103, 0x2110, v95
	v_mov_b32_e32 v151, 0
	v_mul_lo_u32 v102, v130, v102
	v_cvt_f32_i32_e32 v145, v102
	v_and_b32_e32 v102, 0xf0f0f0f, v136
	v_dot4c_i32_i8_e32 v147, v102, v18
	v_and_b32_e32 v102, 0xf0f0f0f, v137
	v_dot4c_i32_i8_e32 v147, v102, v19
	v_add_u32_e32 v102, 0x2108, v95
	ds_read2_b32 v[104:105], v102 offset1:1
	v_lshrrev_b32_e32 v136, 4, v136
	v_and_b32_e32 v136, 0xf0f0f0f, v136
	v_add_u32_e32 v102, 0x3180, v95
	v_dot4c_i32_i8_e32 v149, v136, v10
	v_lshrrev_b32_e32 v136, 4, v137
	v_add_u32_e32 v130, 0x2118, v95
	ds_read2_b32 v[132:133], v103 offset1:1
	ds_read2_b32 v[134:135], v130 offset1:1
	;; [unrolled: 1-line block ×3, first 2 shown]
	s_waitcnt lgkmcnt(3)
	v_and_b32_e32 v102, 0xf0f0f0f, v104
	v_and_b32_e32 v136, 0xf0f0f0f, v136
	v_lshrrev_b32_e32 v104, 4, v104
	v_dot4c_i32_i8_e32 v149, v136, v11
	v_and_b32_e32 v104, 0xf0f0f0f, v104
	v_dot4c_i32_i8_e32 v149, v104, v12
	v_lshrrev_b32_e32 v104, 4, v105
	v_and_b32_e32 v104, 0xf0f0f0f, v104
	v_dot4c_i32_i8_e32 v147, v102, v20
	v_and_b32_e32 v102, 0xf0f0f0f, v105
	v_dot4c_i32_i8_e32 v149, v104, v13
	s_waitcnt lgkmcnt(2)
	v_lshrrev_b32_e32 v104, 4, v132
	v_dot4c_i32_i8_e32 v147, v102, v21
	v_and_b32_e32 v102, 0xf0f0f0f, v132
	v_and_b32_e32 v104, 0xf0f0f0f, v104
	v_dot4c_i32_i8_e32 v147, v102, v14
	v_and_b32_e32 v102, 0xf0f0f0f, v133
	v_dot4c_i32_i8_e32 v149, v104, v6
	v_lshrrev_b32_e32 v104, 4, v133
	v_dot4c_i32_i8_e32 v147, v102, v15
	ds_read2_b32 v[102:103], v122 offset1:2
	v_and_b32_e32 v104, 0xf0f0f0f, v104
	v_dot4c_i32_i8_e32 v149, v104, v7
	s_waitcnt lgkmcnt(2)
	v_lshrrev_b32_e32 v104, 4, v134
	v_and_b32_e32 v104, 0xf0f0f0f, v104
	v_dot4c_i32_i8_e32 v149, v104, v8
	v_lshrrev_b32_e32 v104, 4, v135
	v_and_b32_e32 v104, 0xf0f0f0f, v104
	v_dot4c_i32_i8_e32 v149, v104, v9
	s_waitcnt lgkmcnt(0)
	v_bfe_u32 v104, v102, 8, 8
	v_and_b32_e32 v130, 0xf0f0f0f, v134
	v_add_u32_e32 v136, 0x10a0, v95
	v_mul_lo_u32 v104, v149, v104
	v_cvt_f32_i32_e32 v149, v104
	v_and_b32_e32 v104, 0xf0f0f0f, v138
	v_dot4c_i32_i8_e32 v151, v104, v18
	v_and_b32_e32 v18, 0xf0f0f0f, v139
	v_dot4c_i32_i8_e32 v151, v18, v19
	v_add_u32_e32 v18, 0x3188, v95
	ds_read2_b32 v[18:19], v18 offset1:1
	v_add_u32_e32 v104, 0x3190, v95
	v_dot4c_i32_i8_e32 v147, v130, v16
	v_and_b32_e32 v130, 0xf0f0f0f, v135
	v_add_u32_e32 v105, 0x3198, v95
	ds_read2_b32 v[132:133], v104 offset1:1
	ds_read2_b32 v[134:135], v105 offset1:1
	;; [unrolled: 1-line block ×3, first 2 shown]
	s_waitcnt lgkmcnt(3)
	v_and_b32_e32 v104, 0xf0f0f0f, v18
	v_dot4c_i32_i8_e32 v151, v104, v20
	v_and_b32_e32 v20, 0xf0f0f0f, v19
	ds_read2_b32 v[104:105], v124 offset1:2
	v_dot4c_i32_i8_e32 v151, v20, v21
	s_waitcnt lgkmcnt(3)
	v_and_b32_e32 v20, 0xf0f0f0f, v132
	v_dot4c_i32_i8_e32 v151, v20, v14
	v_and_b32_e32 v14, 0xf0f0f0f, v133
	v_dot4c_i32_i8_e32 v151, v14, v15
	s_waitcnt lgkmcnt(2)
	v_and_b32_e32 v14, 0xf0f0f0f, v134
	v_dot4c_i32_i8_e32 v151, v14, v16
	v_and_b32_e32 v14, 0xf0f0f0f, v135
	v_dot4c_i32_i8_e32 v151, v14, v17
	s_waitcnt lgkmcnt(0)
	v_and_b32_e32 v14, 0xff, v104
	v_mov_b32_e32 v15, 0
	v_dot4c_i32_i8_e32 v147, v130, v17
	v_mul_lo_u32 v14, v151, v14
	v_cvt_f32_i32_e32 v151, v14
	v_lshrrev_b32_e32 v14, 4, v138
	v_and_b32_e32 v14, 0xf0f0f0f, v14
	v_dot4c_i32_i8_e32 v15, v14, v10
	v_lshrrev_b32_e32 v10, 4, v139
	v_and_b32_e32 v10, 0xf0f0f0f, v10
	v_dot4c_i32_i8_e32 v15, v10, v11
	;; [unrolled: 3-line block ×8, first 2 shown]
	v_bfe_u32 v6, v104, 8, 8
	v_and_b32_e32 v132, 0xf0f0f0f, v108
	v_mov_b32_e32 v133, 0
	v_mul_lo_u32 v6, v15, v6
	v_cvt_f32_i32_e32 v138, v6
	ds_read_b128 v[18:21], v85 offset:64
	ds_read_b128 v[14:17], v85 offset:80
	;; [unrolled: 1-line block ×4, first 2 shown]
	v_lshrrev_b32_e32 v108, 4, v108
	s_waitcnt lgkmcnt(3)
	v_dot4c_i32_i8_e32 v133, v132, v18
	v_and_b32_e32 v132, 0xf0f0f0f, v109
	v_dot4c_i32_i8_e32 v133, v132, v19
	v_and_b32_e32 v132, 0xf0f0f0f, v116
	;; [unrolled: 2-line block ×4, first 2 shown]
	s_waitcnt lgkmcnt(2)
	v_dot4c_i32_i8_e32 v133, v132, v14
	v_and_b32_e32 v132, 0xf0f0f0f, v119
	v_dot4c_i32_i8_e32 v133, v132, v15
	v_and_b32_e32 v132, 0xf0f0f0f, v120
	;; [unrolled: 2-line block ×4, first 2 shown]
	v_mov_b32_e32 v132, 0
	s_waitcnt lgkmcnt(1)
	v_dot4c_i32_i8_e32 v132, v108, v10
	v_lshrrev_b32_e32 v108, 4, v109
	v_and_b32_e32 v108, 0xf0f0f0f, v108
	v_dot4c_i32_i8_e32 v132, v108, v11
	v_lshrrev_b32_e32 v108, 4, v116
	v_and_b32_e32 v108, 0xf0f0f0f, v108
	;; [unrolled: 3-line block ×4, first 2 shown]
	s_waitcnt lgkmcnt(0)
	v_dot4c_i32_i8_e32 v132, v108, v6
	v_lshrrev_b32_e32 v108, 4, v119
	v_and_b32_e32 v108, 0xf0f0f0f, v108
	v_dot4c_i32_i8_e32 v132, v108, v7
	v_lshrrev_b32_e32 v108, 4, v120
	v_cvt_f32_f16_e32 v117, v4
	v_cvt_f32_f16_sdwa v109, v4 dst_sel:DWORD dst_unused:UNUSED_PAD src0_sel:WORD_1
	v_and_b32_e32 v4, 0xff, v110
	v_bfe_u32 v118, v110, 16, 8
	v_and_b32_e32 v108, 0xf0f0f0f, v108
	v_mul_lo_u32 v4, v128, v4
	v_mul_lo_u32 v118, v133, v118
	v_dot4c_i32_i8_e32 v132, v108, v8
	v_lshrrev_b32_e32 v108, 4, v121
	v_cvt_f32_f16_e32 v116, v2
	v_cvt_f32_i32_e32 v121, v118
	v_cvt_f32_i32_e32 v120, v4
	v_and_b32_e32 v108, 0xf0f0f0f, v108
	v_lshrrev_b32_e32 v140, 24, v110
	v_dot4c_i32_i8_e32 v132, v108, v9
	v_bfe_u32 v110, v110, 8, 8
	v_pk_fma_f32 v[120:121], v[116:117], v[120:121], 0 op_sel_hi:[1,1,0]
	v_mul_lo_u32 v110, v141, v110
	v_mul_lo_u32 v116, v132, v140
	v_cvt_f32_f16_sdwa v108, v2 dst_sel:DWORD dst_unused:UNUSED_PAD src0_sel:WORD_1
	v_cvt_f32_f16_e32 v119, v5
	v_cvt_f32_f16_e32 v118, v3
	v_cvt_f32_i32_e32 v133, v116
	v_cvt_f32_i32_e32 v132, v110
	v_and_b32_e32 v148, 0xff, v102
	v_cvt_f32_f16_sdwa v5, v5 dst_sel:DWORD dst_unused:UNUSED_PAD src0_sel:WORD_1
	v_cvt_f32_f16_sdwa v4, v3 dst_sel:DWORD dst_unused:UNUSED_PAD src0_sel:WORD_1
	v_cvt_f32_f16_e32 v112, v114
	v_cvt_f32_f16_sdwa v114, v114 dst_sel:DWORD dst_unused:UNUSED_PAD src0_sel:WORD_1
	v_mul_lo_u32 v147, v147, v148
	v_cvt_f32_i32_e32 v147, v147
	v_cvt_f32_ubyte2_e32 v135, v111
	v_cvt_f32_ubyte0_e32 v134, v111
	v_pk_fma_f32 v[134:135], v[108:109], v[134:135], 0 op_sel_hi:[1,1,0]
	v_pk_fma_f32 v[120:121], v[118:119], v[132:133], v[120:121]
	v_cvt_f32_ubyte3_e32 v133, v111
	v_cvt_f32_ubyte1_e32 v132, v111
	v_pk_fma_f32 v[110:111], v[4:5], v[132:133], v[134:135]
	v_cvt_f32_ubyte0_e32 v144, v107
	v_cvt_f32_ubyte0_e32 v148, v103
	;; [unrolled: 1-line block ×3, first 2 shown]
	v_pk_mul_f32 v[110:111], v[110:111], v[114:115] op_sel_hi:[1,0]
	v_cvt_f32_ubyte1_e32 v139, v105
	v_pk_fma_f32 v[110:111], v[120:121], v[112:113], v[110:111] op_sel_hi:[1,0,1] neg_lo:[0,0,1] neg_hi:[0,0,1]
	v_fma_mix_f32 v4, v2, v143, 0 op_sel_hi:[1,0,0]
	v_fma_mix_f32 v108, v2, v144, 0 op_sel:[1,0,0] op_sel_hi:[1,0,0]
	v_fma_mix_f32 v112, v2, v147, 0 op_sel_hi:[1,0,0]
	v_fma_mix_f32 v114, v2, v148, 0 op_sel:[1,0,0] op_sel_hi:[1,0,0]
	;; [unrolled: 2-line block ×4, first 2 shown]
	v_and_b32_e32 v2, 0xf0f0f0f, v136
	v_mov_b32_e32 v116, 0
	v_dot4c_i32_i8_e32 v116, v2, v18
	v_and_b32_e32 v2, 0xf0f0f0f, v137
	v_cvt_f32_ubyte1_e32 v146, v107
	v_cvt_f32_ubyte1_e32 v150, v103
	v_dot4c_i32_i8_e32 v116, v2, v19
	v_add_u32_e32 v2, 0x10a8, v95
	v_fma_mix_f32 v4, v3, v145, v4 op_sel_hi:[1,0,0]
	v_fma_mix_f32 v108, v3, v146, v108 op_sel:[1,0,0] op_sel_hi:[1,0,0]
	v_fma_mix_f32 v112, v3, v149, v112 op_sel_hi:[1,0,0]
	v_fma_mix_f32 v114, v3, v150, v114 op_sel:[1,0,0] op_sel_hi:[1,0,0]
	ds_read2_b32 v[2:3], v2 offset1:1
	v_add_u32_e32 v118, 0x10b0, v95
	v_add_u32_e32 v132, 0x10b8, v95
	;; [unrolled: 1-line block ×3, first 2 shown]
	ds_read2_b32 v[120:121], v118 offset1:1
	ds_read2_b32 v[132:133], v132 offset1:1
	ds_read2_b32 v[134:135], v134 offset1:1
	s_waitcnt lgkmcnt(3)
	v_and_b32_e32 v118, 0xf0f0f0f, v2
	v_dot4c_i32_i8_e32 v116, v118, v20
	v_and_b32_e32 v118, 0xf0f0f0f, v3
	v_dot4c_i32_i8_e32 v116, v118, v21
	s_waitcnt lgkmcnt(2)
	v_and_b32_e32 v118, 0xf0f0f0f, v120
	v_dot4c_i32_i8_e32 v116, v118, v14
	v_and_b32_e32 v118, 0xf0f0f0f, v121
	v_dot4c_i32_i8_e32 v116, v118, v15
	s_waitcnt lgkmcnt(1)
	v_and_b32_e32 v118, 0xf0f0f0f, v132
	v_dot4c_i32_i8_e32 v116, v118, v16
	v_and_b32_e32 v118, 0xf0f0f0f, v133
	v_lshrrev_b32_e32 v142, 24, v106
	v_dot4c_i32_i8_e32 v116, v118, v17
	v_bfe_u32 v106, v106, 16, 8
	v_lshrrev_b32_e32 v2, 4, v2
	v_and_b32_e32 v2, 0xf0f0f0f, v2
	v_mul_lo_u32 v106, v116, v106
	v_cvt_f32_i32_e32 v138, v106
	v_lshrrev_b32_e32 v106, 4, v136
	v_and_b32_e32 v106, 0xf0f0f0f, v106
	v_mov_b32_e32 v116, 0
	v_dot4c_i32_i8_e32 v116, v106, v10
	v_lshrrev_b32_e32 v106, 4, v137
	v_and_b32_e32 v106, 0xf0f0f0f, v106
	v_dot4c_i32_i8_e32 v116, v106, v11
	v_dot4c_i32_i8_e32 v116, v2, v12
	v_lshrrev_b32_e32 v2, 4, v3
	v_and_b32_e32 v2, 0xf0f0f0f, v2
	v_dot4c_i32_i8_e32 v116, v2, v13
	v_lshrrev_b32_e32 v2, 4, v120
	v_and_b32_e32 v2, 0xf0f0f0f, v2
	;; [unrolled: 3-line block ×5, first 2 shown]
	v_cvt_f32_f16_sdwa v3, v131 dst_sel:DWORD dst_unused:UNUSED_PAD src0_sel:WORD_1
	v_dot4c_i32_i8_e32 v116, v2, v9
	v_cvt_f32_ubyte2_e32 v139, v107
	v_cvt_f32_ubyte3_e32 v107, v107
	v_mul_f32_e32 v108, v108, v3
	v_mul_lo_u32 v2, v116, v142
	v_cvt_f32_i32_e32 v106, v2
	v_cvt_f32_f16_e32 v2, v131
	v_fma_mix_f32 v121, v4, v131, -v108 op_sel_hi:[0,1,0]
	v_mov_b32_e32 v108, v117
	v_pk_fma_f32 v[116:117], v[108:109], v[138:139], 0 op_sel_hi:[1,1,0]
	v_mov_b32_e32 v4, v119
	v_pk_fma_f32 v[106:107], v[4:5], v[106:107], v[116:117]
	v_pk_mul_f32 v[116:117], v[106:107], v[2:3]
	v_mov_b32_e32 v117, v116
	v_mov_b32_e32 v120, v110
	v_pk_fma_f32 v[2:3], v[106:107], v[2:3], v[116:117] neg_lo:[1,0,0] neg_hi:[1,0,0]
	v_pk_add_f32 v[90:91], v[90:91], v[120:121]
	v_mov_b32_e32 v2, v111
	v_pk_add_f32 v[90:91], v[90:91], v[2:3]
	s_waitcnt lgkmcnt(0)
	v_and_b32_e32 v2, 0xf0f0f0f, v134
	v_mov_b32_e32 v118, 0
	v_dot4c_i32_i8_e32 v118, v2, v18
	v_and_b32_e32 v2, 0xf0f0f0f, v135
	v_dot4c_i32_i8_e32 v118, v2, v19
	v_add_u32_e32 v2, 0x2128, v95
	ds_read2_b32 v[2:3], v2 offset1:1
	v_add_u32_e32 v106, 0x2130, v95
	v_add_u32_e32 v110, 0x2138, v95
	;; [unrolled: 1-line block ×3, first 2 shown]
	ds_read2_b32 v[106:107], v106 offset1:1
	ds_read2_b32 v[110:111], v110 offset1:1
	;; [unrolled: 1-line block ×3, first 2 shown]
	s_waitcnt lgkmcnt(3)
	v_and_b32_e32 v119, 0xf0f0f0f, v2
	v_dot4c_i32_i8_e32 v118, v119, v20
	v_and_b32_e32 v119, 0xf0f0f0f, v3
	v_dot4c_i32_i8_e32 v118, v119, v21
	s_waitcnt lgkmcnt(2)
	v_and_b32_e32 v119, 0xf0f0f0f, v106
	v_dot4c_i32_i8_e32 v118, v119, v14
	v_and_b32_e32 v119, 0xf0f0f0f, v107
	v_dot4c_i32_i8_e32 v118, v119, v15
	s_waitcnt lgkmcnt(1)
	v_and_b32_e32 v119, 0xf0f0f0f, v110
	v_dot4c_i32_i8_e32 v118, v119, v16
	v_and_b32_e32 v119, 0xf0f0f0f, v111
	v_lshrrev_b32_e32 v130, 24, v102
	v_dot4c_i32_i8_e32 v118, v119, v17
	v_bfe_u32 v102, v102, 16, 8
	v_mov_b32_e32 v120, 0
	v_lshrrev_b32_e32 v2, 4, v2
	v_mul_lo_u32 v102, v118, v102
	v_cvt_f32_i32_e32 v118, v102
	v_lshrrev_b32_e32 v102, 4, v134
	v_and_b32_e32 v102, 0xf0f0f0f, v102
	v_dot4c_i32_i8_e32 v120, v102, v10
	v_lshrrev_b32_e32 v102, 4, v135
	v_and_b32_e32 v102, 0xf0f0f0f, v102
	v_dot4c_i32_i8_e32 v120, v102, v11
	v_and_b32_e32 v2, 0xf0f0f0f, v2
	v_dot4c_i32_i8_e32 v120, v2, v12
	v_lshrrev_b32_e32 v2, 4, v3
	v_and_b32_e32 v2, 0xf0f0f0f, v2
	v_dot4c_i32_i8_e32 v120, v2, v13
	v_lshrrev_b32_e32 v2, 4, v106
	;; [unrolled: 3-line block ×5, first 2 shown]
	v_and_b32_e32 v2, 0xf0f0f0f, v2
	v_cvt_f32_f16_sdwa v3, v129 dst_sel:DWORD dst_unused:UNUSED_PAD src0_sel:WORD_1
	v_dot4c_i32_i8_e32 v120, v2, v9
	v_cvt_f32_ubyte2_e32 v119, v103
	v_cvt_f32_ubyte3_e32 v103, v103
	v_mul_f32_e32 v106, v114, v3
	v_mul_lo_u32 v2, v120, v130
	v_cvt_f32_i32_e32 v102, v2
	v_cvt_f32_f16_e32 v2, v129
	v_fma_mix_f32 v106, v112, v129, -v106 op_sel_hi:[0,1,0]
	v_add_f32_e32 v67, v67, v106
	v_pk_fma_f32 v[106:107], v[108:109], v[118:119], 0 op_sel_hi:[1,1,0]
	v_pk_fma_f32 v[102:103], v[4:5], v[102:103], v[106:107]
	v_pk_mul_f32 v[2:3], v[102:103], v[2:3]
	v_sub_f32_e32 v2, v2, v3
	v_add_f32_e32 v67, v67, v2
	s_waitcnt lgkmcnt(0)
	v_and_b32_e32 v2, 0xf0f0f0f, v116
	v_mov_b32_e32 v106, 0
	v_dot4c_i32_i8_e32 v106, v2, v18
	v_and_b32_e32 v2, 0xf0f0f0f, v117
	v_dot4c_i32_i8_e32 v106, v2, v19
	v_add_u32_e32 v2, 0x31a8, v95
	ds_read2_b32 v[2:3], v2 offset1:1
	v_add_u32_e32 v18, 0x31b0, v95
	v_add_u32_e32 v102, 0x31b8, v95
	ds_read2_b32 v[18:19], v18 offset1:1
	ds_read2_b32 v[102:103], v102 offset1:1
	v_lshrrev_b32_e32 v152, 24, v104
	s_waitcnt lgkmcnt(2)
	v_and_b32_e32 v107, 0xf0f0f0f, v2
	v_dot4c_i32_i8_e32 v106, v107, v20
	v_and_b32_e32 v20, 0xf0f0f0f, v3
	v_dot4c_i32_i8_e32 v106, v20, v21
	s_waitcnt lgkmcnt(1)
	v_and_b32_e32 v20, 0xf0f0f0f, v18
	v_dot4c_i32_i8_e32 v106, v20, v14
	v_and_b32_e32 v14, 0xf0f0f0f, v19
	v_dot4c_i32_i8_e32 v106, v14, v15
	s_waitcnt lgkmcnt(0)
	v_and_b32_e32 v14, 0xf0f0f0f, v102
	v_dot4c_i32_i8_e32 v106, v14, v16
	v_and_b32_e32 v14, 0xf0f0f0f, v103
	v_lshrrev_b32_e32 v16, 4, v116
	v_dot4c_i32_i8_e32 v106, v14, v17
	v_and_b32_e32 v16, 0xf0f0f0f, v16
	v_mov_b32_e32 v17, 0
	v_dot4c_i32_i8_e32 v17, v16, v10
	v_lshrrev_b32_e32 v10, 4, v117
	v_and_b32_e32 v10, 0xf0f0f0f, v10
	v_lshrrev_b32_e32 v2, 4, v2
	v_dot4c_i32_i8_e32 v17, v10, v11
	v_and_b32_e32 v2, 0xf0f0f0f, v2
	v_dot4c_i32_i8_e32 v17, v2, v12
	v_lshrrev_b32_e32 v2, 4, v3
	v_and_b32_e32 v2, 0xf0f0f0f, v2
	v_dot4c_i32_i8_e32 v17, v2, v13
	v_lshrrev_b32_e32 v2, 4, v18
	;; [unrolled: 3-line block ×5, first 2 shown]
	v_bfe_u32 v14, v104, 16, 8
	v_and_b32_e32 v2, 0xf0f0f0f, v2
	v_cvt_f32_f16_sdwa v3, v113 dst_sel:DWORD dst_unused:UNUSED_PAD src0_sel:WORD_1
	v_mul_lo_u32 v14, v106, v14
	v_dot4c_i32_i8_e32 v17, v2, v9
	v_cvt_f32_i32_e32 v14, v14
	v_mul_f32_e32 v8, v140, v3
	v_cvt_f32_ubyte2_e32 v15, v105
	v_mul_lo_u32 v2, v17, v152
	v_cvt_f32_i32_e32 v6, v2
	v_cvt_f32_f16_e32 v2, v113
	v_fma_mix_f32 v8, v128, v113, -v8 op_sel_hi:[0,1,0]
	v_cvt_f32_ubyte3_e32 v7, v105
	v_add_f32_e32 v10, v47, v8
	v_pk_fma_f32 v[8:9], v[108:109], v[14:15], 0 op_sel_hi:[1,1,0]
	v_pk_fma_f32 v[4:5], v[4:5], v[6:7], v[8:9]
	v_pk_mul_f32 v[2:3], v[4:5], v[2:3]
	v_sub_f32_e32 v2, v2, v3
	v_add_f32_e32 v47, v10, v2
	s_cmp_ge_i32 s10, s9
	s_barrier
	s_cbranch_scc1 .LBB192_5
; %bb.13:                               ;   in Loop: Header=BB192_6 Depth=1
	v_cmp_gt_i32_e32 vcc, s12, v99
	s_and_b64 s[22:23], s[2:3], vcc
	s_and_saveexec_b64 s[4:5], s[22:23]
	s_cbranch_execz .LBB192_15
; %bb.14:                               ;   in Loop: Header=BB192_6 Depth=1
	v_add_u32_e32 v2, v56, v99
	v_mad_i64_i32 v[2:3], s[22:23], v2, 36, v[54:55]
	global_load_dword v2, v[2:3], off offset:4
	s_waitcnt vmcnt(0)
	ds_write_b32 v79, v2
.LBB192_15:                             ;   in Loop: Header=BB192_6 Depth=1
	s_or_b64 exec, exec, s[4:5]
	s_and_saveexec_b64 s[4:5], s[0:1]
	s_cbranch_execz .LBB192_4
; %bb.16:                               ;   in Loop: Header=BB192_6 Depth=1
	v_add_u32_e32 v2, 4, v71
	v_cmp_gt_i32_e32 vcc, s12, v2
	s_and_b64 s[22:23], s[2:3], vcc
	s_and_b64 exec, exec, s[22:23]
	s_cbranch_execz .LBB192_4
; %bb.17:                               ;   in Loop: Header=BB192_6 Depth=1
	v_ashrrev_i32_e32 v2, 31, v71
	v_add_co_u32_e32 v3, vcc, v56, v71
	v_addc_co_u32_e32 v4, vcc, v1, v2, vcc
	v_mad_u64_u32 v[2:3], s[22:23], v3, 36, s[6:7]
	v_mad_i32_i24 v3, v4, 36, v3
	global_load_dword v2, v[2:3], off
	s_waitcnt vmcnt(0)
	ds_write_b32 v81, v2
	s_branch .LBB192_4
.LBB192_18:
	v_mov_b32_e32 v67, 0
	v_mov_b32_e32 v91, 0
	;; [unrolled: 1-line block ×3, first 2 shown]
.LBB192_19:
	s_mul_i32 s0, s14, s11
	s_waitcnt vmcnt(0)
	v_cmp_gt_i32_e32 vcc, s0, v69
	s_and_saveexec_b64 s[0:1], vcc
	s_cbranch_execz .LBB192_28
; %bb.20:
	v_and_b32_e32 v0, 0x3ff, v0
	v_add_u32_e32 v1, s15, v0
	v_mul_lo_u32 v0, v69, s13
	v_cmp_gt_u32_e32 vcc, s13, v1
	s_and_saveexec_b64 s[0:1], vcc
	s_cbranch_execz .LBB192_22
; %bb.21:
	v_add_u32_e32 v2, v0, v1
	v_mov_b32_e32 v3, 0
	v_lshlrev_b64 v[2:3], 2, v[2:3]
	v_mov_b32_e32 v4, s21
	v_add_co_u32_e32 v2, vcc, s20, v2
	v_addc_co_u32_e32 v3, vcc, v4, v3, vcc
	global_store_dword v[2:3], v90, off
.LBB192_22:
	s_or_b64 exec, exec, s[0:1]
	v_add_u32_e32 v2, 32, v1
	v_cmp_gt_u32_e32 vcc, s13, v2
	s_and_saveexec_b64 s[0:1], vcc
	s_cbranch_execz .LBB192_24
; %bb.23:
	v_add_u32_e32 v2, v0, v2
	v_mov_b32_e32 v3, 0
	v_lshlrev_b64 v[2:3], 2, v[2:3]
	v_mov_b32_e32 v4, s21
	v_add_co_u32_e32 v2, vcc, s20, v2
	v_addc_co_u32_e32 v3, vcc, v4, v3, vcc
	global_store_dword v[2:3], v91, off
.LBB192_24:
	s_or_b64 exec, exec, s[0:1]
	v_add_u32_e32 v2, 64, v1
	;; [unrolled: 14-line block ×3, first 2 shown]
	v_cmp_gt_u32_e32 vcc, s13, v1
	s_and_b64 exec, exec, vcc
	s_cbranch_execz .LBB192_28
; %bb.27:
	v_add_u32_e32 v0, v0, v1
	v_mov_b32_e32 v1, 0
	v_lshlrev_b64 v[0:1], 2, v[0:1]
	v_mov_b32_e32 v2, s21
	v_add_co_u32_e32 v0, vcc, s20, v0
	v_addc_co_u32_e32 v1, vcc, v2, v1, vcc
	global_store_dword v[0:1], v47, off
.LBB192_28:
	s_endpgm
	.section	.rodata,"a",@progbits
	.p2align	6, 0x0
	.amdhsa_kernel _ZL8moe_q4_KIfLb1EEvPKvS1_PT_PKiS5_S5_iiiiiii
		.amdhsa_group_segment_fixed_size 20688
		.amdhsa_private_segment_fixed_size 0
		.amdhsa_kernarg_size 76
		.amdhsa_user_sgpr_count 6
		.amdhsa_user_sgpr_private_segment_buffer 1
		.amdhsa_user_sgpr_dispatch_ptr 0
		.amdhsa_user_sgpr_queue_ptr 0
		.amdhsa_user_sgpr_kernarg_segment_ptr 1
		.amdhsa_user_sgpr_dispatch_id 0
		.amdhsa_user_sgpr_flat_scratch_init 0
		.amdhsa_user_sgpr_kernarg_preload_length 0
		.amdhsa_user_sgpr_kernarg_preload_offset 0
		.amdhsa_user_sgpr_private_segment_size 0
		.amdhsa_uses_dynamic_stack 0
		.amdhsa_system_sgpr_private_segment_wavefront_offset 0
		.amdhsa_system_sgpr_workgroup_id_x 1
		.amdhsa_system_sgpr_workgroup_id_y 1
		.amdhsa_system_sgpr_workgroup_id_z 0
		.amdhsa_system_sgpr_workgroup_info 0
		.amdhsa_system_vgpr_workitem_id 1
		.amdhsa_next_free_vgpr 154
		.amdhsa_next_free_sgpr 28
		.amdhsa_accum_offset 156
		.amdhsa_reserve_vcc 1
		.amdhsa_reserve_flat_scratch 0
		.amdhsa_float_round_mode_32 0
		.amdhsa_float_round_mode_16_64 0
		.amdhsa_float_denorm_mode_32 3
		.amdhsa_float_denorm_mode_16_64 3
		.amdhsa_dx10_clamp 1
		.amdhsa_ieee_mode 1
		.amdhsa_fp16_overflow 0
		.amdhsa_tg_split 0
		.amdhsa_exception_fp_ieee_invalid_op 0
		.amdhsa_exception_fp_denorm_src 0
		.amdhsa_exception_fp_ieee_div_zero 0
		.amdhsa_exception_fp_ieee_overflow 0
		.amdhsa_exception_fp_ieee_underflow 0
		.amdhsa_exception_fp_ieee_inexact 0
		.amdhsa_exception_int_div_zero 0
	.end_amdhsa_kernel
	.section	.text._ZL8moe_q4_KIfLb1EEvPKvS1_PT_PKiS5_S5_iiiiiii,"axG",@progbits,_ZL8moe_q4_KIfLb1EEvPKvS1_PT_PKiS5_S5_iiiiiii,comdat
.Lfunc_end192:
	.size	_ZL8moe_q4_KIfLb1EEvPKvS1_PT_PKiS5_S5_iiiiiii, .Lfunc_end192-_ZL8moe_q4_KIfLb1EEvPKvS1_PT_PKiS5_S5_iiiiiii
                                        ; -- End function
	.section	.AMDGPU.csdata,"",@progbits
; Kernel info:
; codeLenInByte = 10704
; NumSgprs: 32
; NumVgprs: 154
; NumAgprs: 0
; TotalNumVgprs: 154
; ScratchSize: 0
; MemoryBound: 0
; FloatMode: 240
; IeeeMode: 1
; LDSByteSize: 20688 bytes/workgroup (compile time only)
; SGPRBlocks: 3
; VGPRBlocks: 19
; NumSGPRsForWavesPerEU: 32
; NumVGPRsForWavesPerEU: 154
; AccumOffset: 156
; Occupancy: 3
; WaveLimiterHint : 1
; COMPUTE_PGM_RSRC2:SCRATCH_EN: 0
; COMPUTE_PGM_RSRC2:USER_SGPR: 6
; COMPUTE_PGM_RSRC2:TRAP_HANDLER: 0
; COMPUTE_PGM_RSRC2:TGID_X_EN: 1
; COMPUTE_PGM_RSRC2:TGID_Y_EN: 1
; COMPUTE_PGM_RSRC2:TGID_Z_EN: 0
; COMPUTE_PGM_RSRC2:TIDIG_COMP_CNT: 1
; COMPUTE_PGM_RSRC3_GFX90A:ACCUM_OFFSET: 38
; COMPUTE_PGM_RSRC3_GFX90A:TG_SPLIT: 0
	.section	.text._ZL8moe_q5_KIfLb0EEvPKvS1_PT_PKiS5_S5_iiiiiii,"axG",@progbits,_ZL8moe_q5_KIfLb0EEvPKvS1_PT_PKiS5_S5_iiiiiii,comdat
	.globl	_ZL8moe_q5_KIfLb0EEvPKvS1_PT_PKiS5_S5_iiiiiii ; -- Begin function _ZL8moe_q5_KIfLb0EEvPKvS1_PT_PKiS5_S5_iiiiiii
	.p2align	8
	.type	_ZL8moe_q5_KIfLb0EEvPKvS1_PT_PKiS5_S5_iiiiiii,@function
_ZL8moe_q5_KIfLb0EEvPKvS1_PT_PKiS5_S5_iiiiiii: ; @_ZL8moe_q5_KIfLb0EEvPKvS1_PT_PKiS5_S5_iiiiiii
; %bb.0:
	s_load_dwordx4 s[0:3], s[4:5], 0x18
	s_mov_b32 s8, s7
	s_mov_b32 s9, 0
	s_lshl_b64 s[10:11], s[8:9], 2
	s_waitcnt lgkmcnt(0)
	s_add_u32 s2, s2, s10
	s_addc_u32 s3, s3, s11
	s_load_dword s2, s[2:3], 0x0
	s_waitcnt lgkmcnt(0)
	s_cmpk_gt_u32 s2, 0xff
	s_cbranch_scc1 .LBB193_28
; %bb.1:
	s_load_dwordx2 s[10:11], s[4:5], 0x28
	s_lshl_b32 s3, s8, 3
	s_waitcnt lgkmcnt(0)
	s_load_dword s7, s[10:11], 0x0
	s_waitcnt lgkmcnt(0)
	s_cmp_gt_u32 s3, s7
	s_cbranch_scc1 .LBB193_28
; %bb.2:
	v_bfe_u32 v4, v0, 10, 10
	v_add_u32_e32 v84, s3, v4
	v_mov_b32_e32 v85, 0
	v_lshlrev_b64 v[2:3], 2, v[84:85]
	v_mov_b32_e32 v1, s1
	v_add_co_u32_e32 v2, vcc, s0, v2
	v_addc_co_u32_e32 v3, vcc, v1, v3, vcc
	global_load_dword v113, v[2:3], off
	s_load_dwordx2 s[18:19], s[4:5], 0x30
	s_load_dwordx2 s[16:17], s[4:5], 0x10
	s_load_dwordx4 s[8:11], s[4:5], 0x3c
	s_lshl_b32 s24, s6, 7
	s_mov_b32 s20, 0
	s_waitcnt lgkmcnt(0)
	s_cmpk_lt_i32 s19, 0x100
	s_cbranch_scc1 .LBB193_18
; %bb.3:
	s_ashr_i32 s0, s19, 31
	s_lshr_b32 s0, s0, 24
	s_add_i32 s0, s19, s0
	s_ashr_i32 s25, s0, 8
	s_ashr_i32 s0, s9, 31
	s_lshr_b32 s0, s0, 27
	v_and_b32_e32 v114, 0x3ff, v0
	s_add_i32 s0, s9, s0
	v_lshlrev_b32_e32 v1, 1, v114
	v_and_b32_e32 v6, 7, v114
	s_ashr_i32 s9, s0, 5
	v_and_or_b32 v1, v1, 48, v6
	v_mul_u32_u24_e32 v7, 0x41, v4
	s_lshl_b32 s0, s25, 3
	v_add_lshl_u32 v117, v1, v7, 2
	v_mov_b32_e32 v1, s0
	v_mad_i32_i24 v10, s25, v4, v1
	v_add_u32_e32 v11, s0, v10
	v_add_u32_e32 v12, s0, v11
	;; [unrolled: 1-line block ×6, first 2 shown]
	v_lshlrev_b32_e32 v1, 5, v4
	v_add_u32_e32 v17, s0, v16
	v_add_u32_e32 v7, v1, v114
	v_and_b32_e32 v24, 3, v114
	v_add_u32_e32 v18, s0, v17
	v_and_b32_e32 v22, 0x7f, v7
	v_lshrrev_b32_e32 v23, 3, v7
	v_add_u32_e32 v25, 0xfe, v24
	v_cmp_gt_u32_e32 vcc, 2, v24
	s_mul_i32 s18, s2, s18
	v_add_u32_e32 v19, s0, v18
	v_mul_i32_i24_e32 v85, s25, v22
	v_and_b32_e32 v23, 12, v23
	v_lshlrev_b32_e32 v22, 2, v22
	s_mov_b32 s2, 0x8e40
	v_cndmask_b32_e32 v25, v25, v24, vcc
	v_lshrrev_b32_e32 v3, 2, v114
	v_add_u32_e32 v20, s0, v19
	v_add3_u32 v133, v22, v23, s2
	v_lshlrev_b32_e32 v22, 3, v4
	v_and_b32_e32 v25, 0xff, v25
	v_cmp_ne_u32_e32 vcc, 0, v24
	v_and_b32_e32 v115, 6, v3
	v_add_u32_e32 v21, s0, v20
	v_add_u32_e32 v23, v3, v22
	v_addc_co_u32_e32 v90, vcc, 0, v25, vcc
	v_add_u16_e32 v3, v3, v22
	s_load_dwordx4 s[12:15], s[4:5], 0x0
	v_add_u32_e32 v77, s0, v21
	v_cmp_lt_u32_e32 vcc, 1, v24
	v_and_b32_e32 v23, 0x7f, v23
	v_lshlrev_b32_e32 v24, 2, v24
	v_lshrrev_b16_e32 v3, 1, v3
	v_add_u32_e32 v81, s0, v77
	v_lshlrev_b32_e32 v135, 1, v25
	v_lshl_or_b32 v25, v23, 4, v24
	v_and_b32_e32 v3, 60, v3
	s_mov_b32 s0, 0x8200
	v_add3_u32 v136, v25, v3, s0
	v_xor_b32_e32 v3, 64, v23
	v_lshlrev_b32_e32 v2, 2, v114
	v_mul_i32_i24_e32 v98, s25, v3
	v_lshl_or_b32 v22, v3, 4, v24
	v_lshrrev_b32_e32 v3, 1, v3
	v_and_b32_e32 v9, 28, v2
	v_and_b32_e32 v3, 60, v3
	v_add3_u32 v137, v22, v3, s0
	s_waitcnt lgkmcnt(0)
	v_mov_b32_e32 v3, s15
	v_add_co_u32_e64 v22, s[0:1], s14, v9
	v_mul_i32_i24_e32 v91, s25, v23
	v_and_or_b32 v1, v114, 31, v1
	v_addc_co_u32_e64 v23, s[0:1], 0, v3, s[0:1]
	v_mov_b32_e32 v3, 0x8a40
	s_movk_i32 s3, 0xffe4
	v_lshl_add_u32 v138, v1, 2, v3
	v_mad_i32_i24 v1, v4, s3, v7
	v_mov_b32_e32 v7, 0x9050
	v_lshrrev_b32_e32 v140, 3, v114
	v_lshrrev_b32_e32 v5, 5, v114
	v_lshl_add_u32 v139, v1, 2, v7
	v_lshl_add_u32 v141, v4, 7, v3
	v_add_u32_e32 v1, v140, v2
	v_mov_b32_e32 v3, 0x8200
	v_lshl_add_u32 v143, v1, 2, v3
	v_lshlrev_b32_e32 v1, 2, v5
	v_add3_u32 v145, v1, v2, s2
	v_add_u32_e32 v1, 32, v114
	v_lshrrev_b32_e32 v146, 3, v1
	v_lshl_add_u32 v1, v1, 2, v146
	v_lshl_add_u32 v147, v1, 2, v3
	v_and_b32_e32 v1, 60, v146
	v_add3_u32 v148, v2, v1, s2
	v_add_u32_e32 v1, 64, v114
	v_lshrrev_b32_e32 v7, 3, v1
	v_lshl_add_u32 v1, v1, 2, v7
	s_abs_i32 s4, s11
	v_lshl_add_u32 v149, v1, 2, v3
	v_and_b32_e32 v1, 60, v7
	v_cvt_f32_u32_e32 v24, s4
	v_add3_u32 v150, v2, v1, s2
	v_add_u32_e32 v1, 0x60, v114
	v_lshrrev_b32_e32 v7, 3, v1
	v_lshl_add_u32 v1, v1, 2, v7
	v_lshl_add_u32 v151, v1, 2, v3
	v_rcp_iflag_f32_e32 v3, v24
	v_and_b32_e32 v1, 60, v7
	v_and_b32_e32 v8, 0x7c, v2
	v_and_b32_e32 v26, 4, v2
	v_add3_u32 v152, v2, v1, s2
	v_mul_f32_e32 v2, 0x4f7ffffe, v3
	v_cvt_u32_f32_e32 v2, v2
	s_sub_i32 s2, 0, s4
	s_waitcnt vmcnt(0)
	v_sub_u32_e32 v3, 0, v113
	v_max_i32_e32 v3, v113, v3
	v_mul_lo_u32 v7, s2, v2
	v_mul_hi_u32 v7, v2, v7
	v_add_u32_e32 v2, v2, v7
	v_mul_hi_u32 v2, v3, v2
	v_mul_lo_u32 v7, v2, s4
	v_sub_u32_e32 v3, v3, v7
	v_add_u32_e32 v7, 1, v2
	v_cmp_le_u32_e64 s[2:3], s4, v3
	v_cndmask_b32_e64 v2, v2, v7, s[2:3]
	v_subrev_u32_e32 v7, s4, v3
	v_cndmask_b32_e64 v3, v3, v7, s[2:3]
	v_xor_b32_e32 v1, s11, v113
	v_add_u32_e32 v7, 1, v2
	v_cmp_le_u32_e64 s[2:3], s4, v3
	s_mul_i32 s21, s25, s24
	v_ashrrev_i32_e32 v1, 31, v1
	v_cndmask_b32_e64 v2, v2, v7, s[2:3]
	v_xor_b32_e32 v2, v2, v1
	s_mul_hi_i32 s23, s21, 0xb0
	s_mul_i32 s22, s21, 0xb0
	v_sub_u32_e32 v1, v2, v1
	s_movk_i32 s27, 0xb0
	v_pk_mov_b32 v[2:3], s[22:23], s[22:23] op_sel:[0,1]
	v_mul_i32_i24_e32 v6, s25, v4
	v_mad_u64_u32 v[2:3], s[4:5], v5, s27, v[2:3]
	v_mad_u64_u32 v[6:7], s[4:5], v6, s27, v[2:3]
	v_add_co_u32_e64 v5, s[4:5], v6, v9
	v_addc_co_u32_e64 v25, s[4:5], 0, v7, s[4:5]
	v_mov_b32_e32 v100, s13
	v_add_co_u32_e64 v5, s[4:5], s12, v5
	v_addc_co_u32_e64 v25, s[4:5], v25, v100, s[4:5]
	v_cndmask_b32_e32 v134, 0, v26, vcc
	v_add_co_u32_e64 v26, s[4:5], 16, v5
	v_addc_co_u32_e64 v25, s[4:5], 0, v25, s[4:5]
	v_add_co_u32_e64 v5, s[4:5], v6, v8
	v_addc_co_u32_e64 v6, s[4:5], 0, v7, s[4:5]
	v_add_co_u32_e64 v5, s[4:5], s12, v5
	v_addc_co_u32_e64 v6, s[4:5], v6, v100, s[4:5]
	v_add_co_u32_e64 v28, s[4:5], 48, v5
	v_addc_co_u32_e64 v27, s[4:5], 0, v6, s[4:5]
	v_mad_u64_u32 v[6:7], s[4:5], v10, s27, v[2:3]
	v_add_co_u32_e64 v5, s[4:5], v6, v9
	v_addc_co_u32_e64 v10, s[4:5], 0, v7, s[4:5]
	v_add_co_u32_e64 v5, s[4:5], s12, v5
	v_addc_co_u32_e64 v10, s[4:5], v10, v100, s[4:5]
	v_add_co_u32_e64 v30, s[4:5], 16, v5
	v_addc_co_u32_e64 v29, s[4:5], 0, v10, s[4:5]
	v_add_co_u32_e64 v5, s[4:5], v6, v8
	v_addc_co_u32_e64 v6, s[4:5], 0, v7, s[4:5]
	v_add_co_u32_e64 v5, s[4:5], s12, v5
	v_addc_co_u32_e64 v6, s[4:5], v6, v100, s[4:5]
	v_add_co_u32_e64 v32, s[4:5], 48, v5
	v_addc_co_u32_e64 v31, s[4:5], 0, v6, s[4:5]
	v_mad_u64_u32 v[6:7], s[4:5], v11, s27, v[2:3]
	v_add_co_u32_e64 v5, s[4:5], v6, v9
	v_addc_co_u32_e64 v10, s[4:5], 0, v7, s[4:5]
	v_add_co_u32_e64 v5, s[4:5], s12, v5
	v_addc_co_u32_e64 v10, s[4:5], v10, v100, s[4:5]
	;; [unrolled: 13-line block ×14, first 2 shown]
	v_add_co_u32_e64 v82, s[4:5], 16, v5
	v_addc_co_u32_e64 v81, s[4:5], 0, v10, s[4:5]
	v_add_co_u32_e64 v5, s[4:5], v6, v8
	v_addc_co_u32_e64 v6, s[4:5], 0, v7, s[4:5]
	;; [unrolled: 2-line block ×4, first 2 shown]
	s_mul_i32 s4, s25, 0x78
	v_mov_b32_e32 v5, s4
	v_lshlrev_b32_e32 v142, 4, v4
	v_mad_i32_i24 v4, s25, v4, v5
	v_mad_u64_u32 v[2:3], s[4:5], v4, s27, v[2:3]
	v_add_co_u32_e64 v4, s[4:5], v2, v9
	v_addc_co_u32_e64 v5, s[4:5], 0, v3, s[4:5]
	v_add_co_u32_e64 v4, s[4:5], s12, v4
	v_addc_co_u32_e64 v5, s[4:5], v5, v100, s[4:5]
	;; [unrolled: 2-line block ×4, first 2 shown]
	v_add_co_u32_e64 v2, s[4:5], s12, v2
	s_ashr_i32 s26, s18, 31
	v_addc_co_u32_e64 v3, s[4:5], v3, v100, s[4:5]
	s_add_u32 s6, s14, 0x90
	v_add_co_u32_e64 v88, s[4:5], 48, v2
	s_addc_u32 s7, s15, 0
	v_addc_co_u32_e64 v89, s[4:5], 0, v3, s[4:5]
	s_add_u32 s4, s12, s22
	s_addc_u32 s5, s13, s23
	v_pk_mov_b32 v[2:3], s[4:5], s[4:5] op_sel:[0,1]
	v_mad_u64_u32 v[92:93], s[4:5], v85, s27, v[2:3]
	v_mad_u64_u32 v[2:3], s[4:5], v91, s27, 0
	v_mov_b32_e32 v4, 0xb0
	v_mad_i64_i32 v[2:3], s[4:5], s21, v4, v[2:3]
	v_lshlrev_b32_e32 v5, 2, v90
	v_add_co_u32_e64 v6, s[4:5], v2, v5
	v_addc_co_u32_e64 v7, s[4:5], 0, v3, s[4:5]
	v_add_co_u32_e64 v6, s[4:5], s12, v6
	v_addc_co_u32_e64 v7, s[4:5], v7, v100, s[4:5]
	v_add_co_u32_e64 v94, s[4:5], 4, v6
	v_cndmask_b32_e64 v6, 0, 1, vcc
	v_lshlrev_b32_e32 v6, 2, v6
	v_or_b32_e32 v2, v2, v6
	v_add_co_u32_e32 v2, vcc, s12, v2
	v_addc_co_u32_e32 v3, vcc, v3, v100, vcc
	v_add_co_u32_e32 v96, vcc, 4, v2
	v_addc_co_u32_e64 v95, s[4:5], 0, v7, s[4:5]
	v_addc_co_u32_e32 v97, vcc, 0, v3, vcc
	v_mad_u64_u32 v[2:3], s[4:5], v98, s27, 0
	v_mad_i64_i32 v[2:3], s[4:5], s21, v4, v[2:3]
	v_add_co_u32_e32 v4, vcc, v2, v5
	v_addc_co_u32_e32 v5, vcc, 0, v3, vcc
	v_add_co_u32_e32 v4, vcc, s12, v4
	v_addc_co_u32_e32 v5, vcc, v5, v100, vcc
	;; [unrolled: 2-line block ×3, first 2 shown]
	v_or_b32_e32 v2, v2, v6
	v_add_co_u32_e32 v2, vcc, s12, v2
	v_addc_co_u32_e32 v3, vcc, v3, v100, vcc
	v_mul_lo_u32 v24, v1, s9
	v_add_co_u32_e32 v100, vcc, 4, v2
	s_mov_b32 s21, s20
	v_mov_b32_e32 v112, 0
	v_or_b32_e32 v116, 1, v115
	v_add_u32_e32 v118, 0x820, v117
	v_add_u32_e32 v119, 0x1040, v117
	;; [unrolled: 1-line block ×15, first 2 shown]
	v_cmp_gt_u32_e64 s[0:1], 4, v114
	v_mul_u32_u24_e32 v144, 0x104, v114
	v_cmp_gt_i32_e64 s[2:3], s8, v1
	v_ashrrev_i32_e32 v1, 31, v24
	v_addc_co_u32_e32 v101, vcc, 0, v3, vcc
	s_movk_i32 s12, 0x80
	v_pk_mov_b32 v[90:91], s[20:21], s[20:21] op_sel:[0,1]
	s_mov_b32 s13, 0x10101010
	s_mov_b32 s20, 0x30303030
	v_mov_b32_e32 v85, 0
	s_branch .LBB193_6
.LBB193_4:                              ;   in Loop: Header=BB193_6 Depth=1
	s_or_b64 exec, exec, s[4:5]
	s_waitcnt lgkmcnt(0)
	s_barrier
	ds_read_b128 v[18:21], v141
	ds_read_b128 v[14:17], v141 offset:16
	ds_read_b128 v[2:5], v142 offset:36944
	ds_read2_b32 v[102:103], v144 offset0:32 offset1:33
	ds_read_b128 v[10:13], v141 offset:32
	ds_read_b128 v[6:9], v141 offset:48
	ds_read_b32 v153, v145
	ds_read2_b32 v[104:105], v144 offset0:34 offset1:35
	v_mov_b32_e32 v161, 0
	s_waitcnt lgkmcnt(4)
	v_dot4c_i32_i8_e32 v161, v102, v18
	v_dot4c_i32_i8_e32 v161, v103, v19
	ds_read2_b32 v[106:107], v144 offset0:36 offset1:37
	ds_read2_b32 v[108:109], v144 offset0:38 offset1:39
	;; [unrolled: 1-line block ×3, first 2 shown]
	s_waitcnt lgkmcnt(3)
	v_dot4c_i32_i8_e32 v161, v104, v20
	v_dot4c_i32_i8_e32 v161, v105, v21
	ds_read2_b32 v[104:105], v144 offset0:42 offset1:43
	v_mov_b32_e32 v172, 0
	s_waitcnt lgkmcnt(3)
	v_dot4c_i32_i8_e32 v161, v106, v14
	s_waitcnt lgkmcnt(1)
	v_dot4c_i32_i8_e32 v172, v110, v10
	v_dot4c_i32_i8_e32 v161, v107, v15
	;; [unrolled: 1-line block ×4, first 2 shown]
	s_waitcnt lgkmcnt(0)
	v_dot4c_i32_i8_e32 v172, v104, v12
	v_add_u32_e32 v104, 0x2100, v144
	ds_read2_b32 v[102:103], v143 offset0:1 offset1:3
	v_dot4c_i32_i8_e32 v161, v109, v17
	ds_read2_b32 v[106:107], v144 offset0:44 offset1:45
	ds_read2_b32 v[108:109], v144 offset0:46 offset1:47
	;; [unrolled: 1-line block ×3, first 2 shown]
	v_dot4c_i32_i8_e32 v172, v105, v13
	ds_read2_b32 v[154:155], v144 offset0:58 offset1:59
	ds_read2_b32 v[156:157], v144 offset0:60 offset1:61
	;; [unrolled: 1-line block ×3, first 2 shown]
	ds_read2_b32 v[104:105], v104 offset1:1
	v_mov_b32_e32 v168, 0
	v_cvt_f32_f16_e32 v160, v153
	v_cvt_f32_f16_sdwa v162, v153 dst_sel:DWORD dst_unused:UNUSED_PAD src0_sel:WORD_1
	ds_read_b32 v173, v148 offset:128
	ds_read_b32 v174, v150 offset:256
	;; [unrolled: 1-line block ×3, first 2 shown]
	s_waitcnt lgkmcnt(3)
	v_dot4c_i32_i8_e32 v168, v104, v18
	v_add_u32_e32 v104, 0x2108, v144
	v_dot4c_i32_i8_e32 v168, v105, v19
	ds_read2_b32 v[104:105], v104 offset1:1
	v_dot4c_i32_i8_e32 v172, v106, v6
	v_dot4c_i32_i8_e32 v172, v107, v7
	;; [unrolled: 1-line block ×3, first 2 shown]
	v_add_u32_e32 v106, 0x2110, v144
	v_dot4c_i32_i8_e32 v172, v109, v9
	v_add_u32_e32 v108, 0x2118, v144
	v_add_u32_e32 v109, 0x2120, v144
	ds_read2_b32 v[106:107], v106 offset1:1
	ds_read2_b32 v[164:165], v108 offset1:1
	;; [unrolled: 1-line block ×3, first 2 shown]
	s_waitcnt lgkmcnt(3)
	v_dot4c_i32_i8_e32 v168, v104, v20
	ds_read2_b32 v[108:109], v147 offset0:1 offset1:3
	v_dot4c_i32_i8_e32 v168, v105, v21
	s_waitcnt lgkmcnt(3)
	v_dot4c_i32_i8_e32 v168, v106, v14
	v_dot4c_i32_i8_e32 v168, v107, v15
	s_waitcnt lgkmcnt(2)
	v_dot4c_i32_i8_e32 v168, v164, v16
	v_dot4c_i32_i8_e32 v168, v165, v17
	s_waitcnt lgkmcnt(0)
	v_and_b32_e32 v104, 0xff, v108
	v_add_u32_e32 v106, 0x2130, v144
	v_add_u32_e32 v164, 0x2138, v144
	v_mul_lo_u32 v104, v168, v104
	v_cvt_f32_i32_e32 v176, v104
	v_add_u32_e32 v104, 0x2128, v144
	ds_read2_b32 v[104:105], v104 offset1:1
	v_mov_b32_e32 v168, 0
	v_dot4c_i32_i8_e32 v168, v166, v10
	v_add_u32_e32 v166, 0x4180, v144
	v_dot4c_i32_i8_e32 v168, v167, v11
	ds_read2_b32 v[106:107], v106 offset1:1
	ds_read2_b32 v[164:165], v164 offset1:1
	;; [unrolled: 1-line block ×3, first 2 shown]
	s_waitcnt lgkmcnt(3)
	v_dot4c_i32_i8_e32 v168, v104, v12
	v_dot4c_i32_i8_e32 v168, v105, v13
	s_waitcnt lgkmcnt(2)
	v_dot4c_i32_i8_e32 v168, v106, v6
	v_dot4c_i32_i8_e32 v168, v107, v7
	;; [unrolled: 3-line block ×3, first 2 shown]
	v_bfe_u32 v104, v108, 8, 8
	v_mov_b32_e32 v170, 0
	s_waitcnt lgkmcnt(0)
	v_dot4c_i32_i8_e32 v170, v166, v18
	v_mul_lo_u32 v104, v168, v104
	v_cvt_f32_i32_e32 v178, v104
	v_add_u32_e32 v104, 0x4188, v144
	ds_read2_b32 v[104:105], v104 offset1:1
	v_add_u32_e32 v106, 0x4190, v144
	v_add_u32_e32 v168, 0x41a0, v144
	v_dot4c_i32_i8_e32 v170, v167, v19
	v_add_u32_e32 v107, 0x4198, v144
	ds_read2_b32 v[164:165], v106 offset1:1
	ds_read2_b32 v[166:167], v107 offset1:1
	;; [unrolled: 1-line block ×3, first 2 shown]
	s_waitcnt lgkmcnt(3)
	v_dot4c_i32_i8_e32 v170, v104, v20
	ds_read2_b32 v[106:107], v149 offset0:1 offset1:3
	v_dot4c_i32_i8_e32 v170, v105, v21
	s_waitcnt lgkmcnt(3)
	v_dot4c_i32_i8_e32 v170, v164, v14
	v_dot4c_i32_i8_e32 v170, v165, v15
	s_waitcnt lgkmcnt(2)
	v_dot4c_i32_i8_e32 v170, v166, v16
	v_dot4c_i32_i8_e32 v170, v167, v17
	s_waitcnt lgkmcnt(0)
	v_and_b32_e32 v104, 0xff, v106
	v_add_u32_e32 v164, 0x41b0, v144
	v_add_u32_e32 v166, 0x41b8, v144
	v_mul_lo_u32 v104, v170, v104
	v_cvt_f32_i32_e32 v181, v104
	v_add_u32_e32 v104, 0x41a8, v144
	ds_read2_b32 v[104:105], v104 offset1:1
	v_mov_b32_e32 v170, 0
	v_dot4c_i32_i8_e32 v170, v168, v10
	v_add_u32_e32 v168, 0x6200, v144
	v_dot4c_i32_i8_e32 v170, v169, v11
	ds_read2_b32 v[164:165], v164 offset1:1
	ds_read2_b32 v[166:167], v166 offset1:1
	;; [unrolled: 1-line block ×3, first 2 shown]
	s_waitcnt lgkmcnt(3)
	v_dot4c_i32_i8_e32 v170, v104, v12
	v_dot4c_i32_i8_e32 v170, v105, v13
	s_waitcnt lgkmcnt(2)
	v_dot4c_i32_i8_e32 v170, v164, v6
	v_dot4c_i32_i8_e32 v170, v165, v7
	;; [unrolled: 3-line block ×3, first 2 shown]
	v_bfe_u32 v104, v106, 8, 8
	v_add_u32_e32 v105, 0x6218, v144
	v_mov_b32_e32 v190, 0
	v_mul_lo_u32 v104, v170, v104
	v_mov_b32_e32 v170, 0
	s_waitcnt lgkmcnt(0)
	v_dot4c_i32_i8_e32 v170, v168, v18
	v_add_u32_e32 v18, 0x6208, v144
	v_dot4c_i32_i8_e32 v170, v169, v19
	ds_read2_b32 v[18:19], v18 offset1:1
	v_cvt_f32_i32_e32 v183, v104
	v_add_u32_e32 v104, 0x6210, v144
	v_add_u32_e32 v168, 0x6220, v144
	ds_read2_b32 v[164:165], v104 offset1:1
	ds_read2_b32 v[166:167], v105 offset1:1
	;; [unrolled: 1-line block ×3, first 2 shown]
	s_waitcnt lgkmcnt(3)
	v_dot4c_i32_i8_e32 v170, v18, v20
	ds_read2_b32 v[104:105], v151 offset0:1 offset1:3
	v_dot4c_i32_i8_e32 v170, v19, v21
	s_waitcnt lgkmcnt(3)
	v_dot4c_i32_i8_e32 v170, v164, v14
	v_mov_b32_e32 v18, 0
	v_dot4c_i32_i8_e32 v170, v165, v15
	s_waitcnt lgkmcnt(1)
	v_dot4c_i32_i8_e32 v18, v168, v10
	v_add_u32_e32 v10, 0x6228, v144
	v_dot4c_i32_i8_e32 v170, v166, v16
	v_dot4c_i32_i8_e32 v18, v169, v11
	ds_read2_b32 v[10:11], v10 offset1:1
	v_dot4c_i32_i8_e32 v170, v167, v17
	s_waitcnt lgkmcnt(1)
	v_and_b32_e32 v14, 0xff, v104
	v_add_u32_e32 v16, 0x6238, v144
	v_add_u32_e32 v19, 0x2140, v144
	v_mul_lo_u32 v14, v170, v14
	v_cvt_f32_i32_e32 v186, v14
	v_add_u32_e32 v14, 0x6230, v144
	ds_read2_b32 v[14:15], v14 offset1:1
	ds_read2_b32 v[16:17], v16 offset1:1
	;; [unrolled: 1-line block ×3, first 2 shown]
	s_waitcnt lgkmcnt(3)
	v_dot4c_i32_i8_e32 v18, v10, v12
	v_dot4c_i32_i8_e32 v18, v11, v13
	s_waitcnt lgkmcnt(2)
	v_dot4c_i32_i8_e32 v18, v14, v6
	v_dot4c_i32_i8_e32 v18, v15, v7
	;; [unrolled: 3-line block ×3, first 2 shown]
	v_bfe_u32 v6, v104, 8, 8
	v_lshrrev_b32_e32 v163, 24, v102
	v_cvt_f32_ubyte0_e32 v177, v109
	v_mul_lo_u32 v6, v18, v6
	v_cvt_f32_i32_e32 v188, v6
	ds_read_b128 v[18:21], v141 offset:64
	ds_read_b128 v[14:17], v141 offset:80
	;; [unrolled: 1-line block ×4, first 2 shown]
	ds_read2_b32 v[166:167], v144 offset0:50 offset1:51
	s_waitcnt lgkmcnt(4)
	v_dot4c_i32_i8_e32 v190, v110, v18
	v_dot4c_i32_i8_e32 v190, v111, v19
	ds_read2_b32 v[110:111], v144 offset0:52 offset1:53
	ds_read2_b32 v[168:169], v144 offset0:54 offset1:55
	;; [unrolled: 1-line block ×3, first 2 shown]
	v_cvt_f32_ubyte0_e32 v182, v107
	s_waitcnt lgkmcnt(3)
	v_dot4c_i32_i8_e32 v190, v166, v20
	v_mov_b32_e32 v166, 0
	v_dot4c_i32_i8_e32 v190, v167, v21
	s_waitcnt lgkmcnt(0)
	v_dot4c_i32_i8_e32 v166, v170, v10
	v_dot4c_i32_i8_e32 v166, v171, v11
	v_dot4c_i32_i8_e32 v190, v110, v14
	v_dot4c_i32_i8_e32 v166, v154, v12
	v_dot4c_i32_i8_e32 v190, v111, v15
	v_dot4c_i32_i8_e32 v166, v155, v13
	v_dot4c_i32_i8_e32 v190, v168, v16
	v_dot4c_i32_i8_e32 v166, v156, v6
	v_dot4c_i32_i8_e32 v190, v169, v17
	v_dot4c_i32_i8_e32 v166, v157, v7
	v_cvt_f32_f16_e32 v155, v4
	v_cvt_f32_f16_sdwa v111, v4 dst_sel:DWORD dst_unused:UNUSED_PAD src0_sel:WORD_1
	v_and_b32_e32 v4, 0xff, v102
	v_bfe_u32 v156, v102, 16, 8
	v_dot4c_i32_i8_e32 v166, v158, v8
	v_mul_lo_u32 v4, v161, v4
	v_mul_lo_u32 v156, v190, v156
	v_dot4c_i32_i8_e32 v166, v159, v9
	v_cvt_f32_f16_e32 v154, v2
	v_cvt_f32_i32_e32 v159, v156
	v_cvt_f32_i32_e32 v158, v4
	v_bfe_u32 v102, v102, 8, 8
	v_mul_lo_u32 v102, v172, v102
	v_cvt_f32_f16_sdwa v110, v2 dst_sel:DWORD dst_unused:UNUSED_PAD src0_sel:WORD_1
	v_pk_fma_f32 v[158:159], v[154:155], v[158:159], 0 op_sel_hi:[1,1,0]
	v_mul_lo_u32 v154, v166, v163
	v_cvt_f32_f16_e32 v157, v5
	v_cvt_f32_f16_e32 v156, v3
	v_cvt_f32_i32_e32 v167, v154
	v_cvt_f32_i32_e32 v166, v102
	v_cvt_f32_f16_sdwa v5, v5 dst_sel:DWORD dst_unused:UNUSED_PAD src0_sel:WORD_1
	v_cvt_f32_f16_sdwa v4, v3 dst_sel:DWORD dst_unused:UNUSED_PAD src0_sel:WORD_1
	v_cvt_f32_ubyte2_e32 v169, v103
	v_cvt_f32_ubyte0_e32 v168, v103
	v_cvt_f32_ubyte0_e32 v187, v105
	v_pk_fma_f32 v[168:169], v[110:111], v[168:169], 0 op_sel_hi:[1,1,0]
	v_pk_fma_f32 v[158:159], v[156:157], v[166:167], v[158:159]
	v_cvt_f32_ubyte3_e32 v167, v103
	v_cvt_f32_ubyte1_e32 v166, v103
	v_fma_mix_f32 v154, v2, v181, 0 op_sel_hi:[1,0,0]
	v_cvt_f32_ubyte1_e32 v189, v105
	v_pk_fma_f32 v[102:103], v[4:5], v[166:167], v[168:169]
	v_fma_mix_f32 v4, v2, v176, 0 op_sel_hi:[1,0,0]
	v_fma_mix_f32 v110, v2, v177, 0 op_sel:[1,0,0] op_sel_hi:[1,0,0]
	v_fma_mix_f32 v156, v2, v182, 0 op_sel:[1,0,0] op_sel_hi:[1,0,0]
	v_fma_mix_f32 v166, v3, v183, v154 op_sel_hi:[1,0,0]
	v_fma_mix_f32 v154, v2, v186, 0 op_sel_hi:[1,0,0]
	v_fma_mix_f32 v2, v2, v187, 0 op_sel:[1,0,0] op_sel_hi:[1,0,0]
	v_cvt_f32_ubyte1_e32 v179, v109
	v_cvt_f32_ubyte1_e32 v184, v107
	v_fma_mix_f32 v169, v3, v189, v2 op_sel:[1,0,0] op_sel_hi:[1,0,0]
	v_add_u32_e32 v2, 0x2148, v144
	v_fma_mix_f32 v4, v3, v178, v4 op_sel_hi:[1,0,0]
	v_fma_mix_f32 v110, v3, v179, v110 op_sel:[1,0,0] op_sel_hi:[1,0,0]
	v_fma_mix_f32 v167, v3, v184, v156 op_sel:[1,0,0] op_sel_hi:[1,0,0]
	v_fma_mix_f32 v168, v3, v188, v154 op_sel_hi:[1,0,0]
	ds_read2_b32 v[2:3], v2 offset1:1
	v_pk_mul_f32 v[102:103], v[102:103], v[162:163] op_sel_hi:[1,0]
	v_mov_b32_e32 v154, 0
	v_pk_fma_f32 v[102:103], v[158:159], v[160:161], v[102:103] op_sel_hi:[1,0,1] neg_lo:[0,0,1] neg_hi:[0,0,1]
	v_dot4c_i32_i8_e32 v154, v164, v18
	v_add_u32_e32 v156, 0x2150, v144
	v_add_u32_e32 v160, 0x2158, v144
	;; [unrolled: 1-line block ×3, first 2 shown]
	v_dot4c_i32_i8_e32 v154, v165, v19
	ds_read2_b32 v[158:159], v156 offset1:1
	ds_read2_b32 v[160:161], v160 offset1:1
	;; [unrolled: 1-line block ×3, first 2 shown]
	s_waitcnt lgkmcnt(3)
	v_dot4c_i32_i8_e32 v154, v2, v20
	v_dot4c_i32_i8_e32 v154, v3, v21
	s_waitcnt lgkmcnt(2)
	v_dot4c_i32_i8_e32 v154, v158, v14
	v_dot4c_i32_i8_e32 v154, v159, v15
	;; [unrolled: 3-line block ×3, first 2 shown]
	v_bfe_u32 v2, v108, 16, 8
	v_lshrrev_b32_e32 v175, 24, v108
	v_mov_b32_e32 v108, 0
	v_mul_lo_u32 v2, v154, v2
	v_add_u32_e32 v154, 0x2168, v144
	ds_read2_b32 v[158:159], v154 offset1:1
	s_waitcnt lgkmcnt(1)
	v_dot4c_i32_i8_e32 v108, v162, v10
	v_add_u32_e32 v156, 0x2170, v144
	v_add_u32_e32 v162, 0x2178, v144
	v_dot4c_i32_i8_e32 v108, v163, v11
	v_add_u32_e32 v154, 0x41c0, v144
	ds_read2_b32 v[160:161], v156 offset1:1
	ds_read2_b32 v[162:163], v162 offset1:1
	;; [unrolled: 1-line block ×3, first 2 shown]
	s_waitcnt lgkmcnt(3)
	v_dot4c_i32_i8_e32 v108, v158, v12
	v_dot4c_i32_i8_e32 v108, v159, v13
	s_waitcnt lgkmcnt(2)
	v_dot4c_i32_i8_e32 v108, v160, v6
	v_dot4c_i32_i8_e32 v108, v161, v7
	s_waitcnt lgkmcnt(1)
	v_dot4c_i32_i8_e32 v108, v162, v8
	v_cvt_f32_f16_sdwa v159, v173 dst_sel:DWORD dst_unused:UNUSED_PAD src0_sel:WORD_1
	v_dot4c_i32_i8_e32 v108, v163, v9
	v_cvt_f32_i32_e32 v2, v2
	v_cvt_f32_f16_e32 v158, v173
	v_mul_f32_e32 v110, v110, v159
	v_mul_lo_u32 v108, v108, v175
	v_cvt_f32_i32_e32 v108, v108
	v_cvt_f32_ubyte2_e32 v3, v109
	v_fma_mix_f32 v161, v4, v173, -v110 op_sel_hi:[0,1,0]
	v_mov_b32_e32 v110, v155
	v_cvt_f32_ubyte3_e32 v109, v109
	v_pk_fma_f32 v[2:3], v[110:111], v[2:3], 0 op_sel_hi:[1,1,0]
	v_mov_b32_e32 v4, v157
	v_pk_fma_f32 v[2:3], v[4:5], v[108:109], v[2:3]
	v_pk_mul_f32 v[108:109], v[2:3], v[158:159]
	v_mov_b32_e32 v109, v108
	v_mov_b32_e32 v160, v102
	v_pk_fma_f32 v[2:3], v[2:3], v[158:159], v[108:109] neg_lo:[1,0,0] neg_hi:[1,0,0]
	v_pk_add_f32 v[90:91], v[90:91], v[160:161]
	v_mov_b32_e32 v2, v103
	v_pk_add_f32 v[90:91], v[90:91], v[2:3]
	v_add_u32_e32 v2, 0x41c8, v144
	ds_read2_b32 v[2:3], v2 offset1:1
	v_mov_b32_e32 v156, 0
	s_waitcnt lgkmcnt(1)
	v_dot4c_i32_i8_e32 v156, v164, v18
	v_add_u32_e32 v102, 0x41d0, v144
	v_add_u32_e32 v108, 0x41d8, v144
	;; [unrolled: 1-line block ×3, first 2 shown]
	v_dot4c_i32_i8_e32 v156, v165, v19
	ds_read2_b32 v[102:103], v102 offset1:1
	ds_read2_b32 v[108:109], v108 offset1:1
	;; [unrolled: 1-line block ×3, first 2 shown]
	s_waitcnt lgkmcnt(3)
	v_dot4c_i32_i8_e32 v156, v2, v20
	v_dot4c_i32_i8_e32 v156, v3, v21
	s_waitcnt lgkmcnt(2)
	v_dot4c_i32_i8_e32 v156, v102, v14
	v_add_u32_e32 v102, 0x41e8, v144
	v_dot4c_i32_i8_e32 v156, v103, v15
	ds_read2_b32 v[102:103], v102 offset1:1
	s_waitcnt lgkmcnt(2)
	v_dot4c_i32_i8_e32 v156, v108, v16
	v_lshrrev_b32_e32 v180, 24, v106
	v_dot4c_i32_i8_e32 v156, v109, v17
	v_bfe_u32 v2, v106, 16, 8
	v_mov_b32_e32 v106, 0
	s_waitcnt lgkmcnt(1)
	v_dot4c_i32_i8_e32 v106, v154, v10
	v_mul_lo_u32 v2, v156, v2
	v_add_u32_e32 v108, 0x41f0, v144
	v_add_u32_e32 v154, 0x41f8, v144
	v_add_u32_e32 v156, 0x6240, v144
	v_dot4c_i32_i8_e32 v106, v155, v11
	ds_read2_b32 v[108:109], v108 offset1:1
	ds_read2_b32 v[154:155], v154 offset1:1
	;; [unrolled: 1-line block ×3, first 2 shown]
	s_waitcnt lgkmcnt(3)
	v_dot4c_i32_i8_e32 v106, v102, v12
	v_dot4c_i32_i8_e32 v106, v103, v13
	s_waitcnt lgkmcnt(2)
	v_dot4c_i32_i8_e32 v106, v108, v6
	v_dot4c_i32_i8_e32 v106, v109, v7
	;; [unrolled: 3-line block ×3, first 2 shown]
	v_cvt_f32_i32_e32 v2, v2
	v_cvt_f32_f16_sdwa v103, v174 dst_sel:DWORD dst_unused:UNUSED_PAD src0_sel:WORD_1
	v_cvt_f32_ubyte2_e32 v3, v107
	v_mul_lo_u32 v102, v106, v180
	v_cvt_f32_i32_e32 v106, v102
	v_cvt_f32_f16_e32 v102, v174
	v_cvt_f32_ubyte3_e32 v107, v107
	v_pk_fma_f32 v[2:3], v[110:111], v[2:3], 0 op_sel_hi:[1,1,0]
	v_mul_f32_e32 v108, v167, v103
	v_pk_fma_f32 v[2:3], v[4:5], v[106:107], v[2:3]
	v_fma_mix_f32 v108, v166, v174, -v108 op_sel_hi:[0,1,0]
	v_pk_mul_f32 v[2:3], v[2:3], v[102:103]
	v_add_f32_e32 v108, v112, v108
	v_sub_f32_e32 v2, v2, v3
	v_add_f32_e32 v112, v108, v2
	v_add_u32_e32 v2, 0x6248, v144
	ds_read2_b32 v[2:3], v2 offset1:1
	v_mov_b32_e32 v108, 0
	s_waitcnt lgkmcnt(1)
	v_dot4c_i32_i8_e32 v108, v156, v18
	v_add_u32_e32 v18, 0x6250, v144
	v_add_u32_e32 v102, 0x6258, v144
	;; [unrolled: 1-line block ×3, first 2 shown]
	v_dot4c_i32_i8_e32 v108, v157, v19
	ds_read2_b32 v[18:19], v18 offset1:1
	ds_read2_b32 v[102:103], v102 offset1:1
	;; [unrolled: 1-line block ×3, first 2 shown]
	s_waitcnt lgkmcnt(3)
	v_dot4c_i32_i8_e32 v108, v2, v20
	v_dot4c_i32_i8_e32 v108, v3, v21
	s_waitcnt lgkmcnt(2)
	v_dot4c_i32_i8_e32 v108, v18, v14
	v_mov_b32_e32 v18, 0
	s_waitcnt lgkmcnt(0)
	v_dot4c_i32_i8_e32 v18, v106, v10
	v_add_u32_e32 v10, 0x6268, v144
	v_dot4c_i32_i8_e32 v18, v107, v11
	ds_read2_b32 v[10:11], v10 offset1:1
	v_add_u32_e32 v14, 0x6270, v144
	v_dot4c_i32_i8_e32 v108, v19, v15
	ds_read2_b32 v[14:15], v14 offset1:1
	v_dot4c_i32_i8_e32 v108, v102, v16
	v_add_u32_e32 v16, 0x6278, v144
	v_dot4c_i32_i8_e32 v108, v103, v17
	ds_read2_b32 v[16:17], v16 offset1:1
	s_waitcnt lgkmcnt(2)
	v_dot4c_i32_i8_e32 v18, v10, v12
	v_dot4c_i32_i8_e32 v18, v11, v13
	s_waitcnt lgkmcnt(1)
	v_dot4c_i32_i8_e32 v18, v14, v6
	v_dot4c_i32_i8_e32 v18, v15, v7
	v_bfe_u32 v2, v104, 16, 8
	s_waitcnt lgkmcnt(0)
	v_dot4c_i32_i8_e32 v18, v16, v8
	v_lshrrev_b32_e32 v185, 24, v104
	v_mul_lo_u32 v2, v108, v2
	v_dot4c_i32_i8_e32 v18, v17, v9
	v_cvt_f32_i32_e32 v2, v2
	v_cvt_f32_f16_sdwa v7, v153 dst_sel:DWORD dst_unused:UNUSED_PAD src0_sel:WORD_1
	v_cvt_f32_ubyte2_e32 v3, v105
	v_mul_lo_u32 v6, v18, v185
	v_cvt_f32_i32_e32 v8, v6
	v_cvt_f32_f16_e32 v6, v153
	v_cvt_f32_ubyte3_e32 v9, v105
	v_pk_fma_f32 v[2:3], v[110:111], v[2:3], 0 op_sel_hi:[1,1,0]
	v_mul_f32_e32 v10, v169, v7
	v_pk_fma_f32 v[2:3], v[4:5], v[8:9], v[2:3]
	v_fma_mix_f32 v10, v168, v153, -v10 op_sel_hi:[0,1,0]
	v_pk_mul_f32 v[2:3], v[2:3], v[6:7]
	v_add_f32_e32 v10, v85, v10
	v_sub_f32_e32 v2, v2, v3
	v_add_f32_e32 v85, v10, v2
	s_barrier
.LBB193_5:                              ;   in Loop: Header=BB193_6 Depth=1
	v_add_co_u32_e32 v26, vcc, 0xb0, v26
	v_addc_co_u32_e32 v25, vcc, 0, v25, vcc
	v_add_co_u32_e32 v28, vcc, 0xb0, v28
	v_addc_co_u32_e32 v27, vcc, 0, v27, vcc
	;; [unrolled: 2-line block ×36, first 2 shown]
	s_add_i32 s25, s25, -1
	s_addk_i32 s12, 0x100
	v_add_co_u32_e32 v100, vcc, 0xb0, v100
	v_add_u32_e32 v114, 8, v114
	v_add_u32_e32 v146, 8, v146
	;; [unrolled: 1-line block ×3, first 2 shown]
	s_cmp_eq_u32 s25, 0
	v_addc_co_u32_e32 v101, vcc, 0, v101, vcc
	s_cbranch_scc1 .LBB193_19
.LBB193_6:                              ; =>This Inner Loop Header: Depth=1
	v_mov_b32_e32 v6, s26
	v_add_co_u32_e32 v2, vcc, s18, v28
	v_addc_co_u32_e32 v3, vcc, v27, v6, vcc
	global_load_dword v7, v[2:3], off
	v_add_co_u32_e32 v2, vcc, s18, v26
	v_addc_co_u32_e32 v3, vcc, v25, v6, vcc
	global_load_dword v8, v[2:3], off
	v_add_co_u32_e32 v2, vcc, s18, v32
	v_addc_co_u32_e32 v3, vcc, v31, v6, vcc
	v_add_co_u32_e32 v4, vcc, s18, v30
	v_addc_co_u32_e32 v5, vcc, v29, v6, vcc
	global_load_dword v9, v[2:3], off
	v_add_co_u32_e32 v2, vcc, s18, v36
	v_addc_co_u32_e32 v3, vcc, v35, v6, vcc
	global_load_dword v10, v[4:5], off
	;; [unrolled: 3-line block ×13, first 2 shown]
	s_add_i32 s4, s12, 0xffffff80
	global_load_dword v4, v[4:5], off
	s_cmp_lt_i32 s4, s19
	s_waitcnt vmcnt(15)
	v_lshrrev_b32_e32 v2, 4, v7
	v_and_b32_e32 v103, 0xf0f0f0f, v2
	v_add_co_u32_e32 v2, vcc, s18, v60
	v_addc_co_u32_e32 v3, vcc, v59, v6, vcc
	global_load_dword v5, v[2:3], off
	v_add_co_u32_e32 v2, vcc, s18, v58
	v_addc_co_u32_e32 v3, vcc, v57, v6, vcc
	global_load_dword v2, v[2:3], off
	v_and_b32_e32 v102, 0xf0f0f0f, v7
	s_waitcnt vmcnt(16)
	v_ashrrev_i32_e32 v7, v115, v8
	v_lshlrev_b32_e32 v3, 4, v7
	v_ashrrev_i32_e32 v7, v116, v8
	v_lshlrev_b32_e32 v7, 4, v7
	v_and_or_b32 v3, v3, s13, v102
	v_and_or_b32 v7, v7, s13, v103
	ds_write2_b32 v117, v3, v7 offset1:8
	s_waitcnt vmcnt(15)
	v_and_b32_e32 v3, 0xf0f0f0f, v9
	v_lshrrev_b32_e32 v7, 4, v9
	s_waitcnt vmcnt(14)
	v_ashrrev_i32_e32 v8, v115, v10
	v_ashrrev_i32_e32 v9, v116, v10
	v_and_b32_e32 v7, 0xf0f0f0f, v7
	v_lshlrev_b32_e32 v8, 4, v8
	v_lshlrev_b32_e32 v9, 4, v9
	v_and_or_b32 v3, v8, s13, v3
	v_and_or_b32 v7, v9, s13, v7
	ds_write2_b32 v118, v3, v7 offset1:8
	s_waitcnt vmcnt(13)
	v_lshrrev_b32_e32 v7, 4, v11
	s_waitcnt vmcnt(12)
	v_ashrrev_i32_e32 v8, v115, v12
	v_ashrrev_i32_e32 v9, v116, v12
	v_and_b32_e32 v3, 0xf0f0f0f, v11
	v_and_b32_e32 v7, 0xf0f0f0f, v7
	v_lshlrev_b32_e32 v8, 4, v8
	v_lshlrev_b32_e32 v9, 4, v9
	v_and_or_b32 v3, v8, s13, v3
	v_and_or_b32 v7, v9, s13, v7
	ds_write2_b32 v119, v3, v7 offset1:8
	s_waitcnt vmcnt(11)
	v_lshrrev_b32_e32 v7, 4, v13
	s_waitcnt vmcnt(10)
	v_ashrrev_i32_e32 v8, v115, v14
	v_ashrrev_i32_e32 v9, v116, v14
	v_and_b32_e32 v3, 0xf0f0f0f, v13
	;; [unrolled: 12-line block ×6, first 2 shown]
	v_and_b32_e32 v7, 0xf0f0f0f, v7
	v_lshlrev_b32_e32 v8, 4, v8
	v_lshlrev_b32_e32 v4, 4, v4
	v_and_or_b32 v3, v8, s13, v3
	v_and_or_b32 v4, v4, s13, v7
	ds_write2_b32 v124, v3, v4 offset1:8
	s_waitcnt vmcnt(1)
	v_and_b32_e32 v3, 0xf0f0f0f, v5
	v_lshrrev_b32_e32 v4, 4, v5
	s_waitcnt vmcnt(0)
	v_ashrrev_i32_e32 v5, v115, v2
	v_ashrrev_i32_e32 v2, v116, v2
	v_and_b32_e32 v4, 0xf0f0f0f, v4
	v_lshlrev_b32_e32 v2, 4, v2
	v_lshlrev_b32_e32 v5, 4, v5
	v_and_or_b32 v4, v2, s13, v4
	v_add_co_u32_e32 v2, vcc, s18, v64
	v_and_or_b32 v5, v5, s13, v3
	v_addc_co_u32_e32 v3, vcc, v63, v6, vcc
	global_load_dword v7, v[2:3], off
	v_add_co_u32_e32 v2, vcc, s18, v62
	v_addc_co_u32_e32 v3, vcc, v61, v6, vcc
	global_load_dword v8, v[2:3], off
	v_add_co_u32_e32 v2, vcc, s18, v68
	;; [unrolled: 3-line block ×18, first 2 shown]
	v_addc_co_u32_e32 v3, vcc, v101, v6, vcc
	global_load_dword v2, v[2:3], off
	ds_write2_b32 v125, v5, v4 offset1:8
	s_waitcnt vmcnt(18)
	v_lshrrev_b32_e32 v4, 4, v7
	s_waitcnt vmcnt(17)
	v_ashrrev_i32_e32 v5, v115, v8
	v_ashrrev_i32_e32 v6, v116, v8
	v_and_b32_e32 v3, 0xf0f0f0f, v7
	v_and_b32_e32 v4, 0xf0f0f0f, v4
	v_lshlrev_b32_e32 v5, 4, v5
	v_lshlrev_b32_e32 v6, 4, v6
	v_and_or_b32 v3, v5, s13, v3
	v_and_or_b32 v4, v6, s13, v4
	ds_write2_b32 v126, v3, v4 offset1:8
	s_waitcnt vmcnt(16)
	v_lshrrev_b32_e32 v4, 4, v9
	s_waitcnt vmcnt(15)
	v_ashrrev_i32_e32 v5, v115, v10
	v_ashrrev_i32_e32 v6, v116, v10
	v_and_b32_e32 v3, 0xf0f0f0f, v9
	v_and_b32_e32 v4, 0xf0f0f0f, v4
	v_lshlrev_b32_e32 v5, 4, v5
	v_lshlrev_b32_e32 v6, 4, v6
	v_and_or_b32 v3, v5, s13, v3
	v_and_or_b32 v4, v6, s13, v4
	;; [unrolled: 12-line block ×7, first 2 shown]
	ds_write2_b32 v132, v3, v4 offset1:8
	s_waitcnt vmcnt(4)
	ds_write_b32 v133, v21
	s_waitcnt vmcnt(3)
	v_ashrrev_i32_e32 v3, v134, v102
	v_and_b32_e32 v3, 0xf0f0f0f, v3
	s_waitcnt vmcnt(2)
	v_ashrrev_i32_e32 v4, v135, v103
	v_and_or_b32 v3, v4, s20, v3
	ds_write_b32 v136, v3
	s_waitcnt vmcnt(1)
	v_ashrrev_i32_e32 v3, v134, v104
	v_and_b32_e32 v3, 0xf0f0f0f, v3
	s_waitcnt vmcnt(0)
	v_ashrrev_i32_e32 v2, v135, v2
	v_and_or_b32 v2, v2, s20, v3
	ds_write_b32 v137, v2
	s_cbranch_scc0 .LBB193_5
; %bb.7:                                ;   in Loop: Header=BB193_6 Depth=1
	v_cmp_gt_i32_e32 vcc, s9, v140
	s_and_b64 s[22:23], s[2:3], vcc
	s_and_saveexec_b64 s[4:5], s[22:23]
	s_cbranch_execz .LBB193_9
; %bb.8:                                ;   in Loop: Header=BB193_6 Depth=1
	v_add_u32_e32 v2, v24, v140
	v_mad_i64_i32 v[2:3], s[22:23], v2, 36, v[22:23]
	global_load_dword v2, v[2:3], off offset:4
	s_waitcnt vmcnt(0)
	ds_write_b32 v138, v2
.LBB193_9:                              ;   in Loop: Header=BB193_6 Depth=1
	s_or_b64 exec, exec, s[4:5]
	s_and_saveexec_b64 s[4:5], s[0:1]
	s_cbranch_execz .LBB193_12
; %bb.10:                               ;   in Loop: Header=BB193_6 Depth=1
	v_cmp_gt_i32_e32 vcc, s9, v114
	s_and_b64 s[22:23], s[2:3], vcc
	s_and_b64 exec, exec, s[22:23]
	s_cbranch_execz .LBB193_12
; %bb.11:                               ;   in Loop: Header=BB193_6 Depth=1
	v_add_u32_e32 v2, v24, v114
	v_mad_i64_i32 v[2:3], s[22:23], v2, 36, s[14:15]
	global_load_dword v2, v[2:3], off
	s_waitcnt vmcnt(0)
	ds_write_b32 v139, v2
.LBB193_12:                             ;   in Loop: Header=BB193_6 Depth=1
	s_or_b64 exec, exec, s[4:5]
	s_waitcnt lgkmcnt(0)
	s_barrier
	ds_read_b128 v[18:21], v141
	ds_read_b128 v[14:17], v141 offset:16
	ds_read_b128 v[2:5], v142 offset:36944
	ds_read2_b32 v[102:103], v144 offset1:1
	ds_read_b128 v[10:13], v141 offset:32
	ds_read_b128 v[6:9], v141 offset:48
	ds_read_b32 v153, v145
	ds_read2_b32 v[104:105], v144 offset0:2 offset1:3
	v_mov_b32_e32 v161, 0
	s_waitcnt lgkmcnt(4)
	v_dot4c_i32_i8_e32 v161, v102, v18
	v_dot4c_i32_i8_e32 v161, v103, v19
	ds_read2_b32 v[106:107], v144 offset0:4 offset1:5
	ds_read2_b32 v[108:109], v144 offset0:6 offset1:7
	;; [unrolled: 1-line block ×3, first 2 shown]
	s_waitcnt lgkmcnt(3)
	v_dot4c_i32_i8_e32 v161, v104, v20
	v_dot4c_i32_i8_e32 v161, v105, v21
	ds_read2_b32 v[104:105], v144 offset0:10 offset1:11
	v_mov_b32_e32 v172, 0
	s_waitcnt lgkmcnt(3)
	v_dot4c_i32_i8_e32 v161, v106, v14
	s_waitcnt lgkmcnt(1)
	v_dot4c_i32_i8_e32 v172, v110, v10
	v_dot4c_i32_i8_e32 v161, v107, v15
	;; [unrolled: 1-line block ×4, first 2 shown]
	s_waitcnt lgkmcnt(0)
	v_dot4c_i32_i8_e32 v172, v104, v12
	v_add_u32_e32 v104, 0x2080, v144
	ds_read2_b32 v[102:103], v143 offset1:2
	v_dot4c_i32_i8_e32 v161, v109, v17
	ds_read2_b32 v[106:107], v144 offset0:12 offset1:13
	ds_read2_b32 v[108:109], v144 offset0:14 offset1:15
	;; [unrolled: 1-line block ×3, first 2 shown]
	v_dot4c_i32_i8_e32 v172, v105, v13
	ds_read2_b32 v[154:155], v144 offset0:26 offset1:27
	ds_read2_b32 v[156:157], v144 offset0:28 offset1:29
	ds_read2_b32 v[158:159], v144 offset0:30 offset1:31
	ds_read2_b32 v[104:105], v104 offset1:1
	v_mov_b32_e32 v168, 0
	v_cvt_f32_f16_e32 v160, v153
	v_cvt_f32_f16_sdwa v162, v153 dst_sel:DWORD dst_unused:UNUSED_PAD src0_sel:WORD_1
	ds_read_b32 v173, v148 offset:128
	ds_read_b32 v174, v150 offset:256
	;; [unrolled: 1-line block ×3, first 2 shown]
	s_waitcnt lgkmcnt(3)
	v_dot4c_i32_i8_e32 v168, v104, v18
	v_add_u32_e32 v104, 0x2088, v144
	v_dot4c_i32_i8_e32 v168, v105, v19
	ds_read2_b32 v[104:105], v104 offset1:1
	v_dot4c_i32_i8_e32 v172, v106, v6
	v_dot4c_i32_i8_e32 v172, v107, v7
	;; [unrolled: 1-line block ×3, first 2 shown]
	v_add_u32_e32 v106, 0x2090, v144
	v_dot4c_i32_i8_e32 v172, v109, v9
	v_add_u32_e32 v108, 0x2098, v144
	v_add_u32_e32 v109, 0x20a0, v144
	ds_read2_b32 v[106:107], v106 offset1:1
	ds_read2_b32 v[164:165], v108 offset1:1
	;; [unrolled: 1-line block ×3, first 2 shown]
	s_waitcnt lgkmcnt(3)
	v_dot4c_i32_i8_e32 v168, v104, v20
	ds_read2_b32 v[108:109], v147 offset1:2
	v_dot4c_i32_i8_e32 v168, v105, v21
	s_waitcnt lgkmcnt(3)
	v_dot4c_i32_i8_e32 v168, v106, v14
	v_dot4c_i32_i8_e32 v168, v107, v15
	s_waitcnt lgkmcnt(2)
	v_dot4c_i32_i8_e32 v168, v164, v16
	v_dot4c_i32_i8_e32 v168, v165, v17
	s_waitcnt lgkmcnt(0)
	v_and_b32_e32 v104, 0xff, v108
	v_add_u32_e32 v106, 0x20b0, v144
	v_add_u32_e32 v164, 0x20b8, v144
	v_mul_lo_u32 v104, v168, v104
	v_cvt_f32_i32_e32 v176, v104
	v_add_u32_e32 v104, 0x20a8, v144
	ds_read2_b32 v[104:105], v104 offset1:1
	v_mov_b32_e32 v168, 0
	v_dot4c_i32_i8_e32 v168, v166, v10
	v_add_u32_e32 v166, 0x4100, v144
	v_dot4c_i32_i8_e32 v168, v167, v11
	ds_read2_b32 v[106:107], v106 offset1:1
	ds_read2_b32 v[164:165], v164 offset1:1
	;; [unrolled: 1-line block ×3, first 2 shown]
	s_waitcnt lgkmcnt(3)
	v_dot4c_i32_i8_e32 v168, v104, v12
	v_dot4c_i32_i8_e32 v168, v105, v13
	s_waitcnt lgkmcnt(2)
	v_dot4c_i32_i8_e32 v168, v106, v6
	v_dot4c_i32_i8_e32 v168, v107, v7
	;; [unrolled: 3-line block ×3, first 2 shown]
	v_bfe_u32 v104, v108, 8, 8
	v_mov_b32_e32 v170, 0
	s_waitcnt lgkmcnt(0)
	v_dot4c_i32_i8_e32 v170, v166, v18
	v_mul_lo_u32 v104, v168, v104
	v_cvt_f32_i32_e32 v178, v104
	v_add_u32_e32 v104, 0x4108, v144
	ds_read2_b32 v[104:105], v104 offset1:1
	v_add_u32_e32 v106, 0x4110, v144
	v_add_u32_e32 v168, 0x4120, v144
	v_dot4c_i32_i8_e32 v170, v167, v19
	v_add_u32_e32 v107, 0x4118, v144
	ds_read2_b32 v[164:165], v106 offset1:1
	ds_read2_b32 v[166:167], v107 offset1:1
	ds_read2_b32 v[168:169], v168 offset1:1
	s_waitcnt lgkmcnt(3)
	v_dot4c_i32_i8_e32 v170, v104, v20
	ds_read2_b32 v[106:107], v149 offset1:2
	v_dot4c_i32_i8_e32 v170, v105, v21
	s_waitcnt lgkmcnt(3)
	v_dot4c_i32_i8_e32 v170, v164, v14
	v_dot4c_i32_i8_e32 v170, v165, v15
	s_waitcnt lgkmcnt(2)
	v_dot4c_i32_i8_e32 v170, v166, v16
	v_dot4c_i32_i8_e32 v170, v167, v17
	s_waitcnt lgkmcnt(0)
	v_and_b32_e32 v104, 0xff, v106
	v_add_u32_e32 v164, 0x4130, v144
	v_add_u32_e32 v166, 0x4138, v144
	v_mul_lo_u32 v104, v170, v104
	v_cvt_f32_i32_e32 v181, v104
	v_add_u32_e32 v104, 0x4128, v144
	ds_read2_b32 v[104:105], v104 offset1:1
	v_mov_b32_e32 v170, 0
	v_dot4c_i32_i8_e32 v170, v168, v10
	v_add_u32_e32 v168, 0x6180, v144
	v_dot4c_i32_i8_e32 v170, v169, v11
	ds_read2_b32 v[164:165], v164 offset1:1
	ds_read2_b32 v[166:167], v166 offset1:1
	;; [unrolled: 1-line block ×3, first 2 shown]
	s_waitcnt lgkmcnt(3)
	v_dot4c_i32_i8_e32 v170, v104, v12
	v_dot4c_i32_i8_e32 v170, v105, v13
	s_waitcnt lgkmcnt(2)
	v_dot4c_i32_i8_e32 v170, v164, v6
	v_dot4c_i32_i8_e32 v170, v165, v7
	;; [unrolled: 3-line block ×3, first 2 shown]
	v_bfe_u32 v104, v106, 8, 8
	v_add_u32_e32 v105, 0x6198, v144
	v_mov_b32_e32 v190, 0
	v_mul_lo_u32 v104, v170, v104
	v_mov_b32_e32 v170, 0
	s_waitcnt lgkmcnt(0)
	v_dot4c_i32_i8_e32 v170, v168, v18
	v_add_u32_e32 v18, 0x6188, v144
	v_dot4c_i32_i8_e32 v170, v169, v19
	ds_read2_b32 v[18:19], v18 offset1:1
	v_cvt_f32_i32_e32 v183, v104
	v_add_u32_e32 v104, 0x6190, v144
	v_add_u32_e32 v168, 0x61a0, v144
	ds_read2_b32 v[164:165], v104 offset1:1
	ds_read2_b32 v[166:167], v105 offset1:1
	;; [unrolled: 1-line block ×3, first 2 shown]
	s_waitcnt lgkmcnt(3)
	v_dot4c_i32_i8_e32 v170, v18, v20
	ds_read2_b32 v[104:105], v151 offset1:2
	v_dot4c_i32_i8_e32 v170, v19, v21
	s_waitcnt lgkmcnt(3)
	v_dot4c_i32_i8_e32 v170, v164, v14
	v_mov_b32_e32 v18, 0
	v_dot4c_i32_i8_e32 v170, v165, v15
	s_waitcnt lgkmcnt(1)
	v_dot4c_i32_i8_e32 v18, v168, v10
	v_add_u32_e32 v10, 0x61a8, v144
	v_dot4c_i32_i8_e32 v170, v166, v16
	v_dot4c_i32_i8_e32 v18, v169, v11
	ds_read2_b32 v[10:11], v10 offset1:1
	v_dot4c_i32_i8_e32 v170, v167, v17
	s_waitcnt lgkmcnt(1)
	v_and_b32_e32 v14, 0xff, v104
	v_add_u32_e32 v16, 0x61b8, v144
	v_add_u32_e32 v19, 0x20c0, v144
	v_mul_lo_u32 v14, v170, v14
	v_cvt_f32_i32_e32 v186, v14
	v_add_u32_e32 v14, 0x61b0, v144
	ds_read2_b32 v[14:15], v14 offset1:1
	ds_read2_b32 v[16:17], v16 offset1:1
	;; [unrolled: 1-line block ×3, first 2 shown]
	s_waitcnt lgkmcnt(3)
	v_dot4c_i32_i8_e32 v18, v10, v12
	v_dot4c_i32_i8_e32 v18, v11, v13
	s_waitcnt lgkmcnt(2)
	v_dot4c_i32_i8_e32 v18, v14, v6
	v_dot4c_i32_i8_e32 v18, v15, v7
	;; [unrolled: 3-line block ×3, first 2 shown]
	v_bfe_u32 v6, v104, 8, 8
	v_lshrrev_b32_e32 v163, 24, v102
	v_cvt_f32_ubyte0_e32 v177, v109
	v_mul_lo_u32 v6, v18, v6
	v_cvt_f32_i32_e32 v188, v6
	ds_read_b128 v[18:21], v141 offset:64
	ds_read_b128 v[14:17], v141 offset:80
	;; [unrolled: 1-line block ×4, first 2 shown]
	ds_read2_b32 v[166:167], v144 offset0:18 offset1:19
	s_waitcnt lgkmcnt(4)
	v_dot4c_i32_i8_e32 v190, v110, v18
	v_dot4c_i32_i8_e32 v190, v111, v19
	ds_read2_b32 v[110:111], v144 offset0:20 offset1:21
	ds_read2_b32 v[168:169], v144 offset0:22 offset1:23
	;; [unrolled: 1-line block ×3, first 2 shown]
	v_cvt_f32_ubyte0_e32 v182, v107
	s_waitcnt lgkmcnt(3)
	v_dot4c_i32_i8_e32 v190, v166, v20
	v_mov_b32_e32 v166, 0
	v_dot4c_i32_i8_e32 v190, v167, v21
	s_waitcnt lgkmcnt(0)
	v_dot4c_i32_i8_e32 v166, v170, v10
	v_dot4c_i32_i8_e32 v166, v171, v11
	;; [unrolled: 1-line block ×10, first 2 shown]
	v_cvt_f32_f16_e32 v155, v4
	v_cvt_f32_f16_sdwa v111, v4 dst_sel:DWORD dst_unused:UNUSED_PAD src0_sel:WORD_1
	v_and_b32_e32 v4, 0xff, v102
	v_bfe_u32 v156, v102, 16, 8
	v_dot4c_i32_i8_e32 v166, v158, v8
	v_mul_lo_u32 v4, v161, v4
	v_mul_lo_u32 v156, v190, v156
	v_dot4c_i32_i8_e32 v166, v159, v9
	v_cvt_f32_f16_e32 v154, v2
	v_cvt_f32_i32_e32 v159, v156
	v_cvt_f32_i32_e32 v158, v4
	v_bfe_u32 v102, v102, 8, 8
	v_mul_lo_u32 v102, v172, v102
	v_cvt_f32_f16_sdwa v110, v2 dst_sel:DWORD dst_unused:UNUSED_PAD src0_sel:WORD_1
	v_pk_fma_f32 v[158:159], v[154:155], v[158:159], 0 op_sel_hi:[1,1,0]
	v_mul_lo_u32 v154, v166, v163
	v_cvt_f32_f16_e32 v157, v5
	v_cvt_f32_f16_e32 v156, v3
	v_cvt_f32_i32_e32 v167, v154
	v_cvt_f32_i32_e32 v166, v102
	v_cvt_f32_f16_sdwa v5, v5 dst_sel:DWORD dst_unused:UNUSED_PAD src0_sel:WORD_1
	v_cvt_f32_f16_sdwa v4, v3 dst_sel:DWORD dst_unused:UNUSED_PAD src0_sel:WORD_1
	v_cvt_f32_ubyte2_e32 v169, v103
	v_cvt_f32_ubyte0_e32 v168, v103
	v_cvt_f32_ubyte0_e32 v187, v105
	v_pk_fma_f32 v[168:169], v[110:111], v[168:169], 0 op_sel_hi:[1,1,0]
	v_pk_fma_f32 v[158:159], v[156:157], v[166:167], v[158:159]
	v_cvt_f32_ubyte3_e32 v167, v103
	v_cvt_f32_ubyte1_e32 v166, v103
	v_fma_mix_f32 v154, v2, v181, 0 op_sel_hi:[1,0,0]
	v_cvt_f32_ubyte1_e32 v189, v105
	v_pk_fma_f32 v[102:103], v[4:5], v[166:167], v[168:169]
	v_fma_mix_f32 v4, v2, v176, 0 op_sel_hi:[1,0,0]
	v_fma_mix_f32 v110, v2, v177, 0 op_sel:[1,0,0] op_sel_hi:[1,0,0]
	v_fma_mix_f32 v156, v2, v182, 0 op_sel:[1,0,0] op_sel_hi:[1,0,0]
	v_fma_mix_f32 v166, v3, v183, v154 op_sel_hi:[1,0,0]
	v_fma_mix_f32 v154, v2, v186, 0 op_sel_hi:[1,0,0]
	v_fma_mix_f32 v2, v2, v187, 0 op_sel:[1,0,0] op_sel_hi:[1,0,0]
	v_cvt_f32_ubyte1_e32 v179, v109
	v_cvt_f32_ubyte1_e32 v184, v107
	v_fma_mix_f32 v169, v3, v189, v2 op_sel:[1,0,0] op_sel_hi:[1,0,0]
	v_add_u32_e32 v2, 0x20c8, v144
	v_fma_mix_f32 v4, v3, v178, v4 op_sel_hi:[1,0,0]
	v_fma_mix_f32 v110, v3, v179, v110 op_sel:[1,0,0] op_sel_hi:[1,0,0]
	v_fma_mix_f32 v167, v3, v184, v156 op_sel:[1,0,0] op_sel_hi:[1,0,0]
	v_fma_mix_f32 v168, v3, v188, v154 op_sel_hi:[1,0,0]
	ds_read2_b32 v[2:3], v2 offset1:1
	v_pk_mul_f32 v[102:103], v[102:103], v[162:163] op_sel_hi:[1,0]
	v_mov_b32_e32 v154, 0
	v_pk_fma_f32 v[102:103], v[158:159], v[160:161], v[102:103] op_sel_hi:[1,0,1] neg_lo:[0,0,1] neg_hi:[0,0,1]
	v_dot4c_i32_i8_e32 v154, v164, v18
	v_add_u32_e32 v156, 0x20d0, v144
	v_add_u32_e32 v160, 0x20d8, v144
	;; [unrolled: 1-line block ×3, first 2 shown]
	v_dot4c_i32_i8_e32 v154, v165, v19
	ds_read2_b32 v[158:159], v156 offset1:1
	ds_read2_b32 v[160:161], v160 offset1:1
	;; [unrolled: 1-line block ×3, first 2 shown]
	s_waitcnt lgkmcnt(3)
	v_dot4c_i32_i8_e32 v154, v2, v20
	v_dot4c_i32_i8_e32 v154, v3, v21
	s_waitcnt lgkmcnt(2)
	v_dot4c_i32_i8_e32 v154, v158, v14
	v_dot4c_i32_i8_e32 v154, v159, v15
	s_waitcnt lgkmcnt(1)
	v_dot4c_i32_i8_e32 v154, v160, v16
	v_dot4c_i32_i8_e32 v154, v161, v17
	v_bfe_u32 v2, v108, 16, 8
	v_lshrrev_b32_e32 v175, 24, v108
	v_mov_b32_e32 v108, 0
	v_mul_lo_u32 v2, v154, v2
	v_add_u32_e32 v154, 0x20e8, v144
	ds_read2_b32 v[158:159], v154 offset1:1
	s_waitcnt lgkmcnt(1)
	v_dot4c_i32_i8_e32 v108, v162, v10
	v_add_u32_e32 v156, 0x20f0, v144
	v_add_u32_e32 v162, 0x20f8, v144
	v_dot4c_i32_i8_e32 v108, v163, v11
	v_add_u32_e32 v154, 0x4140, v144
	ds_read2_b32 v[160:161], v156 offset1:1
	ds_read2_b32 v[162:163], v162 offset1:1
	ds_read2_b32 v[164:165], v154 offset1:1
	s_waitcnt lgkmcnt(3)
	v_dot4c_i32_i8_e32 v108, v158, v12
	v_dot4c_i32_i8_e32 v108, v159, v13
	s_waitcnt lgkmcnt(2)
	v_dot4c_i32_i8_e32 v108, v160, v6
	v_dot4c_i32_i8_e32 v108, v161, v7
	s_waitcnt lgkmcnt(1)
	v_dot4c_i32_i8_e32 v108, v162, v8
	v_cvt_f32_f16_sdwa v159, v173 dst_sel:DWORD dst_unused:UNUSED_PAD src0_sel:WORD_1
	v_dot4c_i32_i8_e32 v108, v163, v9
	v_cvt_f32_i32_e32 v2, v2
	v_cvt_f32_f16_e32 v158, v173
	v_mul_f32_e32 v110, v110, v159
	v_mul_lo_u32 v108, v108, v175
	v_cvt_f32_i32_e32 v108, v108
	v_cvt_f32_ubyte2_e32 v3, v109
	v_fma_mix_f32 v161, v4, v173, -v110 op_sel_hi:[0,1,0]
	v_mov_b32_e32 v110, v155
	v_cvt_f32_ubyte3_e32 v109, v109
	v_pk_fma_f32 v[2:3], v[110:111], v[2:3], 0 op_sel_hi:[1,1,0]
	v_mov_b32_e32 v4, v157
	v_pk_fma_f32 v[2:3], v[4:5], v[108:109], v[2:3]
	v_pk_mul_f32 v[108:109], v[2:3], v[158:159]
	v_mov_b32_e32 v109, v108
	v_mov_b32_e32 v160, v102
	v_pk_fma_f32 v[2:3], v[2:3], v[158:159], v[108:109] neg_lo:[1,0,0] neg_hi:[1,0,0]
	v_pk_add_f32 v[90:91], v[90:91], v[160:161]
	v_mov_b32_e32 v2, v103
	v_pk_add_f32 v[90:91], v[90:91], v[2:3]
	v_add_u32_e32 v2, 0x4148, v144
	ds_read2_b32 v[2:3], v2 offset1:1
	v_mov_b32_e32 v156, 0
	s_waitcnt lgkmcnt(1)
	v_dot4c_i32_i8_e32 v156, v164, v18
	v_add_u32_e32 v102, 0x4150, v144
	v_add_u32_e32 v108, 0x4158, v144
	;; [unrolled: 1-line block ×3, first 2 shown]
	v_dot4c_i32_i8_e32 v156, v165, v19
	ds_read2_b32 v[102:103], v102 offset1:1
	ds_read2_b32 v[108:109], v108 offset1:1
	;; [unrolled: 1-line block ×3, first 2 shown]
	s_waitcnt lgkmcnt(3)
	v_dot4c_i32_i8_e32 v156, v2, v20
	v_dot4c_i32_i8_e32 v156, v3, v21
	s_waitcnt lgkmcnt(2)
	v_dot4c_i32_i8_e32 v156, v102, v14
	v_add_u32_e32 v102, 0x4168, v144
	v_dot4c_i32_i8_e32 v156, v103, v15
	ds_read2_b32 v[102:103], v102 offset1:1
	s_waitcnt lgkmcnt(2)
	v_dot4c_i32_i8_e32 v156, v108, v16
	v_lshrrev_b32_e32 v180, 24, v106
	v_dot4c_i32_i8_e32 v156, v109, v17
	v_bfe_u32 v2, v106, 16, 8
	v_mov_b32_e32 v106, 0
	s_waitcnt lgkmcnt(1)
	v_dot4c_i32_i8_e32 v106, v154, v10
	v_mul_lo_u32 v2, v156, v2
	v_add_u32_e32 v108, 0x4170, v144
	v_add_u32_e32 v154, 0x4178, v144
	;; [unrolled: 1-line block ×3, first 2 shown]
	v_dot4c_i32_i8_e32 v106, v155, v11
	ds_read2_b32 v[108:109], v108 offset1:1
	ds_read2_b32 v[154:155], v154 offset1:1
	;; [unrolled: 1-line block ×3, first 2 shown]
	s_waitcnt lgkmcnt(3)
	v_dot4c_i32_i8_e32 v106, v102, v12
	v_dot4c_i32_i8_e32 v106, v103, v13
	s_waitcnt lgkmcnt(2)
	v_dot4c_i32_i8_e32 v106, v108, v6
	v_dot4c_i32_i8_e32 v106, v109, v7
	;; [unrolled: 3-line block ×3, first 2 shown]
	v_cvt_f32_i32_e32 v2, v2
	v_cvt_f32_f16_sdwa v103, v174 dst_sel:DWORD dst_unused:UNUSED_PAD src0_sel:WORD_1
	v_cvt_f32_ubyte2_e32 v3, v107
	v_mul_lo_u32 v102, v106, v180
	v_cvt_f32_i32_e32 v106, v102
	v_cvt_f32_f16_e32 v102, v174
	v_cvt_f32_ubyte3_e32 v107, v107
	v_pk_fma_f32 v[2:3], v[110:111], v[2:3], 0 op_sel_hi:[1,1,0]
	v_mul_f32_e32 v108, v167, v103
	v_pk_fma_f32 v[2:3], v[4:5], v[106:107], v[2:3]
	v_fma_mix_f32 v108, v166, v174, -v108 op_sel_hi:[0,1,0]
	v_pk_mul_f32 v[2:3], v[2:3], v[102:103]
	v_add_f32_e32 v108, v112, v108
	v_sub_f32_e32 v2, v2, v3
	v_add_f32_e32 v112, v108, v2
	v_add_u32_e32 v2, 0x61c8, v144
	ds_read2_b32 v[2:3], v2 offset1:1
	v_mov_b32_e32 v108, 0
	s_waitcnt lgkmcnt(1)
	v_dot4c_i32_i8_e32 v108, v156, v18
	v_add_u32_e32 v18, 0x61d0, v144
	v_add_u32_e32 v102, 0x61d8, v144
	;; [unrolled: 1-line block ×3, first 2 shown]
	v_dot4c_i32_i8_e32 v108, v157, v19
	ds_read2_b32 v[18:19], v18 offset1:1
	ds_read2_b32 v[102:103], v102 offset1:1
	;; [unrolled: 1-line block ×3, first 2 shown]
	s_waitcnt lgkmcnt(3)
	v_dot4c_i32_i8_e32 v108, v2, v20
	v_dot4c_i32_i8_e32 v108, v3, v21
	s_waitcnt lgkmcnt(2)
	v_dot4c_i32_i8_e32 v108, v18, v14
	v_mov_b32_e32 v18, 0
	s_waitcnt lgkmcnt(0)
	v_dot4c_i32_i8_e32 v18, v106, v10
	v_add_u32_e32 v10, 0x61e8, v144
	v_dot4c_i32_i8_e32 v18, v107, v11
	ds_read2_b32 v[10:11], v10 offset1:1
	v_add_u32_e32 v14, 0x61f0, v144
	v_dot4c_i32_i8_e32 v108, v19, v15
	ds_read2_b32 v[14:15], v14 offset1:1
	v_dot4c_i32_i8_e32 v108, v102, v16
	v_add_u32_e32 v16, 0x61f8, v144
	v_dot4c_i32_i8_e32 v108, v103, v17
	ds_read2_b32 v[16:17], v16 offset1:1
	s_waitcnt lgkmcnt(2)
	v_dot4c_i32_i8_e32 v18, v10, v12
	v_dot4c_i32_i8_e32 v18, v11, v13
	s_waitcnt lgkmcnt(1)
	v_dot4c_i32_i8_e32 v18, v14, v6
	v_dot4c_i32_i8_e32 v18, v15, v7
	v_bfe_u32 v2, v104, 16, 8
	s_waitcnt lgkmcnt(0)
	v_dot4c_i32_i8_e32 v18, v16, v8
	v_lshrrev_b32_e32 v185, 24, v104
	v_mul_lo_u32 v2, v108, v2
	v_dot4c_i32_i8_e32 v18, v17, v9
	v_cvt_f32_i32_e32 v2, v2
	v_cvt_f32_f16_sdwa v7, v153 dst_sel:DWORD dst_unused:UNUSED_PAD src0_sel:WORD_1
	v_cvt_f32_ubyte2_e32 v3, v105
	v_mul_lo_u32 v6, v18, v185
	v_cvt_f32_i32_e32 v8, v6
	v_cvt_f32_f16_e32 v6, v153
	v_cvt_f32_ubyte3_e32 v9, v105
	v_pk_fma_f32 v[2:3], v[110:111], v[2:3], 0 op_sel_hi:[1,1,0]
	v_mul_f32_e32 v10, v169, v7
	v_pk_fma_f32 v[2:3], v[4:5], v[8:9], v[2:3]
	v_fma_mix_f32 v10, v168, v153, -v10 op_sel_hi:[0,1,0]
	v_pk_mul_f32 v[2:3], v[2:3], v[6:7]
	v_add_f32_e32 v10, v85, v10
	v_sub_f32_e32 v2, v2, v3
	v_add_f32_e32 v85, v10, v2
	s_cmp_ge_i32 s12, s19
	s_barrier
	s_cbranch_scc1 .LBB193_5
; %bb.13:                               ;   in Loop: Header=BB193_6 Depth=1
	v_cmp_gt_i32_e32 vcc, s9, v146
	s_and_b64 s[22:23], s[2:3], vcc
	s_and_saveexec_b64 s[4:5], s[22:23]
	s_cbranch_execz .LBB193_15
; %bb.14:                               ;   in Loop: Header=BB193_6 Depth=1
	v_add_u32_e32 v2, v24, v146
	v_mad_i64_i32 v[2:3], s[22:23], v2, 36, v[22:23]
	global_load_dword v2, v[2:3], off offset:4
	s_waitcnt vmcnt(0)
	ds_write_b32 v138, v2
.LBB193_15:                             ;   in Loop: Header=BB193_6 Depth=1
	s_or_b64 exec, exec, s[4:5]
	s_and_saveexec_b64 s[4:5], s[0:1]
	s_cbranch_execz .LBB193_4
; %bb.16:                               ;   in Loop: Header=BB193_6 Depth=1
	v_add_u32_e32 v2, 4, v114
	v_cmp_gt_i32_e32 vcc, s9, v2
	s_and_b64 s[22:23], s[2:3], vcc
	s_and_b64 exec, exec, s[22:23]
	s_cbranch_execz .LBB193_4
; %bb.17:                               ;   in Loop: Header=BB193_6 Depth=1
	v_ashrrev_i32_e32 v2, 31, v114
	v_add_co_u32_e32 v3, vcc, v24, v114
	v_addc_co_u32_e32 v4, vcc, v1, v2, vcc
	v_mad_u64_u32 v[2:3], s[22:23], v3, 36, s[6:7]
	v_mad_i32_i24 v3, v4, 36, v3
	global_load_dword v2, v[2:3], off
	s_waitcnt vmcnt(0)
	ds_write_b32 v139, v2
	s_branch .LBB193_4
.LBB193_18:
	v_mov_b32_e32 v112, 0
	v_mov_b32_e32 v91, 0
	;; [unrolled: 1-line block ×3, first 2 shown]
.LBB193_19:
	s_mul_i32 s0, s11, s8
	s_waitcnt vmcnt(0)
	v_cmp_gt_i32_e32 vcc, s0, v113
	s_and_saveexec_b64 s[0:1], vcc
	s_cbranch_execz .LBB193_28
; %bb.20:
	v_and_b32_e32 v0, 0x3ff, v0
	v_add_u32_e32 v1, s24, v0
	v_mul_lo_u32 v0, v113, s10
	v_cmp_gt_u32_e32 vcc, s10, v1
	s_and_saveexec_b64 s[0:1], vcc
	s_cbranch_execz .LBB193_22
; %bb.21:
	v_add_u32_e32 v2, v0, v1
	v_mov_b32_e32 v3, 0
	v_lshlrev_b64 v[2:3], 2, v[2:3]
	v_mov_b32_e32 v4, s17
	v_add_co_u32_e32 v2, vcc, s16, v2
	v_addc_co_u32_e32 v3, vcc, v4, v3, vcc
	global_store_dword v[2:3], v90, off
.LBB193_22:
	s_or_b64 exec, exec, s[0:1]
	v_add_u32_e32 v2, 32, v1
	v_cmp_gt_u32_e32 vcc, s10, v2
	s_and_saveexec_b64 s[0:1], vcc
	s_cbranch_execz .LBB193_24
; %bb.23:
	v_add_u32_e32 v2, v0, v2
	v_mov_b32_e32 v3, 0
	v_lshlrev_b64 v[2:3], 2, v[2:3]
	v_mov_b32_e32 v4, s17
	v_add_co_u32_e32 v2, vcc, s16, v2
	v_addc_co_u32_e32 v3, vcc, v4, v3, vcc
	global_store_dword v[2:3], v91, off
.LBB193_24:
	s_or_b64 exec, exec, s[0:1]
	v_add_u32_e32 v2, 64, v1
	;; [unrolled: 14-line block ×3, first 2 shown]
	v_cmp_gt_u32_e32 vcc, s10, v1
	s_and_b64 exec, exec, vcc
	s_cbranch_execz .LBB193_28
; %bb.27:
	v_add_u32_e32 v0, v0, v1
	v_mov_b32_e32 v1, 0
	v_lshlrev_b64 v[0:1], 2, v[0:1]
	v_mov_b32_e32 v2, s17
	v_add_co_u32_e32 v0, vcc, s16, v0
	v_addc_co_u32_e32 v1, vcc, v2, v1, vcc
	global_store_dword v[0:1], v85, off
.LBB193_28:
	s_endpgm
	.section	.rodata,"a",@progbits
	.p2align	6, 0x0
	.amdhsa_kernel _ZL8moe_q5_KIfLb0EEvPKvS1_PT_PKiS5_S5_iiiiiii
		.amdhsa_group_segment_fixed_size 37072
		.amdhsa_private_segment_fixed_size 0
		.amdhsa_kernarg_size 76
		.amdhsa_user_sgpr_count 6
		.amdhsa_user_sgpr_private_segment_buffer 1
		.amdhsa_user_sgpr_dispatch_ptr 0
		.amdhsa_user_sgpr_queue_ptr 0
		.amdhsa_user_sgpr_kernarg_segment_ptr 1
		.amdhsa_user_sgpr_dispatch_id 0
		.amdhsa_user_sgpr_flat_scratch_init 0
		.amdhsa_user_sgpr_kernarg_preload_length 0
		.amdhsa_user_sgpr_kernarg_preload_offset 0
		.amdhsa_user_sgpr_private_segment_size 0
		.amdhsa_uses_dynamic_stack 0
		.amdhsa_system_sgpr_private_segment_wavefront_offset 0
		.amdhsa_system_sgpr_workgroup_id_x 1
		.amdhsa_system_sgpr_workgroup_id_y 1
		.amdhsa_system_sgpr_workgroup_id_z 0
		.amdhsa_system_sgpr_workgroup_info 0
		.amdhsa_system_vgpr_workitem_id 1
		.amdhsa_next_free_vgpr 191
		.amdhsa_next_free_sgpr 28
		.amdhsa_accum_offset 192
		.amdhsa_reserve_vcc 1
		.amdhsa_reserve_flat_scratch 0
		.amdhsa_float_round_mode_32 0
		.amdhsa_float_round_mode_16_64 0
		.amdhsa_float_denorm_mode_32 3
		.amdhsa_float_denorm_mode_16_64 3
		.amdhsa_dx10_clamp 1
		.amdhsa_ieee_mode 1
		.amdhsa_fp16_overflow 0
		.amdhsa_tg_split 0
		.amdhsa_exception_fp_ieee_invalid_op 0
		.amdhsa_exception_fp_denorm_src 0
		.amdhsa_exception_fp_ieee_div_zero 0
		.amdhsa_exception_fp_ieee_overflow 0
		.amdhsa_exception_fp_ieee_underflow 0
		.amdhsa_exception_fp_ieee_inexact 0
		.amdhsa_exception_int_div_zero 0
	.end_amdhsa_kernel
	.section	.text._ZL8moe_q5_KIfLb0EEvPKvS1_PT_PKiS5_S5_iiiiiii,"axG",@progbits,_ZL8moe_q5_KIfLb0EEvPKvS1_PT_PKiS5_S5_iiiiiii,comdat
.Lfunc_end193:
	.size	_ZL8moe_q5_KIfLb0EEvPKvS1_PT_PKiS5_S5_iiiiiii, .Lfunc_end193-_ZL8moe_q5_KIfLb0EEvPKvS1_PT_PKiS5_S5_iiiiiii
                                        ; -- End function
	.section	.AMDGPU.csdata,"",@progbits
; Kernel info:
; codeLenInByte = 11112
; NumSgprs: 32
; NumVgprs: 191
; NumAgprs: 0
; TotalNumVgprs: 191
; ScratchSize: 0
; MemoryBound: 0
; FloatMode: 240
; IeeeMode: 1
; LDSByteSize: 37072 bytes/workgroup (compile time only)
; SGPRBlocks: 3
; VGPRBlocks: 23
; NumSGPRsForWavesPerEU: 32
; NumVGPRsForWavesPerEU: 191
; AccumOffset: 192
; Occupancy: 1
; WaveLimiterHint : 1
; COMPUTE_PGM_RSRC2:SCRATCH_EN: 0
; COMPUTE_PGM_RSRC2:USER_SGPR: 6
; COMPUTE_PGM_RSRC2:TRAP_HANDLER: 0
; COMPUTE_PGM_RSRC2:TGID_X_EN: 1
; COMPUTE_PGM_RSRC2:TGID_Y_EN: 1
; COMPUTE_PGM_RSRC2:TGID_Z_EN: 0
; COMPUTE_PGM_RSRC2:TIDIG_COMP_CNT: 1
; COMPUTE_PGM_RSRC3_GFX90A:ACCUM_OFFSET: 47
; COMPUTE_PGM_RSRC3_GFX90A:TG_SPLIT: 0
	.section	.text._ZL8moe_q5_KIfLb1EEvPKvS1_PT_PKiS5_S5_iiiiiii,"axG",@progbits,_ZL8moe_q5_KIfLb1EEvPKvS1_PT_PKiS5_S5_iiiiiii,comdat
	.globl	_ZL8moe_q5_KIfLb1EEvPKvS1_PT_PKiS5_S5_iiiiiii ; -- Begin function _ZL8moe_q5_KIfLb1EEvPKvS1_PT_PKiS5_S5_iiiiiii
	.p2align	8
	.type	_ZL8moe_q5_KIfLb1EEvPKvS1_PT_PKiS5_S5_iiiiiii,@function
_ZL8moe_q5_KIfLb1EEvPKvS1_PT_PKiS5_S5_iiiiiii: ; @_ZL8moe_q5_KIfLb1EEvPKvS1_PT_PKiS5_S5_iiiiiii
; %bb.0:
	s_load_dwordx4 s[0:3], s[4:5], 0x18
	s_mov_b32 s8, s7
	s_mov_b32 s9, 0
	s_lshl_b64 s[10:11], s[8:9], 2
	s_waitcnt lgkmcnt(0)
	s_add_u32 s2, s2, s10
	s_addc_u32 s3, s3, s11
	s_load_dword s2, s[2:3], 0x0
	s_waitcnt lgkmcnt(0)
	s_cmpk_gt_u32 s2, 0xff
	s_cbranch_scc1 .LBB194_28
; %bb.1:
	s_load_dwordx2 s[10:11], s[4:5], 0x28
	s_lshl_b32 s3, s8, 3
	s_waitcnt lgkmcnt(0)
	s_load_dword s7, s[10:11], 0x0
	s_waitcnt lgkmcnt(0)
	s_cmp_gt_u32 s3, s7
	s_cbranch_scc1 .LBB194_28
; %bb.2:
	v_bfe_u32 v1, v0, 10, 10
	v_add_u32_e32 v82, s3, v1
	v_mov_b32_e32 v83, 0
	v_lshlrev_b64 v[2:3], 2, v[82:83]
	v_mov_b32_e32 v4, s1
	v_add_co_u32_e32 v2, vcc, s0, v2
	v_addc_co_u32_e32 v3, vcc, v4, v3, vcc
	global_load_dword v101, v[2:3], off
	s_load_dwordx8 s[8:15], s[4:5], 0x30
	s_load_dwordx2 s[20:21], s[4:5], 0x10
	s_waitcnt lgkmcnt(0)
	s_lshl_b32 s15, s6, 7
	s_mov_b32 s22, 0
	s_cmpk_lt_i32 s9, 0x100
	s_cbranch_scc1 .LBB194_18
; %bb.3:
	s_ashr_i32 s0, s9, 31
	s_lshr_b32 s0, s0, 24
	s_add_i32 s0, s9, s0
	s_ashr_i32 s26, s0, 8
	s_ashr_i32 s0, s12, 31
	s_lshr_b32 s0, s0, 27
	s_add_i32 s0, s12, s0
	v_and_b32_e32 v103, 0x3ff, v0
	s_ashr_i32 s12, s0, 5
	s_not_b32 s0, s15
	v_lshlrev_b32_e32 v2, 1, v103
	v_and_b32_e32 v8, 7, v103
	s_mul_i32 s8, s2, s8
	s_add_i32 s2, s0, s10
	v_and_or_b32 v2, v2, 48, v8
	v_lshlrev_b32_e32 v3, 2, v103
	v_min_i32_e32 v8, s2, v1
	v_lshlrev_b32_e32 v2, 2, v2
	s_movk_i32 s3, 0x104
	v_mul_lo_u32 v9, v8, s26
	v_mad_u64_u32 v[22:23], s[0:1], v8, s3, v[2:3]
	v_add_u32_e32 v8, 8, v1
	v_min_i32_e32 v8, s2, v8
	v_mul_lo_u32 v10, v8, s26
	v_mad_u64_u32 v[24:25], s[0:1], v8, s3, v[2:3]
	v_add_u32_e32 v8, 16, v1
	v_min_i32_e32 v8, s2, v8
	;; [unrolled: 4-line block ×15, first 2 shown]
	v_mad_u64_u32 v[52:53], s[0:1], v8, s3, v[2:3]
	v_lshlrev_b32_e32 v2, 5, v1
	v_mul_lo_u32 v83, v8, s26
	v_add_u32_e32 v8, v2, v103
	v_and_b32_e32 v23, 0x7f, v8
	v_min_i32_e32 v23, s2, v23
	v_ashrrev_i32_e32 v25, 31, v23
	v_lshrrev_b32_e32 v25, 27, v25
	v_add_u32_e32 v25, v23, v25
	v_ashrrev_i32_e32 v25, 5, v25
	v_mul_lo_u32 v91, v23, s26
	v_lshlrev_b32_e32 v25, 2, v25
	v_lshlrev_b32_e32 v23, 2, v23
	s_mov_b32 s3, 0x8e40
	v_add3_u32 v109, v25, v23, s3
	v_and_b32_e32 v23, 3, v103
	v_add_u32_e32 v25, 0xfe, v23
	v_cmp_gt_u32_e32 vcc, 2, v23
	v_lshrrev_b32_e32 v5, 2, v103
	v_cndmask_b32_e32 v25, v25, v23, vcc
	v_and_b32_e32 v105, 6, v5
	v_lshl_add_u32 v5, v1, 3, v5
	v_and_b32_e32 v25, 0xff, v25
	v_cmp_ne_u32_e32 vcc, 0, v23
	v_addc_co_u32_e32 v93, vcc, 0, v25, vcc
	v_and_b32_e32 v5, 0x7f, v5
	v_and_b32_e32 v27, 4, v3
	v_cmp_lt_u32_e32 vcc, 1, v23
	v_lshlrev_b32_e32 v113, 1, v25
	v_min_i32_e32 v25, s2, v5
	v_cndmask_b32_e32 v111, 0, v27, vcc
	v_ashrrev_i32_e32 v27, 31, v25
	v_xor_b32_e32 v5, 64, v5
	v_lshrrev_b32_e32 v27, 29, v27
	v_min_i32_e32 v5, s2, v5
	s_load_dwordx4 s[16:19], s[4:5], 0x0
	v_mul_lo_u32 v95, v25, s26
	v_add_u32_e32 v27, v25, v27
	v_lshlrev_b32_e32 v135, 4, v25
	v_ashrrev_i32_e32 v25, 31, v5
	v_lshrrev_b32_e32 v25, 29, v25
	v_add_u32_e32 v25, v5, v25
	v_ashrrev_i32_e32 v27, 3, v27
	v_ashrrev_i32_e32 v25, 3, v25
	v_and_b32_e32 v7, 28, v3
	v_lshlrev_b32_e32 v27, 2, v27
	v_lshlrev_b32_e32 v23, 2, v23
	s_mov_b32 s0, 0x8200
	v_lshlrev_b32_e32 v25, 2, v25
	v_add3_u32 v134, v27, v23, s0
	v_mul_lo_u32 v97, v5, s26
	v_add3_u32 v136, v25, v23, s0
	v_lshlrev_b32_e32 v137, 4, v5
	s_waitcnt lgkmcnt(0)
	v_mov_b32_e32 v5, s19
	v_add_co_u32_e64 v54, s[0:1], s18, v7
	v_and_or_b32 v2, v103, 31, v2
	v_addc_co_u32_e64 v55, s[0:1], 0, v5, s[0:1]
	v_mov_b32_e32 v5, 0x8a40
	s_movk_i32 s2, 0xffe4
	v_lshl_add_u32 v115, v2, 2, v5
	v_mad_i32_i24 v2, v1, s2, v8
	v_mov_b32_e32 v8, 0x9050
	v_lshrrev_b32_e32 v119, 3, v103
	v_lshrrev_b32_e32 v4, 5, v103
	v_lshl_add_u32 v117, v2, 2, v8
	v_lshl_add_u32 v121, v1, 7, v5
	v_lshlrev_b32_e32 v127, 4, v1
	v_add_u32_e32 v1, v119, v3
	v_mov_b32_e32 v2, 0x8200
	v_lshl_add_u32 v129, v1, 2, v2
	v_lshlrev_b32_e32 v1, 2, v4
	v_add3_u32 v133, v1, v3, s3
	v_add_u32_e32 v1, 32, v103
	v_lshrrev_b32_e32 v144, 3, v1
	v_lshl_add_u32 v1, v1, 2, v144
	v_lshl_add_u32 v145, v1, 2, v2
	v_and_b32_e32 v1, 60, v144
	v_add3_u32 v146, v3, v1, s3
	v_add_u32_e32 v1, 64, v103
	v_lshrrev_b32_e32 v5, 3, v1
	v_lshl_add_u32 v1, v1, 2, v5
	s_abs_i32 s4, s14
	v_lshl_add_u32 v147, v1, 2, v2
	v_and_b32_e32 v1, 60, v5
	v_cvt_f32_u32_e32 v8, s4
	v_add3_u32 v148, v3, v1, s3
	v_add_u32_e32 v1, 0x60, v103
	v_lshrrev_b32_e32 v5, 3, v1
	v_lshl_add_u32 v1, v1, 2, v5
	v_lshl_add_u32 v149, v1, 2, v2
	v_rcp_iflag_f32_e32 v2, v8
	s_sub_i32 s2, 0, s4
	v_and_b32_e32 v1, 60, v5
	v_and_b32_e32 v6, 0x7c, v3
	v_mul_f32_e32 v2, 0x4f7ffffe, v2
	v_cvt_u32_f32_e32 v2, v2
	v_add3_u32 v150, v3, v1, s3
	s_waitcnt vmcnt(0)
	v_sub_u32_e32 v3, 0, v101
	v_max_i32_e32 v3, v101, v3
	v_mul_lo_u32 v5, s2, v2
	v_mul_hi_u32 v5, v2, v5
	v_add_u32_e32 v2, v2, v5
	v_mul_hi_u32 v2, v3, v2
	v_mul_lo_u32 v5, v2, s4
	v_sub_u32_e32 v3, v3, v5
	v_add_u32_e32 v5, 1, v2
	v_cmp_le_u32_e64 s[2:3], s4, v3
	v_cndmask_b32_e64 v2, v2, v5, s[2:3]
	v_subrev_u32_e32 v5, s4, v3
	v_cndmask_b32_e64 v3, v3, v5, s[2:3]
	v_xor_b32_e32 v1, s14, v101
	v_add_u32_e32 v5, 1, v2
	v_cmp_le_u32_e64 s[2:3], s4, v3
	s_mul_i32 s23, s26, s15
	v_ashrrev_i32_e32 v1, 31, v1
	v_cndmask_b32_e64 v2, v2, v5, s[2:3]
	v_xor_b32_e32 v2, v2, v1
	s_mul_hi_i32 s25, s23, 0xb0
	s_mul_i32 s24, s23, 0xb0
	v_sub_u32_e32 v1, v2, v1
	s_movk_i32 s10, 0xb0
	v_pk_mov_b32 v[2:3], s[24:25], s[24:25] op_sel:[0,1]
	v_mad_u64_u32 v[2:3], s[4:5], v4, s10, v[2:3]
	v_mad_i64_i32 v[4:5], s[4:5], v9, s10, v[2:3]
	v_add_co_u32_e64 v8, s[4:5], v4, v7
	v_addc_co_u32_e64 v9, s[4:5], 0, v5, s[4:5]
	v_mov_b32_e32 v122, s17
	v_add_co_u32_e64 v8, s[4:5], s16, v8
	v_addc_co_u32_e64 v9, s[4:5], v9, v122, s[4:5]
	v_add_co_u32_e64 v58, s[4:5], 16, v8
	v_addc_co_u32_e64 v23, s[4:5], 0, v9, s[4:5]
	v_add_co_u32_e64 v4, s[4:5], v4, v6
	v_addc_co_u32_e64 v5, s[4:5], 0, v5, s[4:5]
	v_add_co_u32_e64 v4, s[4:5], s16, v4
	v_addc_co_u32_e64 v5, s[4:5], v5, v122, s[4:5]
	v_add_co_u32_e64 v60, s[4:5], 48, v4
	v_addc_co_u32_e64 v25, s[4:5], 0, v5, s[4:5]
	v_mad_i64_i32 v[4:5], s[4:5], v10, s10, v[2:3]
	v_add_co_u32_e64 v8, s[4:5], v4, v7
	v_addc_co_u32_e64 v9, s[4:5], 0, v5, s[4:5]
	v_add_co_u32_e64 v8, s[4:5], s16, v8
	v_addc_co_u32_e64 v9, s[4:5], v9, v122, s[4:5]
	v_add_co_u32_e64 v62, s[4:5], 16, v8
	v_addc_co_u32_e64 v27, s[4:5], 0, v9, s[4:5]
	v_add_co_u32_e64 v4, s[4:5], v4, v6
	v_addc_co_u32_e64 v5, s[4:5], 0, v5, s[4:5]
	v_add_co_u32_e64 v4, s[4:5], s16, v4
	v_addc_co_u32_e64 v5, s[4:5], v5, v122, s[4:5]
	v_add_co_u32_e64 v64, s[4:5], 48, v4
	v_addc_co_u32_e64 v29, s[4:5], 0, v5, s[4:5]
	v_mad_i64_i32 v[4:5], s[4:5], v11, s10, v[2:3]
	v_add_co_u32_e64 v8, s[4:5], v4, v7
	v_addc_co_u32_e64 v9, s[4:5], 0, v5, s[4:5]
	v_add_co_u32_e64 v8, s[4:5], s16, v8
	v_addc_co_u32_e64 v9, s[4:5], v9, v122, s[4:5]
	v_add_co_u32_e64 v66, s[4:5], 16, v8
	v_addc_co_u32_e64 v31, s[4:5], 0, v9, s[4:5]
	v_add_co_u32_e64 v4, s[4:5], v4, v6
	v_addc_co_u32_e64 v5, s[4:5], 0, v5, s[4:5]
	v_add_co_u32_e64 v4, s[4:5], s16, v4
	v_addc_co_u32_e64 v5, s[4:5], v5, v122, s[4:5]
	v_add_co_u32_e64 v68, s[4:5], 48, v4
	v_addc_co_u32_e64 v33, s[4:5], 0, v5, s[4:5]
	v_mad_i64_i32 v[4:5], s[4:5], v12, s10, v[2:3]
	v_add_co_u32_e64 v8, s[4:5], v4, v7
	v_addc_co_u32_e64 v9, s[4:5], 0, v5, s[4:5]
	v_add_co_u32_e64 v8, s[4:5], s16, v8
	v_addc_co_u32_e64 v9, s[4:5], v9, v122, s[4:5]
	v_add_co_u32_e64 v70, s[4:5], 16, v8
	v_addc_co_u32_e64 v35, s[4:5], 0, v9, s[4:5]
	v_add_co_u32_e64 v4, s[4:5], v4, v6
	v_addc_co_u32_e64 v5, s[4:5], 0, v5, s[4:5]
	v_add_co_u32_e64 v4, s[4:5], s16, v4
	v_addc_co_u32_e64 v5, s[4:5], v5, v122, s[4:5]
	v_add_co_u32_e64 v72, s[4:5], 48, v4
	v_addc_co_u32_e64 v37, s[4:5], 0, v5, s[4:5]
	v_mad_i64_i32 v[4:5], s[4:5], v13, s10, v[2:3]
	v_add_co_u32_e64 v8, s[4:5], v4, v7
	v_addc_co_u32_e64 v9, s[4:5], 0, v5, s[4:5]
	v_add_co_u32_e64 v8, s[4:5], s16, v8
	v_addc_co_u32_e64 v9, s[4:5], v9, v122, s[4:5]
	v_add_co_u32_e64 v74, s[4:5], 16, v8
	v_addc_co_u32_e64 v39, s[4:5], 0, v9, s[4:5]
	v_add_co_u32_e64 v4, s[4:5], v4, v6
	v_addc_co_u32_e64 v5, s[4:5], 0, v5, s[4:5]
	v_add_co_u32_e64 v4, s[4:5], s16, v4
	v_addc_co_u32_e64 v5, s[4:5], v5, v122, s[4:5]
	v_add_co_u32_e64 v76, s[4:5], 48, v4
	v_addc_co_u32_e64 v41, s[4:5], 0, v5, s[4:5]
	v_mad_i64_i32 v[4:5], s[4:5], v14, s10, v[2:3]
	v_add_co_u32_e64 v8, s[4:5], v4, v7
	v_addc_co_u32_e64 v9, s[4:5], 0, v5, s[4:5]
	v_add_co_u32_e64 v8, s[4:5], s16, v8
	v_addc_co_u32_e64 v9, s[4:5], v9, v122, s[4:5]
	v_add_co_u32_e64 v78, s[4:5], 16, v8
	v_addc_co_u32_e64 v43, s[4:5], 0, v9, s[4:5]
	v_add_co_u32_e64 v4, s[4:5], v4, v6
	v_addc_co_u32_e64 v5, s[4:5], 0, v5, s[4:5]
	v_add_co_u32_e64 v4, s[4:5], s16, v4
	v_addc_co_u32_e64 v5, s[4:5], v5, v122, s[4:5]
	v_add_co_u32_e64 v80, s[4:5], 48, v4
	v_addc_co_u32_e64 v45, s[4:5], 0, v5, s[4:5]
	v_mad_i64_i32 v[4:5], s[4:5], v15, s10, v[2:3]
	v_add_co_u32_e64 v8, s[4:5], v4, v7
	v_addc_co_u32_e64 v9, s[4:5], 0, v5, s[4:5]
	v_add_co_u32_e64 v8, s[4:5], s16, v8
	v_addc_co_u32_e64 v9, s[4:5], v9, v122, s[4:5]
	v_add_co_u32_e64 v82, s[4:5], 16, v8
	v_addc_co_u32_e64 v47, s[4:5], 0, v9, s[4:5]
	v_add_co_u32_e64 v4, s[4:5], v4, v6
	v_addc_co_u32_e64 v5, s[4:5], 0, v5, s[4:5]
	v_add_co_u32_e64 v4, s[4:5], s16, v4
	v_addc_co_u32_e64 v5, s[4:5], v5, v122, s[4:5]
	v_add_co_u32_e64 v84, s[4:5], 48, v4
	v_addc_co_u32_e64 v49, s[4:5], 0, v5, s[4:5]
	v_mad_i64_i32 v[4:5], s[4:5], v16, s10, v[2:3]
	v_add_co_u32_e64 v8, s[4:5], v4, v7
	v_addc_co_u32_e64 v9, s[4:5], 0, v5, s[4:5]
	v_add_co_u32_e64 v8, s[4:5], s16, v8
	v_addc_co_u32_e64 v9, s[4:5], v9, v122, s[4:5]
	v_add_co_u32_e64 v86, s[4:5], 16, v8
	v_addc_co_u32_e64 v51, s[4:5], 0, v9, s[4:5]
	v_add_co_u32_e64 v4, s[4:5], v4, v6
	v_addc_co_u32_e64 v5, s[4:5], 0, v5, s[4:5]
	v_add_co_u32_e64 v4, s[4:5], s16, v4
	v_addc_co_u32_e64 v5, s[4:5], v5, v122, s[4:5]
	v_add_co_u32_e64 v88, s[4:5], 48, v4
	v_addc_co_u32_e64 v53, s[4:5], 0, v5, s[4:5]
	v_mad_i64_i32 v[4:5], s[4:5], v17, s10, v[2:3]
	v_add_co_u32_e64 v8, s[4:5], v4, v7
	v_addc_co_u32_e64 v9, s[4:5], 0, v5, s[4:5]
	v_add_co_u32_e64 v8, s[4:5], s16, v8
	v_addc_co_u32_e64 v9, s[4:5], v9, v122, s[4:5]
	v_add_co_u32_e64 v90, s[4:5], 16, v8
	v_addc_co_u32_e64 v57, s[4:5], 0, v9, s[4:5]
	v_add_co_u32_e64 v4, s[4:5], v4, v6
	v_addc_co_u32_e64 v5, s[4:5], 0, v5, s[4:5]
	v_add_co_u32_e64 v4, s[4:5], s16, v4
	v_addc_co_u32_e64 v5, s[4:5], v5, v122, s[4:5]
	v_add_co_u32_e64 v92, s[4:5], 48, v4
	v_addc_co_u32_e64 v59, s[4:5], 0, v5, s[4:5]
	v_mad_i64_i32 v[4:5], s[4:5], v18, s10, v[2:3]
	v_add_co_u32_e64 v8, s[4:5], v4, v7
	v_addc_co_u32_e64 v9, s[4:5], 0, v5, s[4:5]
	v_add_co_u32_e64 v8, s[4:5], s16, v8
	v_addc_co_u32_e64 v9, s[4:5], v9, v122, s[4:5]
	v_add_co_u32_e64 v94, s[4:5], 16, v8
	v_addc_co_u32_e64 v61, s[4:5], 0, v9, s[4:5]
	v_add_co_u32_e64 v4, s[4:5], v4, v6
	v_addc_co_u32_e64 v5, s[4:5], 0, v5, s[4:5]
	v_add_co_u32_e64 v4, s[4:5], s16, v4
	v_addc_co_u32_e64 v5, s[4:5], v5, v122, s[4:5]
	v_add_co_u32_e64 v96, s[4:5], 48, v4
	v_addc_co_u32_e64 v63, s[4:5], 0, v5, s[4:5]
	v_mad_i64_i32 v[4:5], s[4:5], v19, s10, v[2:3]
	v_add_co_u32_e64 v8, s[4:5], v4, v7
	v_addc_co_u32_e64 v9, s[4:5], 0, v5, s[4:5]
	v_add_co_u32_e64 v8, s[4:5], s16, v8
	v_addc_co_u32_e64 v9, s[4:5], v9, v122, s[4:5]
	v_add_co_u32_e64 v98, s[4:5], 16, v8
	v_addc_co_u32_e64 v65, s[4:5], 0, v9, s[4:5]
	v_add_co_u32_e64 v4, s[4:5], v4, v6
	v_addc_co_u32_e64 v5, s[4:5], 0, v5, s[4:5]
	v_add_co_u32_e64 v4, s[4:5], s16, v4
	v_addc_co_u32_e64 v5, s[4:5], v5, v122, s[4:5]
	v_add_co_u32_e64 v100, s[4:5], 48, v4
	v_addc_co_u32_e64 v67, s[4:5], 0, v5, s[4:5]
	v_mad_i64_i32 v[4:5], s[4:5], v20, s10, v[2:3]
	v_add_co_u32_e64 v8, s[4:5], v4, v7
	v_addc_co_u32_e64 v9, s[4:5], 0, v5, s[4:5]
	v_add_co_u32_e64 v8, s[4:5], s16, v8
	v_addc_co_u32_e64 v9, s[4:5], v9, v122, s[4:5]
	v_add_co_u32_e64 v102, s[4:5], 16, v8
	v_addc_co_u32_e64 v69, s[4:5], 0, v9, s[4:5]
	v_add_co_u32_e64 v4, s[4:5], v4, v6
	v_addc_co_u32_e64 v5, s[4:5], 0, v5, s[4:5]
	v_add_co_u32_e64 v4, s[4:5], s16, v4
	v_addc_co_u32_e64 v5, s[4:5], v5, v122, s[4:5]
	v_add_co_u32_e64 v104, s[4:5], 48, v4
	v_addc_co_u32_e64 v71, s[4:5], 0, v5, s[4:5]
	v_mad_i64_i32 v[4:5], s[4:5], v21, s10, v[2:3]
	v_add_co_u32_e64 v8, s[4:5], v4, v7
	v_addc_co_u32_e64 v9, s[4:5], 0, v5, s[4:5]
	v_add_co_u32_e64 v8, s[4:5], s16, v8
	v_addc_co_u32_e64 v9, s[4:5], v9, v122, s[4:5]
	v_add_co_u32_e64 v106, s[4:5], 16, v8
	v_addc_co_u32_e64 v73, s[4:5], 0, v9, s[4:5]
	v_add_co_u32_e64 v4, s[4:5], v4, v6
	v_addc_co_u32_e64 v5, s[4:5], 0, v5, s[4:5]
	v_add_co_u32_e64 v4, s[4:5], s16, v4
	v_addc_co_u32_e64 v5, s[4:5], v5, v122, s[4:5]
	v_add_co_u32_e64 v108, s[4:5], 48, v4
	v_addc_co_u32_e64 v75, s[4:5], 0, v5, s[4:5]
	v_mad_i64_i32 v[4:5], s[4:5], v77, s10, v[2:3]
	v_add_co_u32_e64 v8, s[4:5], v4, v7
	v_addc_co_u32_e64 v9, s[4:5], 0, v5, s[4:5]
	v_add_co_u32_e64 v8, s[4:5], s16, v8
	v_addc_co_u32_e64 v9, s[4:5], v9, v122, s[4:5]
	v_add_co_u32_e64 v110, s[4:5], 16, v8
	v_addc_co_u32_e64 v77, s[4:5], 0, v9, s[4:5]
	v_add_co_u32_e64 v4, s[4:5], v4, v6
	v_addc_co_u32_e64 v5, s[4:5], 0, v5, s[4:5]
	v_add_co_u32_e64 v4, s[4:5], s16, v4
	v_addc_co_u32_e64 v5, s[4:5], v5, v122, s[4:5]
	v_add_co_u32_e64 v112, s[4:5], 48, v4
	v_addc_co_u32_e64 v79, s[4:5], 0, v5, s[4:5]
	v_mad_i64_i32 v[4:5], s[4:5], v81, s10, v[2:3]
	v_add_co_u32_e64 v8, s[4:5], v4, v7
	v_addc_co_u32_e64 v9, s[4:5], 0, v5, s[4:5]
	v_add_co_u32_e64 v8, s[4:5], s16, v8
	v_addc_co_u32_e64 v9, s[4:5], v9, v122, s[4:5]
	v_add_co_u32_e64 v114, s[4:5], 16, v8
	v_addc_co_u32_e64 v81, s[4:5], 0, v9, s[4:5]
	v_add_co_u32_e64 v4, s[4:5], v4, v6
	v_addc_co_u32_e64 v5, s[4:5], 0, v5, s[4:5]
	v_add_co_u32_e64 v4, s[4:5], s16, v4
	v_addc_co_u32_e64 v5, s[4:5], v5, v122, s[4:5]
	v_add_co_u32_e64 v116, s[4:5], 48, v4
	v_addc_co_u32_e64 v85, s[4:5], 0, v5, s[4:5]
	v_mad_i64_i32 v[2:3], s[4:5], v83, s10, v[2:3]
	v_add_co_u32_e64 v4, s[4:5], v2, v7
	v_addc_co_u32_e64 v5, s[4:5], 0, v3, s[4:5]
	v_add_co_u32_e64 v4, s[4:5], s16, v4
	v_addc_co_u32_e64 v5, s[4:5], v5, v122, s[4:5]
	v_add_co_u32_e64 v118, s[4:5], 16, v4
	v_addc_co_u32_e64 v87, s[4:5], 0, v5, s[4:5]
	;; [unrolled: 2-line block ×3, first 2 shown]
	v_add_co_u32_e64 v2, s[4:5], s16, v2
	s_ashr_i32 s27, s8, 31
	v_addc_co_u32_e64 v3, s[4:5], v3, v122, s[4:5]
	s_add_u32 s6, s18, 0x90
	v_add_co_u32_e64 v120, s[4:5], 48, v2
	s_addc_u32 s7, s19, 0
	v_addc_co_u32_e64 v89, s[4:5], 0, v3, s[4:5]
	s_add_u32 s4, s16, s24
	s_addc_u32 s5, s17, s25
	v_pk_mov_b32 v[2:3], s[4:5], s[4:5] op_sel:[0,1]
	v_mad_i64_i32 v[124:125], s[4:5], v91, s10, v[2:3]
	v_mad_i64_i32 v[2:3], s[4:5], v95, s10, 0
	v_mov_b32_e32 v4, 0xb0
	v_mad_i64_i32 v[2:3], s[4:5], s23, v4, v[2:3]
	v_lshlrev_b32_e32 v5, 2, v93
	v_add_co_u32_e64 v6, s[4:5], v2, v5
	v_addc_co_u32_e64 v7, s[4:5], 0, v3, s[4:5]
	v_add_co_u32_e64 v6, s[4:5], s16, v6
	v_addc_co_u32_e64 v7, s[4:5], v7, v122, s[4:5]
	v_add_co_u32_e64 v126, s[4:5], 4, v6
	v_cndmask_b32_e64 v6, 0, 1, vcc
	v_lshlrev_b32_e32 v6, 2, v6
	v_or_b32_e32 v2, v2, v6
	v_add_co_u32_e32 v2, vcc, s16, v2
	v_addc_co_u32_e32 v3, vcc, v3, v122, vcc
	v_add_co_u32_e32 v128, vcc, 4, v2
	v_addc_co_u32_e64 v91, s[4:5], 0, v7, s[4:5]
	v_addc_co_u32_e32 v93, vcc, 0, v3, vcc
	v_mad_i64_i32 v[2:3], s[4:5], v97, s10, 0
	v_mad_i64_i32 v[2:3], s[4:5], s23, v4, v[2:3]
	v_add_co_u32_e32 v4, vcc, v2, v5
	v_addc_co_u32_e32 v5, vcc, 0, v3, vcc
	v_add_co_u32_e32 v4, vcc, s16, v4
	v_addc_co_u32_e32 v5, vcc, v5, v122, vcc
	;; [unrolled: 2-line block ×3, first 2 shown]
	v_or_b32_e32 v2, v2, v6
	v_add_co_u32_e32 v2, vcc, s16, v2
	v_addc_co_u32_e32 v3, vcc, v3, v122, vcc
	v_mul_lo_u32 v56, v1, s12
	v_add_co_u32_e32 v132, vcc, 4, v2
	s_mov_b32 s23, s22
	v_mov_b32_e32 v99, 0
	v_or_b32_e32 v107, 1, v105
	v_cmp_gt_u32_e64 s[0:1], 4, v103
	v_mul_u32_u24_e32 v131, 0x104, v103
	v_cmp_gt_i32_e64 s[2:3], s11, v1
	v_ashrrev_i32_e32 v1, 31, v56
	v_addc_co_u32_e32 v97, vcc, 0, v3, vcc
	s_movk_i32 s10, 0x80
	v_pk_mov_b32 v[122:123], s[22:23], s[22:23] op_sel:[0,1]
	s_mov_b32 s16, 0x10101010
	s_mov_b32 s17, 0x30303030
	v_add_u32_e32 v151, v134, v135
	v_add_u32_e32 v152, v136, v137
	v_mov_b32_e32 v83, 0
	s_branch .LBB194_6
.LBB194_4:                              ;   in Loop: Header=BB194_6 Depth=1
	s_or_b64 exec, exec, s[4:5]
	s_waitcnt lgkmcnt(0)
	s_barrier
	ds_read_b128 v[18:21], v121
	ds_read_b128 v[14:17], v121 offset:16
	ds_read_b128 v[2:5], v127 offset:36944
	ds_read2_b32 v[134:135], v131 offset0:32 offset1:33
	ds_read_b128 v[10:13], v121 offset:32
	ds_read_b128 v[6:9], v121 offset:48
	ds_read_b32 v153, v133
	ds_read2_b32 v[136:137], v131 offset0:34 offset1:35
	v_mov_b32_e32 v161, 0
	s_waitcnt lgkmcnt(4)
	v_dot4c_i32_i8_e32 v161, v134, v18
	v_dot4c_i32_i8_e32 v161, v135, v19
	ds_read2_b32 v[138:139], v131 offset0:36 offset1:37
	ds_read2_b32 v[140:141], v131 offset0:38 offset1:39
	;; [unrolled: 1-line block ×3, first 2 shown]
	s_waitcnt lgkmcnt(3)
	v_dot4c_i32_i8_e32 v161, v136, v20
	v_dot4c_i32_i8_e32 v161, v137, v21
	ds_read2_b32 v[136:137], v131 offset0:42 offset1:43
	v_mov_b32_e32 v172, 0
	s_waitcnt lgkmcnt(3)
	v_dot4c_i32_i8_e32 v161, v138, v14
	s_waitcnt lgkmcnt(1)
	v_dot4c_i32_i8_e32 v172, v142, v10
	v_dot4c_i32_i8_e32 v161, v139, v15
	v_dot4c_i32_i8_e32 v172, v143, v11
	v_dot4c_i32_i8_e32 v161, v140, v16
	s_waitcnt lgkmcnt(0)
	v_dot4c_i32_i8_e32 v172, v136, v12
	v_add_u32_e32 v136, 0x2100, v131
	ds_read2_b32 v[134:135], v129 offset0:1 offset1:3
	v_dot4c_i32_i8_e32 v161, v141, v17
	ds_read2_b32 v[138:139], v131 offset0:44 offset1:45
	ds_read2_b32 v[140:141], v131 offset0:46 offset1:47
	ds_read2_b32 v[142:143], v131 offset0:48 offset1:49
	v_dot4c_i32_i8_e32 v172, v137, v13
	ds_read2_b32 v[154:155], v131 offset0:58 offset1:59
	ds_read2_b32 v[156:157], v131 offset0:60 offset1:61
	;; [unrolled: 1-line block ×3, first 2 shown]
	ds_read2_b32 v[136:137], v136 offset1:1
	v_mov_b32_e32 v168, 0
	v_cvt_f32_f16_e32 v160, v153
	v_cvt_f32_f16_sdwa v162, v153 dst_sel:DWORD dst_unused:UNUSED_PAD src0_sel:WORD_1
	ds_read_b32 v173, v146 offset:128
	ds_read_b32 v174, v148 offset:256
	;; [unrolled: 1-line block ×3, first 2 shown]
	s_waitcnt lgkmcnt(3)
	v_dot4c_i32_i8_e32 v168, v136, v18
	v_add_u32_e32 v136, 0x2108, v131
	v_dot4c_i32_i8_e32 v168, v137, v19
	ds_read2_b32 v[136:137], v136 offset1:1
	v_dot4c_i32_i8_e32 v172, v138, v6
	v_dot4c_i32_i8_e32 v172, v139, v7
	;; [unrolled: 1-line block ×3, first 2 shown]
	v_add_u32_e32 v138, 0x2110, v131
	v_dot4c_i32_i8_e32 v172, v141, v9
	v_add_u32_e32 v140, 0x2118, v131
	v_add_u32_e32 v141, 0x2120, v131
	ds_read2_b32 v[138:139], v138 offset1:1
	ds_read2_b32 v[164:165], v140 offset1:1
	;; [unrolled: 1-line block ×3, first 2 shown]
	s_waitcnt lgkmcnt(3)
	v_dot4c_i32_i8_e32 v168, v136, v20
	ds_read2_b32 v[140:141], v145 offset0:1 offset1:3
	v_dot4c_i32_i8_e32 v168, v137, v21
	s_waitcnt lgkmcnt(3)
	v_dot4c_i32_i8_e32 v168, v138, v14
	v_dot4c_i32_i8_e32 v168, v139, v15
	s_waitcnt lgkmcnt(2)
	v_dot4c_i32_i8_e32 v168, v164, v16
	v_dot4c_i32_i8_e32 v168, v165, v17
	s_waitcnt lgkmcnt(0)
	v_and_b32_e32 v136, 0xff, v140
	v_add_u32_e32 v138, 0x2130, v131
	v_add_u32_e32 v164, 0x2138, v131
	v_mul_lo_u32 v136, v168, v136
	v_cvt_f32_i32_e32 v176, v136
	v_add_u32_e32 v136, 0x2128, v131
	ds_read2_b32 v[136:137], v136 offset1:1
	v_mov_b32_e32 v168, 0
	v_dot4c_i32_i8_e32 v168, v166, v10
	v_add_u32_e32 v166, 0x4180, v131
	v_dot4c_i32_i8_e32 v168, v167, v11
	ds_read2_b32 v[138:139], v138 offset1:1
	ds_read2_b32 v[164:165], v164 offset1:1
	;; [unrolled: 1-line block ×3, first 2 shown]
	s_waitcnt lgkmcnt(3)
	v_dot4c_i32_i8_e32 v168, v136, v12
	v_dot4c_i32_i8_e32 v168, v137, v13
	s_waitcnt lgkmcnt(2)
	v_dot4c_i32_i8_e32 v168, v138, v6
	v_dot4c_i32_i8_e32 v168, v139, v7
	;; [unrolled: 3-line block ×3, first 2 shown]
	v_bfe_u32 v136, v140, 8, 8
	v_mov_b32_e32 v170, 0
	s_waitcnt lgkmcnt(0)
	v_dot4c_i32_i8_e32 v170, v166, v18
	v_mul_lo_u32 v136, v168, v136
	v_cvt_f32_i32_e32 v178, v136
	v_add_u32_e32 v136, 0x4188, v131
	ds_read2_b32 v[136:137], v136 offset1:1
	v_add_u32_e32 v138, 0x4190, v131
	v_add_u32_e32 v168, 0x41a0, v131
	v_dot4c_i32_i8_e32 v170, v167, v19
	v_add_u32_e32 v139, 0x4198, v131
	ds_read2_b32 v[164:165], v138 offset1:1
	ds_read2_b32 v[166:167], v139 offset1:1
	;; [unrolled: 1-line block ×3, first 2 shown]
	s_waitcnt lgkmcnt(3)
	v_dot4c_i32_i8_e32 v170, v136, v20
	ds_read2_b32 v[138:139], v147 offset0:1 offset1:3
	v_dot4c_i32_i8_e32 v170, v137, v21
	s_waitcnt lgkmcnt(3)
	v_dot4c_i32_i8_e32 v170, v164, v14
	v_dot4c_i32_i8_e32 v170, v165, v15
	s_waitcnt lgkmcnt(2)
	v_dot4c_i32_i8_e32 v170, v166, v16
	v_dot4c_i32_i8_e32 v170, v167, v17
	s_waitcnt lgkmcnt(0)
	v_and_b32_e32 v136, 0xff, v138
	v_add_u32_e32 v164, 0x41b0, v131
	v_add_u32_e32 v166, 0x41b8, v131
	v_mul_lo_u32 v136, v170, v136
	v_cvt_f32_i32_e32 v181, v136
	v_add_u32_e32 v136, 0x41a8, v131
	ds_read2_b32 v[136:137], v136 offset1:1
	v_mov_b32_e32 v170, 0
	v_dot4c_i32_i8_e32 v170, v168, v10
	v_add_u32_e32 v168, 0x6200, v131
	v_dot4c_i32_i8_e32 v170, v169, v11
	ds_read2_b32 v[164:165], v164 offset1:1
	ds_read2_b32 v[166:167], v166 offset1:1
	;; [unrolled: 1-line block ×3, first 2 shown]
	s_waitcnt lgkmcnt(3)
	v_dot4c_i32_i8_e32 v170, v136, v12
	v_dot4c_i32_i8_e32 v170, v137, v13
	s_waitcnt lgkmcnt(2)
	v_dot4c_i32_i8_e32 v170, v164, v6
	v_dot4c_i32_i8_e32 v170, v165, v7
	;; [unrolled: 3-line block ×3, first 2 shown]
	v_bfe_u32 v136, v138, 8, 8
	v_add_u32_e32 v137, 0x6218, v131
	v_mov_b32_e32 v190, 0
	v_mul_lo_u32 v136, v170, v136
	v_mov_b32_e32 v170, 0
	s_waitcnt lgkmcnt(0)
	v_dot4c_i32_i8_e32 v170, v168, v18
	v_add_u32_e32 v18, 0x6208, v131
	v_dot4c_i32_i8_e32 v170, v169, v19
	ds_read2_b32 v[18:19], v18 offset1:1
	v_cvt_f32_i32_e32 v183, v136
	v_add_u32_e32 v136, 0x6210, v131
	v_add_u32_e32 v168, 0x6220, v131
	ds_read2_b32 v[164:165], v136 offset1:1
	ds_read2_b32 v[166:167], v137 offset1:1
	;; [unrolled: 1-line block ×3, first 2 shown]
	s_waitcnt lgkmcnt(3)
	v_dot4c_i32_i8_e32 v170, v18, v20
	ds_read2_b32 v[136:137], v149 offset0:1 offset1:3
	v_dot4c_i32_i8_e32 v170, v19, v21
	s_waitcnt lgkmcnt(3)
	v_dot4c_i32_i8_e32 v170, v164, v14
	v_mov_b32_e32 v18, 0
	v_dot4c_i32_i8_e32 v170, v165, v15
	s_waitcnt lgkmcnt(1)
	v_dot4c_i32_i8_e32 v18, v168, v10
	v_add_u32_e32 v10, 0x6228, v131
	v_dot4c_i32_i8_e32 v170, v166, v16
	v_dot4c_i32_i8_e32 v18, v169, v11
	ds_read2_b32 v[10:11], v10 offset1:1
	v_dot4c_i32_i8_e32 v170, v167, v17
	s_waitcnt lgkmcnt(1)
	v_and_b32_e32 v14, 0xff, v136
	v_add_u32_e32 v16, 0x6238, v131
	v_add_u32_e32 v19, 0x2140, v131
	v_mul_lo_u32 v14, v170, v14
	v_cvt_f32_i32_e32 v186, v14
	v_add_u32_e32 v14, 0x6230, v131
	ds_read2_b32 v[14:15], v14 offset1:1
	ds_read2_b32 v[16:17], v16 offset1:1
	;; [unrolled: 1-line block ×3, first 2 shown]
	s_waitcnt lgkmcnt(3)
	v_dot4c_i32_i8_e32 v18, v10, v12
	v_dot4c_i32_i8_e32 v18, v11, v13
	s_waitcnt lgkmcnt(2)
	v_dot4c_i32_i8_e32 v18, v14, v6
	v_dot4c_i32_i8_e32 v18, v15, v7
	;; [unrolled: 3-line block ×3, first 2 shown]
	v_bfe_u32 v6, v136, 8, 8
	v_lshrrev_b32_e32 v163, 24, v134
	v_cvt_f32_ubyte0_e32 v177, v141
	v_mul_lo_u32 v6, v18, v6
	v_cvt_f32_i32_e32 v188, v6
	ds_read_b128 v[18:21], v121 offset:64
	ds_read_b128 v[14:17], v121 offset:80
	;; [unrolled: 1-line block ×4, first 2 shown]
	ds_read2_b32 v[166:167], v131 offset0:50 offset1:51
	s_waitcnt lgkmcnt(4)
	v_dot4c_i32_i8_e32 v190, v142, v18
	v_dot4c_i32_i8_e32 v190, v143, v19
	ds_read2_b32 v[142:143], v131 offset0:52 offset1:53
	ds_read2_b32 v[168:169], v131 offset0:54 offset1:55
	;; [unrolled: 1-line block ×3, first 2 shown]
	v_cvt_f32_ubyte0_e32 v182, v139
	s_waitcnt lgkmcnt(3)
	v_dot4c_i32_i8_e32 v190, v166, v20
	v_mov_b32_e32 v166, 0
	v_dot4c_i32_i8_e32 v190, v167, v21
	s_waitcnt lgkmcnt(0)
	v_dot4c_i32_i8_e32 v166, v170, v10
	v_dot4c_i32_i8_e32 v166, v171, v11
	;; [unrolled: 1-line block ×10, first 2 shown]
	v_cvt_f32_f16_e32 v155, v4
	v_cvt_f32_f16_sdwa v143, v4 dst_sel:DWORD dst_unused:UNUSED_PAD src0_sel:WORD_1
	v_and_b32_e32 v4, 0xff, v134
	v_bfe_u32 v156, v134, 16, 8
	v_dot4c_i32_i8_e32 v166, v158, v8
	v_mul_lo_u32 v4, v161, v4
	v_mul_lo_u32 v156, v190, v156
	v_dot4c_i32_i8_e32 v166, v159, v9
	v_cvt_f32_f16_e32 v154, v2
	v_cvt_f32_i32_e32 v159, v156
	v_cvt_f32_i32_e32 v158, v4
	v_bfe_u32 v134, v134, 8, 8
	v_mul_lo_u32 v134, v172, v134
	v_cvt_f32_f16_sdwa v142, v2 dst_sel:DWORD dst_unused:UNUSED_PAD src0_sel:WORD_1
	v_pk_fma_f32 v[158:159], v[154:155], v[158:159], 0 op_sel_hi:[1,1,0]
	v_mul_lo_u32 v154, v166, v163
	v_cvt_f32_f16_e32 v157, v5
	v_cvt_f32_f16_e32 v156, v3
	v_cvt_f32_i32_e32 v167, v154
	v_cvt_f32_i32_e32 v166, v134
	v_cvt_f32_f16_sdwa v5, v5 dst_sel:DWORD dst_unused:UNUSED_PAD src0_sel:WORD_1
	v_cvt_f32_f16_sdwa v4, v3 dst_sel:DWORD dst_unused:UNUSED_PAD src0_sel:WORD_1
	v_cvt_f32_ubyte2_e32 v169, v135
	v_cvt_f32_ubyte0_e32 v168, v135
	v_cvt_f32_ubyte0_e32 v187, v137
	v_pk_fma_f32 v[168:169], v[142:143], v[168:169], 0 op_sel_hi:[1,1,0]
	v_pk_fma_f32 v[158:159], v[156:157], v[166:167], v[158:159]
	v_cvt_f32_ubyte3_e32 v167, v135
	v_cvt_f32_ubyte1_e32 v166, v135
	v_fma_mix_f32 v154, v2, v181, 0 op_sel_hi:[1,0,0]
	v_cvt_f32_ubyte1_e32 v189, v137
	v_pk_fma_f32 v[134:135], v[4:5], v[166:167], v[168:169]
	v_fma_mix_f32 v4, v2, v176, 0 op_sel_hi:[1,0,0]
	v_fma_mix_f32 v142, v2, v177, 0 op_sel:[1,0,0] op_sel_hi:[1,0,0]
	v_fma_mix_f32 v156, v2, v182, 0 op_sel:[1,0,0] op_sel_hi:[1,0,0]
	v_fma_mix_f32 v166, v3, v183, v154 op_sel_hi:[1,0,0]
	v_fma_mix_f32 v154, v2, v186, 0 op_sel_hi:[1,0,0]
	v_fma_mix_f32 v2, v2, v187, 0 op_sel:[1,0,0] op_sel_hi:[1,0,0]
	v_cvt_f32_ubyte1_e32 v179, v141
	v_cvt_f32_ubyte1_e32 v184, v139
	v_fma_mix_f32 v169, v3, v189, v2 op_sel:[1,0,0] op_sel_hi:[1,0,0]
	v_add_u32_e32 v2, 0x2148, v131
	v_fma_mix_f32 v4, v3, v178, v4 op_sel_hi:[1,0,0]
	v_fma_mix_f32 v142, v3, v179, v142 op_sel:[1,0,0] op_sel_hi:[1,0,0]
	v_fma_mix_f32 v167, v3, v184, v156 op_sel:[1,0,0] op_sel_hi:[1,0,0]
	v_fma_mix_f32 v168, v3, v188, v154 op_sel_hi:[1,0,0]
	ds_read2_b32 v[2:3], v2 offset1:1
	v_pk_mul_f32 v[134:135], v[134:135], v[162:163] op_sel_hi:[1,0]
	v_mov_b32_e32 v154, 0
	v_pk_fma_f32 v[134:135], v[158:159], v[160:161], v[134:135] op_sel_hi:[1,0,1] neg_lo:[0,0,1] neg_hi:[0,0,1]
	v_dot4c_i32_i8_e32 v154, v164, v18
	v_add_u32_e32 v156, 0x2150, v131
	v_add_u32_e32 v160, 0x2158, v131
	;; [unrolled: 1-line block ×3, first 2 shown]
	v_dot4c_i32_i8_e32 v154, v165, v19
	ds_read2_b32 v[158:159], v156 offset1:1
	ds_read2_b32 v[160:161], v160 offset1:1
	;; [unrolled: 1-line block ×3, first 2 shown]
	s_waitcnt lgkmcnt(3)
	v_dot4c_i32_i8_e32 v154, v2, v20
	v_dot4c_i32_i8_e32 v154, v3, v21
	s_waitcnt lgkmcnt(2)
	v_dot4c_i32_i8_e32 v154, v158, v14
	v_dot4c_i32_i8_e32 v154, v159, v15
	;; [unrolled: 3-line block ×3, first 2 shown]
	v_bfe_u32 v2, v140, 16, 8
	v_lshrrev_b32_e32 v175, 24, v140
	v_mov_b32_e32 v140, 0
	v_mul_lo_u32 v2, v154, v2
	v_add_u32_e32 v154, 0x2168, v131
	ds_read2_b32 v[158:159], v154 offset1:1
	s_waitcnt lgkmcnt(1)
	v_dot4c_i32_i8_e32 v140, v162, v10
	v_add_u32_e32 v156, 0x2170, v131
	v_add_u32_e32 v162, 0x2178, v131
	v_dot4c_i32_i8_e32 v140, v163, v11
	v_add_u32_e32 v154, 0x41c0, v131
	ds_read2_b32 v[160:161], v156 offset1:1
	ds_read2_b32 v[162:163], v162 offset1:1
	;; [unrolled: 1-line block ×3, first 2 shown]
	s_waitcnt lgkmcnt(3)
	v_dot4c_i32_i8_e32 v140, v158, v12
	v_dot4c_i32_i8_e32 v140, v159, v13
	s_waitcnt lgkmcnt(2)
	v_dot4c_i32_i8_e32 v140, v160, v6
	v_dot4c_i32_i8_e32 v140, v161, v7
	s_waitcnt lgkmcnt(1)
	v_dot4c_i32_i8_e32 v140, v162, v8
	v_cvt_f32_f16_sdwa v159, v173 dst_sel:DWORD dst_unused:UNUSED_PAD src0_sel:WORD_1
	v_dot4c_i32_i8_e32 v140, v163, v9
	v_cvt_f32_i32_e32 v2, v2
	v_cvt_f32_f16_e32 v158, v173
	v_mul_f32_e32 v142, v142, v159
	v_mul_lo_u32 v140, v140, v175
	v_cvt_f32_i32_e32 v140, v140
	v_cvt_f32_ubyte2_e32 v3, v141
	v_fma_mix_f32 v161, v4, v173, -v142 op_sel_hi:[0,1,0]
	v_mov_b32_e32 v142, v155
	v_cvt_f32_ubyte3_e32 v141, v141
	v_pk_fma_f32 v[2:3], v[142:143], v[2:3], 0 op_sel_hi:[1,1,0]
	v_mov_b32_e32 v4, v157
	v_pk_fma_f32 v[2:3], v[4:5], v[140:141], v[2:3]
	v_pk_mul_f32 v[140:141], v[2:3], v[158:159]
	v_mov_b32_e32 v141, v140
	v_mov_b32_e32 v160, v134
	v_pk_fma_f32 v[2:3], v[2:3], v[158:159], v[140:141] neg_lo:[1,0,0] neg_hi:[1,0,0]
	v_pk_add_f32 v[122:123], v[122:123], v[160:161]
	v_mov_b32_e32 v2, v135
	v_pk_add_f32 v[122:123], v[122:123], v[2:3]
	v_add_u32_e32 v2, 0x41c8, v131
	ds_read2_b32 v[2:3], v2 offset1:1
	v_mov_b32_e32 v156, 0
	s_waitcnt lgkmcnt(1)
	v_dot4c_i32_i8_e32 v156, v164, v18
	v_add_u32_e32 v134, 0x41d0, v131
	v_add_u32_e32 v140, 0x41d8, v131
	;; [unrolled: 1-line block ×3, first 2 shown]
	v_dot4c_i32_i8_e32 v156, v165, v19
	ds_read2_b32 v[134:135], v134 offset1:1
	ds_read2_b32 v[140:141], v140 offset1:1
	ds_read2_b32 v[154:155], v154 offset1:1
	s_waitcnt lgkmcnt(3)
	v_dot4c_i32_i8_e32 v156, v2, v20
	v_dot4c_i32_i8_e32 v156, v3, v21
	s_waitcnt lgkmcnt(2)
	v_dot4c_i32_i8_e32 v156, v134, v14
	v_add_u32_e32 v134, 0x41e8, v131
	v_dot4c_i32_i8_e32 v156, v135, v15
	ds_read2_b32 v[134:135], v134 offset1:1
	s_waitcnt lgkmcnt(2)
	v_dot4c_i32_i8_e32 v156, v140, v16
	v_lshrrev_b32_e32 v180, 24, v138
	v_dot4c_i32_i8_e32 v156, v141, v17
	v_bfe_u32 v2, v138, 16, 8
	v_mov_b32_e32 v138, 0
	s_waitcnt lgkmcnt(1)
	v_dot4c_i32_i8_e32 v138, v154, v10
	v_mul_lo_u32 v2, v156, v2
	v_add_u32_e32 v140, 0x41f0, v131
	v_add_u32_e32 v154, 0x41f8, v131
	;; [unrolled: 1-line block ×3, first 2 shown]
	v_dot4c_i32_i8_e32 v138, v155, v11
	ds_read2_b32 v[140:141], v140 offset1:1
	ds_read2_b32 v[154:155], v154 offset1:1
	;; [unrolled: 1-line block ×3, first 2 shown]
	s_waitcnt lgkmcnt(3)
	v_dot4c_i32_i8_e32 v138, v134, v12
	v_dot4c_i32_i8_e32 v138, v135, v13
	s_waitcnt lgkmcnt(2)
	v_dot4c_i32_i8_e32 v138, v140, v6
	v_dot4c_i32_i8_e32 v138, v141, v7
	;; [unrolled: 3-line block ×3, first 2 shown]
	v_cvt_f32_i32_e32 v2, v2
	v_cvt_f32_f16_sdwa v135, v174 dst_sel:DWORD dst_unused:UNUSED_PAD src0_sel:WORD_1
	v_cvt_f32_ubyte2_e32 v3, v139
	v_mul_lo_u32 v134, v138, v180
	v_cvt_f32_i32_e32 v138, v134
	v_cvt_f32_f16_e32 v134, v174
	v_cvt_f32_ubyte3_e32 v139, v139
	v_pk_fma_f32 v[2:3], v[142:143], v[2:3], 0 op_sel_hi:[1,1,0]
	v_mul_f32_e32 v140, v167, v135
	v_pk_fma_f32 v[2:3], v[4:5], v[138:139], v[2:3]
	v_fma_mix_f32 v140, v166, v174, -v140 op_sel_hi:[0,1,0]
	v_pk_mul_f32 v[2:3], v[2:3], v[134:135]
	v_add_f32_e32 v99, v99, v140
	v_sub_f32_e32 v2, v2, v3
	v_add_f32_e32 v99, v99, v2
	v_add_u32_e32 v2, 0x6248, v131
	ds_read2_b32 v[2:3], v2 offset1:1
	v_mov_b32_e32 v140, 0
	s_waitcnt lgkmcnt(1)
	v_dot4c_i32_i8_e32 v140, v156, v18
	v_add_u32_e32 v18, 0x6250, v131
	v_add_u32_e32 v134, 0x6258, v131
	;; [unrolled: 1-line block ×3, first 2 shown]
	v_dot4c_i32_i8_e32 v140, v157, v19
	ds_read2_b32 v[18:19], v18 offset1:1
	ds_read2_b32 v[134:135], v134 offset1:1
	;; [unrolled: 1-line block ×3, first 2 shown]
	s_waitcnt lgkmcnt(3)
	v_dot4c_i32_i8_e32 v140, v2, v20
	v_dot4c_i32_i8_e32 v140, v3, v21
	s_waitcnt lgkmcnt(2)
	v_dot4c_i32_i8_e32 v140, v18, v14
	v_mov_b32_e32 v18, 0
	s_waitcnt lgkmcnt(0)
	v_dot4c_i32_i8_e32 v18, v138, v10
	v_add_u32_e32 v10, 0x6268, v131
	v_dot4c_i32_i8_e32 v18, v139, v11
	ds_read2_b32 v[10:11], v10 offset1:1
	v_add_u32_e32 v14, 0x6270, v131
	v_dot4c_i32_i8_e32 v140, v19, v15
	ds_read2_b32 v[14:15], v14 offset1:1
	v_dot4c_i32_i8_e32 v140, v134, v16
	v_add_u32_e32 v16, 0x6278, v131
	v_dot4c_i32_i8_e32 v140, v135, v17
	ds_read2_b32 v[16:17], v16 offset1:1
	s_waitcnt lgkmcnt(2)
	v_dot4c_i32_i8_e32 v18, v10, v12
	v_dot4c_i32_i8_e32 v18, v11, v13
	s_waitcnt lgkmcnt(1)
	v_dot4c_i32_i8_e32 v18, v14, v6
	v_dot4c_i32_i8_e32 v18, v15, v7
	v_bfe_u32 v2, v136, 16, 8
	s_waitcnt lgkmcnt(0)
	v_dot4c_i32_i8_e32 v18, v16, v8
	v_lshrrev_b32_e32 v185, 24, v136
	v_mul_lo_u32 v2, v140, v2
	v_dot4c_i32_i8_e32 v18, v17, v9
	v_cvt_f32_i32_e32 v2, v2
	v_cvt_f32_f16_sdwa v7, v153 dst_sel:DWORD dst_unused:UNUSED_PAD src0_sel:WORD_1
	v_cvt_f32_ubyte2_e32 v3, v137
	v_mul_lo_u32 v6, v18, v185
	v_cvt_f32_i32_e32 v8, v6
	v_cvt_f32_f16_e32 v6, v153
	v_cvt_f32_ubyte3_e32 v9, v137
	v_pk_fma_f32 v[2:3], v[142:143], v[2:3], 0 op_sel_hi:[1,1,0]
	v_mul_f32_e32 v10, v169, v7
	v_pk_fma_f32 v[2:3], v[4:5], v[8:9], v[2:3]
	v_fma_mix_f32 v10, v168, v153, -v10 op_sel_hi:[0,1,0]
	v_pk_mul_f32 v[2:3], v[2:3], v[6:7]
	v_add_f32_e32 v10, v83, v10
	v_sub_f32_e32 v2, v2, v3
	v_add_f32_e32 v83, v10, v2
	s_barrier
.LBB194_5:                              ;   in Loop: Header=BB194_6 Depth=1
	v_add_co_u32_e32 v58, vcc, 0xb0, v58
	v_addc_co_u32_e32 v23, vcc, 0, v23, vcc
	v_add_co_u32_e32 v60, vcc, 0xb0, v60
	v_addc_co_u32_e32 v25, vcc, 0, v25, vcc
	;; [unrolled: 2-line block ×36, first 2 shown]
	s_add_i32 s26, s26, -1
	s_addk_i32 s10, 0x100
	v_add_co_u32_e32 v132, vcc, 0xb0, v132
	v_add_u32_e32 v103, 8, v103
	v_add_u32_e32 v144, 8, v144
	;; [unrolled: 1-line block ×3, first 2 shown]
	s_cmp_eq_u32 s26, 0
	v_addc_co_u32_e32 v97, vcc, 0, v97, vcc
	s_cbranch_scc1 .LBB194_19
.LBB194_6:                              ; =>This Inner Loop Header: Depth=1
	v_mov_b32_e32 v6, s27
	v_add_co_u32_e32 v2, vcc, s8, v60
	v_addc_co_u32_e32 v3, vcc, v25, v6, vcc
	global_load_dword v7, v[2:3], off
	v_add_co_u32_e32 v2, vcc, s8, v58
	v_addc_co_u32_e32 v3, vcc, v23, v6, vcc
	global_load_dword v8, v[2:3], off
	v_add_co_u32_e32 v2, vcc, s8, v64
	v_addc_co_u32_e32 v3, vcc, v29, v6, vcc
	v_add_co_u32_e32 v4, vcc, s8, v62
	v_addc_co_u32_e32 v5, vcc, v27, v6, vcc
	global_load_dword v9, v[2:3], off
	v_add_co_u32_e32 v2, vcc, s8, v68
	v_addc_co_u32_e32 v3, vcc, v33, v6, vcc
	global_load_dword v10, v[4:5], off
	;; [unrolled: 3-line block ×13, first 2 shown]
	s_add_i32 s4, s10, 0xffffff80
	global_load_dword v4, v[4:5], off
	s_cmp_lt_i32 s4, s9
	s_waitcnt vmcnt(15)
	v_lshrrev_b32_e32 v2, 4, v7
	v_and_b32_e32 v135, 0xf0f0f0f, v2
	v_add_co_u32_e32 v2, vcc, s8, v92
	v_addc_co_u32_e32 v3, vcc, v59, v6, vcc
	global_load_dword v5, v[2:3], off
	v_add_co_u32_e32 v2, vcc, s8, v90
	v_addc_co_u32_e32 v3, vcc, v57, v6, vcc
	global_load_dword v2, v[2:3], off
	v_and_b32_e32 v134, 0xf0f0f0f, v7
	s_waitcnt vmcnt(16)
	v_ashrrev_i32_e32 v7, v105, v8
	v_lshlrev_b32_e32 v3, 4, v7
	v_ashrrev_i32_e32 v7, v107, v8
	v_lshlrev_b32_e32 v7, 4, v7
	v_and_or_b32 v3, v3, s16, v134
	v_and_or_b32 v7, v7, s16, v135
	ds_write2_b32 v22, v3, v7 offset1:8
	s_waitcnt vmcnt(15)
	v_and_b32_e32 v3, 0xf0f0f0f, v9
	v_lshrrev_b32_e32 v7, 4, v9
	s_waitcnt vmcnt(14)
	v_ashrrev_i32_e32 v8, v105, v10
	v_ashrrev_i32_e32 v9, v107, v10
	v_and_b32_e32 v7, 0xf0f0f0f, v7
	v_lshlrev_b32_e32 v8, 4, v8
	v_lshlrev_b32_e32 v9, 4, v9
	v_and_or_b32 v3, v8, s16, v3
	v_and_or_b32 v7, v9, s16, v7
	ds_write2_b32 v24, v3, v7 offset1:8
	s_waitcnt vmcnt(13)
	v_lshrrev_b32_e32 v7, 4, v11
	s_waitcnt vmcnt(12)
	v_ashrrev_i32_e32 v8, v105, v12
	v_ashrrev_i32_e32 v9, v107, v12
	v_and_b32_e32 v3, 0xf0f0f0f, v11
	v_and_b32_e32 v7, 0xf0f0f0f, v7
	v_lshlrev_b32_e32 v8, 4, v8
	v_lshlrev_b32_e32 v9, 4, v9
	v_and_or_b32 v3, v8, s16, v3
	v_and_or_b32 v7, v9, s16, v7
	ds_write2_b32 v26, v3, v7 offset1:8
	s_waitcnt vmcnt(11)
	v_lshrrev_b32_e32 v7, 4, v13
	s_waitcnt vmcnt(10)
	v_ashrrev_i32_e32 v8, v105, v14
	v_ashrrev_i32_e32 v9, v107, v14
	v_and_b32_e32 v3, 0xf0f0f0f, v13
	;; [unrolled: 12-line block ×6, first 2 shown]
	v_and_b32_e32 v7, 0xf0f0f0f, v7
	v_lshlrev_b32_e32 v8, 4, v8
	v_lshlrev_b32_e32 v4, 4, v4
	v_and_or_b32 v3, v8, s16, v3
	v_and_or_b32 v4, v4, s16, v7
	ds_write2_b32 v36, v3, v4 offset1:8
	s_waitcnt vmcnt(1)
	v_and_b32_e32 v3, 0xf0f0f0f, v5
	v_lshrrev_b32_e32 v4, 4, v5
	s_waitcnt vmcnt(0)
	v_ashrrev_i32_e32 v5, v105, v2
	v_ashrrev_i32_e32 v2, v107, v2
	v_and_b32_e32 v4, 0xf0f0f0f, v4
	v_lshlrev_b32_e32 v2, 4, v2
	v_lshlrev_b32_e32 v5, 4, v5
	v_and_or_b32 v4, v2, s16, v4
	v_add_co_u32_e32 v2, vcc, s8, v96
	v_and_or_b32 v5, v5, s16, v3
	v_addc_co_u32_e32 v3, vcc, v63, v6, vcc
	global_load_dword v7, v[2:3], off
	v_add_co_u32_e32 v2, vcc, s8, v94
	v_addc_co_u32_e32 v3, vcc, v61, v6, vcc
	global_load_dword v8, v[2:3], off
	v_add_co_u32_e32 v2, vcc, s8, v100
	v_addc_co_u32_e32 v3, vcc, v67, v6, vcc
	global_load_dword v9, v[2:3], off
	v_add_co_u32_e32 v2, vcc, s8, v98
	v_addc_co_u32_e32 v3, vcc, v65, v6, vcc
	global_load_dword v10, v[2:3], off
	v_add_co_u32_e32 v2, vcc, s8, v104
	v_addc_co_u32_e32 v3, vcc, v71, v6, vcc
	global_load_dword v11, v[2:3], off
	v_add_co_u32_e32 v2, vcc, s8, v102
	v_addc_co_u32_e32 v3, vcc, v69, v6, vcc
	global_load_dword v12, v[2:3], off
	v_add_co_u32_e32 v2, vcc, s8, v108
	v_addc_co_u32_e32 v3, vcc, v75, v6, vcc
	global_load_dword v13, v[2:3], off
	v_add_co_u32_e32 v2, vcc, s8, v106
	v_addc_co_u32_e32 v3, vcc, v73, v6, vcc
	global_load_dword v14, v[2:3], off
	v_add_co_u32_e32 v2, vcc, s8, v112
	v_addc_co_u32_e32 v3, vcc, v79, v6, vcc
	global_load_dword v15, v[2:3], off
	v_add_co_u32_e32 v2, vcc, s8, v110
	v_addc_co_u32_e32 v3, vcc, v77, v6, vcc
	global_load_dword v16, v[2:3], off
	v_add_co_u32_e32 v2, vcc, s8, v116
	v_addc_co_u32_e32 v3, vcc, v85, v6, vcc
	global_load_dword v17, v[2:3], off
	v_add_co_u32_e32 v2, vcc, s8, v114
	v_addc_co_u32_e32 v3, vcc, v81, v6, vcc
	global_load_dword v18, v[2:3], off
	v_add_co_u32_e32 v2, vcc, s8, v120
	v_addc_co_u32_e32 v3, vcc, v89, v6, vcc
	global_load_dword v19, v[2:3], off
	v_add_co_u32_e32 v2, vcc, s8, v118
	v_addc_co_u32_e32 v3, vcc, v87, v6, vcc
	global_load_dword v20, v[2:3], off
	v_add_co_u32_e32 v2, vcc, s8, v124
	v_addc_co_u32_e32 v3, vcc, v125, v6, vcc
	global_load_dword v21, v[2:3], off
	v_add_co_u32_e32 v2, vcc, s8, v126
	v_addc_co_u32_e32 v3, vcc, v91, v6, vcc
	global_load_dword v134, v[2:3], off
	v_add_co_u32_e32 v2, vcc, s8, v128
	v_addc_co_u32_e32 v3, vcc, v93, v6, vcc
	global_load_dword v135, v[2:3], off
	v_add_co_u32_e32 v2, vcc, s8, v130
	v_addc_co_u32_e32 v3, vcc, v95, v6, vcc
	global_load_dword v136, v[2:3], off
	v_add_co_u32_e32 v2, vcc, s8, v132
	v_addc_co_u32_e32 v3, vcc, v97, v6, vcc
	global_load_dword v2, v[2:3], off
	ds_write2_b32 v38, v5, v4 offset1:8
	s_waitcnt vmcnt(18)
	v_lshrrev_b32_e32 v4, 4, v7
	s_waitcnt vmcnt(17)
	v_ashrrev_i32_e32 v5, v105, v8
	v_ashrrev_i32_e32 v6, v107, v8
	v_and_b32_e32 v3, 0xf0f0f0f, v7
	v_and_b32_e32 v4, 0xf0f0f0f, v4
	v_lshlrev_b32_e32 v5, 4, v5
	v_lshlrev_b32_e32 v6, 4, v6
	v_and_or_b32 v3, v5, s16, v3
	v_and_or_b32 v4, v6, s16, v4
	ds_write2_b32 v40, v3, v4 offset1:8
	s_waitcnt vmcnt(16)
	v_lshrrev_b32_e32 v4, 4, v9
	s_waitcnt vmcnt(15)
	v_ashrrev_i32_e32 v5, v105, v10
	v_ashrrev_i32_e32 v6, v107, v10
	v_and_b32_e32 v3, 0xf0f0f0f, v9
	v_and_b32_e32 v4, 0xf0f0f0f, v4
	v_lshlrev_b32_e32 v5, 4, v5
	v_lshlrev_b32_e32 v6, 4, v6
	v_and_or_b32 v3, v5, s16, v3
	v_and_or_b32 v4, v6, s16, v4
	;; [unrolled: 12-line block ×7, first 2 shown]
	ds_write2_b32 v52, v3, v4 offset1:8
	s_waitcnt vmcnt(4)
	ds_write_b32 v109, v21
	s_waitcnt vmcnt(3)
	v_ashrrev_i32_e32 v3, v111, v134
	v_and_b32_e32 v3, 0xf0f0f0f, v3
	s_waitcnt vmcnt(2)
	v_ashrrev_i32_e32 v4, v113, v135
	v_and_or_b32 v3, v4, s17, v3
	ds_write_b32 v151, v3
	s_waitcnt vmcnt(1)
	v_ashrrev_i32_e32 v3, v111, v136
	v_and_b32_e32 v3, 0xf0f0f0f, v3
	s_waitcnt vmcnt(0)
	v_ashrrev_i32_e32 v2, v113, v2
	v_and_or_b32 v2, v2, s17, v3
	ds_write_b32 v152, v2
	s_cbranch_scc0 .LBB194_5
; %bb.7:                                ;   in Loop: Header=BB194_6 Depth=1
	v_cmp_gt_i32_e32 vcc, s12, v119
	s_and_b64 s[22:23], s[2:3], vcc
	s_and_saveexec_b64 s[4:5], s[22:23]
	s_cbranch_execz .LBB194_9
; %bb.8:                                ;   in Loop: Header=BB194_6 Depth=1
	v_add_u32_e32 v2, v56, v119
	v_mad_i64_i32 v[2:3], s[22:23], v2, 36, v[54:55]
	global_load_dword v2, v[2:3], off offset:4
	s_waitcnt vmcnt(0)
	ds_write_b32 v115, v2
.LBB194_9:                              ;   in Loop: Header=BB194_6 Depth=1
	s_or_b64 exec, exec, s[4:5]
	s_and_saveexec_b64 s[4:5], s[0:1]
	s_cbranch_execz .LBB194_12
; %bb.10:                               ;   in Loop: Header=BB194_6 Depth=1
	v_cmp_gt_i32_e32 vcc, s12, v103
	s_and_b64 s[22:23], s[2:3], vcc
	s_and_b64 exec, exec, s[22:23]
	s_cbranch_execz .LBB194_12
; %bb.11:                               ;   in Loop: Header=BB194_6 Depth=1
	v_add_u32_e32 v2, v56, v103
	v_mad_i64_i32 v[2:3], s[22:23], v2, 36, s[18:19]
	global_load_dword v2, v[2:3], off
	s_waitcnt vmcnt(0)
	ds_write_b32 v117, v2
.LBB194_12:                             ;   in Loop: Header=BB194_6 Depth=1
	s_or_b64 exec, exec, s[4:5]
	s_waitcnt lgkmcnt(0)
	s_barrier
	ds_read_b128 v[18:21], v121
	ds_read_b128 v[14:17], v121 offset:16
	ds_read_b128 v[2:5], v127 offset:36944
	ds_read2_b32 v[134:135], v131 offset1:1
	ds_read_b128 v[10:13], v121 offset:32
	ds_read_b128 v[6:9], v121 offset:48
	ds_read_b32 v153, v133
	ds_read2_b32 v[136:137], v131 offset0:2 offset1:3
	v_mov_b32_e32 v161, 0
	s_waitcnt lgkmcnt(4)
	v_dot4c_i32_i8_e32 v161, v134, v18
	v_dot4c_i32_i8_e32 v161, v135, v19
	ds_read2_b32 v[138:139], v131 offset0:4 offset1:5
	ds_read2_b32 v[140:141], v131 offset0:6 offset1:7
	;; [unrolled: 1-line block ×3, first 2 shown]
	s_waitcnt lgkmcnt(3)
	v_dot4c_i32_i8_e32 v161, v136, v20
	v_dot4c_i32_i8_e32 v161, v137, v21
	ds_read2_b32 v[136:137], v131 offset0:10 offset1:11
	v_mov_b32_e32 v172, 0
	s_waitcnt lgkmcnt(3)
	v_dot4c_i32_i8_e32 v161, v138, v14
	s_waitcnt lgkmcnt(1)
	v_dot4c_i32_i8_e32 v172, v142, v10
	v_dot4c_i32_i8_e32 v161, v139, v15
	;; [unrolled: 1-line block ×4, first 2 shown]
	s_waitcnt lgkmcnt(0)
	v_dot4c_i32_i8_e32 v172, v136, v12
	v_add_u32_e32 v136, 0x2080, v131
	ds_read2_b32 v[134:135], v129 offset1:2
	v_dot4c_i32_i8_e32 v161, v141, v17
	ds_read2_b32 v[138:139], v131 offset0:12 offset1:13
	ds_read2_b32 v[140:141], v131 offset0:14 offset1:15
	;; [unrolled: 1-line block ×3, first 2 shown]
	v_dot4c_i32_i8_e32 v172, v137, v13
	ds_read2_b32 v[154:155], v131 offset0:26 offset1:27
	ds_read2_b32 v[156:157], v131 offset0:28 offset1:29
	;; [unrolled: 1-line block ×3, first 2 shown]
	ds_read2_b32 v[136:137], v136 offset1:1
	v_mov_b32_e32 v168, 0
	v_cvt_f32_f16_e32 v160, v153
	v_cvt_f32_f16_sdwa v162, v153 dst_sel:DWORD dst_unused:UNUSED_PAD src0_sel:WORD_1
	ds_read_b32 v173, v146 offset:128
	ds_read_b32 v174, v148 offset:256
	;; [unrolled: 1-line block ×3, first 2 shown]
	s_waitcnt lgkmcnt(3)
	v_dot4c_i32_i8_e32 v168, v136, v18
	v_add_u32_e32 v136, 0x2088, v131
	v_dot4c_i32_i8_e32 v168, v137, v19
	ds_read2_b32 v[136:137], v136 offset1:1
	v_dot4c_i32_i8_e32 v172, v138, v6
	v_dot4c_i32_i8_e32 v172, v139, v7
	;; [unrolled: 1-line block ×3, first 2 shown]
	v_add_u32_e32 v138, 0x2090, v131
	v_dot4c_i32_i8_e32 v172, v141, v9
	v_add_u32_e32 v140, 0x2098, v131
	v_add_u32_e32 v141, 0x20a0, v131
	ds_read2_b32 v[138:139], v138 offset1:1
	ds_read2_b32 v[164:165], v140 offset1:1
	;; [unrolled: 1-line block ×3, first 2 shown]
	s_waitcnt lgkmcnt(3)
	v_dot4c_i32_i8_e32 v168, v136, v20
	ds_read2_b32 v[140:141], v145 offset1:2
	v_dot4c_i32_i8_e32 v168, v137, v21
	s_waitcnt lgkmcnt(3)
	v_dot4c_i32_i8_e32 v168, v138, v14
	v_dot4c_i32_i8_e32 v168, v139, v15
	s_waitcnt lgkmcnt(2)
	v_dot4c_i32_i8_e32 v168, v164, v16
	v_dot4c_i32_i8_e32 v168, v165, v17
	s_waitcnt lgkmcnt(0)
	v_and_b32_e32 v136, 0xff, v140
	v_add_u32_e32 v138, 0x20b0, v131
	v_add_u32_e32 v164, 0x20b8, v131
	v_mul_lo_u32 v136, v168, v136
	v_cvt_f32_i32_e32 v176, v136
	v_add_u32_e32 v136, 0x20a8, v131
	ds_read2_b32 v[136:137], v136 offset1:1
	v_mov_b32_e32 v168, 0
	v_dot4c_i32_i8_e32 v168, v166, v10
	v_add_u32_e32 v166, 0x4100, v131
	v_dot4c_i32_i8_e32 v168, v167, v11
	ds_read2_b32 v[138:139], v138 offset1:1
	ds_read2_b32 v[164:165], v164 offset1:1
	;; [unrolled: 1-line block ×3, first 2 shown]
	s_waitcnt lgkmcnt(3)
	v_dot4c_i32_i8_e32 v168, v136, v12
	v_dot4c_i32_i8_e32 v168, v137, v13
	s_waitcnt lgkmcnt(2)
	v_dot4c_i32_i8_e32 v168, v138, v6
	v_dot4c_i32_i8_e32 v168, v139, v7
	;; [unrolled: 3-line block ×3, first 2 shown]
	v_bfe_u32 v136, v140, 8, 8
	v_mov_b32_e32 v170, 0
	s_waitcnt lgkmcnt(0)
	v_dot4c_i32_i8_e32 v170, v166, v18
	v_mul_lo_u32 v136, v168, v136
	v_cvt_f32_i32_e32 v178, v136
	v_add_u32_e32 v136, 0x4108, v131
	ds_read2_b32 v[136:137], v136 offset1:1
	v_add_u32_e32 v138, 0x4110, v131
	v_add_u32_e32 v168, 0x4120, v131
	v_dot4c_i32_i8_e32 v170, v167, v19
	v_add_u32_e32 v139, 0x4118, v131
	ds_read2_b32 v[164:165], v138 offset1:1
	ds_read2_b32 v[166:167], v139 offset1:1
	;; [unrolled: 1-line block ×3, first 2 shown]
	s_waitcnt lgkmcnt(3)
	v_dot4c_i32_i8_e32 v170, v136, v20
	ds_read2_b32 v[138:139], v147 offset1:2
	v_dot4c_i32_i8_e32 v170, v137, v21
	s_waitcnt lgkmcnt(3)
	v_dot4c_i32_i8_e32 v170, v164, v14
	v_dot4c_i32_i8_e32 v170, v165, v15
	s_waitcnt lgkmcnt(2)
	v_dot4c_i32_i8_e32 v170, v166, v16
	v_dot4c_i32_i8_e32 v170, v167, v17
	s_waitcnt lgkmcnt(0)
	v_and_b32_e32 v136, 0xff, v138
	v_add_u32_e32 v164, 0x4130, v131
	v_add_u32_e32 v166, 0x4138, v131
	v_mul_lo_u32 v136, v170, v136
	v_cvt_f32_i32_e32 v181, v136
	v_add_u32_e32 v136, 0x4128, v131
	ds_read2_b32 v[136:137], v136 offset1:1
	v_mov_b32_e32 v170, 0
	v_dot4c_i32_i8_e32 v170, v168, v10
	v_add_u32_e32 v168, 0x6180, v131
	v_dot4c_i32_i8_e32 v170, v169, v11
	ds_read2_b32 v[164:165], v164 offset1:1
	ds_read2_b32 v[166:167], v166 offset1:1
	;; [unrolled: 1-line block ×3, first 2 shown]
	s_waitcnt lgkmcnt(3)
	v_dot4c_i32_i8_e32 v170, v136, v12
	v_dot4c_i32_i8_e32 v170, v137, v13
	s_waitcnt lgkmcnt(2)
	v_dot4c_i32_i8_e32 v170, v164, v6
	v_dot4c_i32_i8_e32 v170, v165, v7
	;; [unrolled: 3-line block ×3, first 2 shown]
	v_bfe_u32 v136, v138, 8, 8
	v_add_u32_e32 v137, 0x6198, v131
	v_mov_b32_e32 v190, 0
	v_mul_lo_u32 v136, v170, v136
	v_mov_b32_e32 v170, 0
	s_waitcnt lgkmcnt(0)
	v_dot4c_i32_i8_e32 v170, v168, v18
	v_add_u32_e32 v18, 0x6188, v131
	v_dot4c_i32_i8_e32 v170, v169, v19
	ds_read2_b32 v[18:19], v18 offset1:1
	v_cvt_f32_i32_e32 v183, v136
	v_add_u32_e32 v136, 0x6190, v131
	v_add_u32_e32 v168, 0x61a0, v131
	ds_read2_b32 v[164:165], v136 offset1:1
	ds_read2_b32 v[166:167], v137 offset1:1
	;; [unrolled: 1-line block ×3, first 2 shown]
	s_waitcnt lgkmcnt(3)
	v_dot4c_i32_i8_e32 v170, v18, v20
	ds_read2_b32 v[136:137], v149 offset1:2
	v_dot4c_i32_i8_e32 v170, v19, v21
	s_waitcnt lgkmcnt(3)
	v_dot4c_i32_i8_e32 v170, v164, v14
	v_mov_b32_e32 v18, 0
	v_dot4c_i32_i8_e32 v170, v165, v15
	s_waitcnt lgkmcnt(1)
	v_dot4c_i32_i8_e32 v18, v168, v10
	v_add_u32_e32 v10, 0x61a8, v131
	v_dot4c_i32_i8_e32 v170, v166, v16
	v_dot4c_i32_i8_e32 v18, v169, v11
	ds_read2_b32 v[10:11], v10 offset1:1
	v_dot4c_i32_i8_e32 v170, v167, v17
	s_waitcnt lgkmcnt(1)
	v_and_b32_e32 v14, 0xff, v136
	v_add_u32_e32 v16, 0x61b8, v131
	v_add_u32_e32 v19, 0x20c0, v131
	v_mul_lo_u32 v14, v170, v14
	v_cvt_f32_i32_e32 v186, v14
	v_add_u32_e32 v14, 0x61b0, v131
	ds_read2_b32 v[14:15], v14 offset1:1
	ds_read2_b32 v[16:17], v16 offset1:1
	;; [unrolled: 1-line block ×3, first 2 shown]
	s_waitcnt lgkmcnt(3)
	v_dot4c_i32_i8_e32 v18, v10, v12
	v_dot4c_i32_i8_e32 v18, v11, v13
	s_waitcnt lgkmcnt(2)
	v_dot4c_i32_i8_e32 v18, v14, v6
	v_dot4c_i32_i8_e32 v18, v15, v7
	;; [unrolled: 3-line block ×3, first 2 shown]
	v_bfe_u32 v6, v136, 8, 8
	v_lshrrev_b32_e32 v163, 24, v134
	v_cvt_f32_ubyte0_e32 v177, v141
	v_mul_lo_u32 v6, v18, v6
	v_cvt_f32_i32_e32 v188, v6
	ds_read_b128 v[18:21], v121 offset:64
	ds_read_b128 v[14:17], v121 offset:80
	;; [unrolled: 1-line block ×4, first 2 shown]
	ds_read2_b32 v[166:167], v131 offset0:18 offset1:19
	s_waitcnt lgkmcnt(4)
	v_dot4c_i32_i8_e32 v190, v142, v18
	v_dot4c_i32_i8_e32 v190, v143, v19
	ds_read2_b32 v[142:143], v131 offset0:20 offset1:21
	ds_read2_b32 v[168:169], v131 offset0:22 offset1:23
	;; [unrolled: 1-line block ×3, first 2 shown]
	v_cvt_f32_ubyte0_e32 v182, v139
	s_waitcnt lgkmcnt(3)
	v_dot4c_i32_i8_e32 v190, v166, v20
	v_mov_b32_e32 v166, 0
	v_dot4c_i32_i8_e32 v190, v167, v21
	s_waitcnt lgkmcnt(0)
	v_dot4c_i32_i8_e32 v166, v170, v10
	v_dot4c_i32_i8_e32 v166, v171, v11
	;; [unrolled: 1-line block ×10, first 2 shown]
	v_cvt_f32_f16_e32 v155, v4
	v_cvt_f32_f16_sdwa v143, v4 dst_sel:DWORD dst_unused:UNUSED_PAD src0_sel:WORD_1
	v_and_b32_e32 v4, 0xff, v134
	v_bfe_u32 v156, v134, 16, 8
	v_dot4c_i32_i8_e32 v166, v158, v8
	v_mul_lo_u32 v4, v161, v4
	v_mul_lo_u32 v156, v190, v156
	v_dot4c_i32_i8_e32 v166, v159, v9
	v_cvt_f32_f16_e32 v154, v2
	v_cvt_f32_i32_e32 v159, v156
	v_cvt_f32_i32_e32 v158, v4
	v_bfe_u32 v134, v134, 8, 8
	v_mul_lo_u32 v134, v172, v134
	v_cvt_f32_f16_sdwa v142, v2 dst_sel:DWORD dst_unused:UNUSED_PAD src0_sel:WORD_1
	v_pk_fma_f32 v[158:159], v[154:155], v[158:159], 0 op_sel_hi:[1,1,0]
	v_mul_lo_u32 v154, v166, v163
	v_cvt_f32_f16_e32 v157, v5
	v_cvt_f32_f16_e32 v156, v3
	v_cvt_f32_i32_e32 v167, v154
	v_cvt_f32_i32_e32 v166, v134
	v_cvt_f32_f16_sdwa v5, v5 dst_sel:DWORD dst_unused:UNUSED_PAD src0_sel:WORD_1
	v_cvt_f32_f16_sdwa v4, v3 dst_sel:DWORD dst_unused:UNUSED_PAD src0_sel:WORD_1
	v_cvt_f32_ubyte2_e32 v169, v135
	v_cvt_f32_ubyte0_e32 v168, v135
	v_cvt_f32_ubyte0_e32 v187, v137
	v_pk_fma_f32 v[168:169], v[142:143], v[168:169], 0 op_sel_hi:[1,1,0]
	v_pk_fma_f32 v[158:159], v[156:157], v[166:167], v[158:159]
	v_cvt_f32_ubyte3_e32 v167, v135
	v_cvt_f32_ubyte1_e32 v166, v135
	v_fma_mix_f32 v154, v2, v181, 0 op_sel_hi:[1,0,0]
	v_cvt_f32_ubyte1_e32 v189, v137
	v_pk_fma_f32 v[134:135], v[4:5], v[166:167], v[168:169]
	v_fma_mix_f32 v4, v2, v176, 0 op_sel_hi:[1,0,0]
	v_fma_mix_f32 v142, v2, v177, 0 op_sel:[1,0,0] op_sel_hi:[1,0,0]
	v_fma_mix_f32 v156, v2, v182, 0 op_sel:[1,0,0] op_sel_hi:[1,0,0]
	v_fma_mix_f32 v166, v3, v183, v154 op_sel_hi:[1,0,0]
	v_fma_mix_f32 v154, v2, v186, 0 op_sel_hi:[1,0,0]
	v_fma_mix_f32 v2, v2, v187, 0 op_sel:[1,0,0] op_sel_hi:[1,0,0]
	v_cvt_f32_ubyte1_e32 v179, v141
	v_cvt_f32_ubyte1_e32 v184, v139
	v_fma_mix_f32 v169, v3, v189, v2 op_sel:[1,0,0] op_sel_hi:[1,0,0]
	v_add_u32_e32 v2, 0x20c8, v131
	v_fma_mix_f32 v4, v3, v178, v4 op_sel_hi:[1,0,0]
	v_fma_mix_f32 v142, v3, v179, v142 op_sel:[1,0,0] op_sel_hi:[1,0,0]
	v_fma_mix_f32 v167, v3, v184, v156 op_sel:[1,0,0] op_sel_hi:[1,0,0]
	v_fma_mix_f32 v168, v3, v188, v154 op_sel_hi:[1,0,0]
	ds_read2_b32 v[2:3], v2 offset1:1
	v_pk_mul_f32 v[134:135], v[134:135], v[162:163] op_sel_hi:[1,0]
	v_mov_b32_e32 v154, 0
	v_pk_fma_f32 v[134:135], v[158:159], v[160:161], v[134:135] op_sel_hi:[1,0,1] neg_lo:[0,0,1] neg_hi:[0,0,1]
	v_dot4c_i32_i8_e32 v154, v164, v18
	v_add_u32_e32 v156, 0x20d0, v131
	v_add_u32_e32 v160, 0x20d8, v131
	;; [unrolled: 1-line block ×3, first 2 shown]
	v_dot4c_i32_i8_e32 v154, v165, v19
	ds_read2_b32 v[158:159], v156 offset1:1
	ds_read2_b32 v[160:161], v160 offset1:1
	;; [unrolled: 1-line block ×3, first 2 shown]
	s_waitcnt lgkmcnt(3)
	v_dot4c_i32_i8_e32 v154, v2, v20
	v_dot4c_i32_i8_e32 v154, v3, v21
	s_waitcnt lgkmcnt(2)
	v_dot4c_i32_i8_e32 v154, v158, v14
	v_dot4c_i32_i8_e32 v154, v159, v15
	;; [unrolled: 3-line block ×3, first 2 shown]
	v_bfe_u32 v2, v140, 16, 8
	v_lshrrev_b32_e32 v175, 24, v140
	v_mov_b32_e32 v140, 0
	v_mul_lo_u32 v2, v154, v2
	v_add_u32_e32 v154, 0x20e8, v131
	ds_read2_b32 v[158:159], v154 offset1:1
	s_waitcnt lgkmcnt(1)
	v_dot4c_i32_i8_e32 v140, v162, v10
	v_add_u32_e32 v156, 0x20f0, v131
	v_add_u32_e32 v162, 0x20f8, v131
	v_dot4c_i32_i8_e32 v140, v163, v11
	v_add_u32_e32 v154, 0x4140, v131
	ds_read2_b32 v[160:161], v156 offset1:1
	ds_read2_b32 v[162:163], v162 offset1:1
	;; [unrolled: 1-line block ×3, first 2 shown]
	s_waitcnt lgkmcnt(3)
	v_dot4c_i32_i8_e32 v140, v158, v12
	v_dot4c_i32_i8_e32 v140, v159, v13
	s_waitcnt lgkmcnt(2)
	v_dot4c_i32_i8_e32 v140, v160, v6
	v_dot4c_i32_i8_e32 v140, v161, v7
	s_waitcnt lgkmcnt(1)
	v_dot4c_i32_i8_e32 v140, v162, v8
	v_cvt_f32_f16_sdwa v159, v173 dst_sel:DWORD dst_unused:UNUSED_PAD src0_sel:WORD_1
	v_dot4c_i32_i8_e32 v140, v163, v9
	v_cvt_f32_i32_e32 v2, v2
	v_cvt_f32_f16_e32 v158, v173
	v_mul_f32_e32 v142, v142, v159
	v_mul_lo_u32 v140, v140, v175
	v_cvt_f32_i32_e32 v140, v140
	v_cvt_f32_ubyte2_e32 v3, v141
	v_fma_mix_f32 v161, v4, v173, -v142 op_sel_hi:[0,1,0]
	v_mov_b32_e32 v142, v155
	v_cvt_f32_ubyte3_e32 v141, v141
	v_pk_fma_f32 v[2:3], v[142:143], v[2:3], 0 op_sel_hi:[1,1,0]
	v_mov_b32_e32 v4, v157
	v_pk_fma_f32 v[2:3], v[4:5], v[140:141], v[2:3]
	v_pk_mul_f32 v[140:141], v[2:3], v[158:159]
	v_mov_b32_e32 v141, v140
	v_mov_b32_e32 v160, v134
	v_pk_fma_f32 v[2:3], v[2:3], v[158:159], v[140:141] neg_lo:[1,0,0] neg_hi:[1,0,0]
	v_pk_add_f32 v[122:123], v[122:123], v[160:161]
	v_mov_b32_e32 v2, v135
	v_pk_add_f32 v[122:123], v[122:123], v[2:3]
	v_add_u32_e32 v2, 0x4148, v131
	ds_read2_b32 v[2:3], v2 offset1:1
	v_mov_b32_e32 v156, 0
	s_waitcnt lgkmcnt(1)
	v_dot4c_i32_i8_e32 v156, v164, v18
	v_add_u32_e32 v134, 0x4150, v131
	v_add_u32_e32 v140, 0x4158, v131
	;; [unrolled: 1-line block ×3, first 2 shown]
	v_dot4c_i32_i8_e32 v156, v165, v19
	ds_read2_b32 v[134:135], v134 offset1:1
	ds_read2_b32 v[140:141], v140 offset1:1
	;; [unrolled: 1-line block ×3, first 2 shown]
	s_waitcnt lgkmcnt(3)
	v_dot4c_i32_i8_e32 v156, v2, v20
	v_dot4c_i32_i8_e32 v156, v3, v21
	s_waitcnt lgkmcnt(2)
	v_dot4c_i32_i8_e32 v156, v134, v14
	v_add_u32_e32 v134, 0x4168, v131
	v_dot4c_i32_i8_e32 v156, v135, v15
	ds_read2_b32 v[134:135], v134 offset1:1
	s_waitcnt lgkmcnt(2)
	v_dot4c_i32_i8_e32 v156, v140, v16
	v_lshrrev_b32_e32 v180, 24, v138
	v_dot4c_i32_i8_e32 v156, v141, v17
	v_bfe_u32 v2, v138, 16, 8
	v_mov_b32_e32 v138, 0
	s_waitcnt lgkmcnt(1)
	v_dot4c_i32_i8_e32 v138, v154, v10
	v_mul_lo_u32 v2, v156, v2
	v_add_u32_e32 v140, 0x4170, v131
	v_add_u32_e32 v154, 0x4178, v131
	;; [unrolled: 1-line block ×3, first 2 shown]
	v_dot4c_i32_i8_e32 v138, v155, v11
	ds_read2_b32 v[140:141], v140 offset1:1
	ds_read2_b32 v[154:155], v154 offset1:1
	;; [unrolled: 1-line block ×3, first 2 shown]
	s_waitcnt lgkmcnt(3)
	v_dot4c_i32_i8_e32 v138, v134, v12
	v_dot4c_i32_i8_e32 v138, v135, v13
	s_waitcnt lgkmcnt(2)
	v_dot4c_i32_i8_e32 v138, v140, v6
	v_dot4c_i32_i8_e32 v138, v141, v7
	;; [unrolled: 3-line block ×3, first 2 shown]
	v_cvt_f32_i32_e32 v2, v2
	v_cvt_f32_f16_sdwa v135, v174 dst_sel:DWORD dst_unused:UNUSED_PAD src0_sel:WORD_1
	v_cvt_f32_ubyte2_e32 v3, v139
	v_mul_lo_u32 v134, v138, v180
	v_cvt_f32_i32_e32 v138, v134
	v_cvt_f32_f16_e32 v134, v174
	v_cvt_f32_ubyte3_e32 v139, v139
	v_pk_fma_f32 v[2:3], v[142:143], v[2:3], 0 op_sel_hi:[1,1,0]
	v_mul_f32_e32 v140, v167, v135
	v_pk_fma_f32 v[2:3], v[4:5], v[138:139], v[2:3]
	v_fma_mix_f32 v140, v166, v174, -v140 op_sel_hi:[0,1,0]
	v_pk_mul_f32 v[2:3], v[2:3], v[134:135]
	v_add_f32_e32 v99, v99, v140
	v_sub_f32_e32 v2, v2, v3
	v_add_f32_e32 v99, v99, v2
	v_add_u32_e32 v2, 0x61c8, v131
	ds_read2_b32 v[2:3], v2 offset1:1
	v_mov_b32_e32 v140, 0
	s_waitcnt lgkmcnt(1)
	v_dot4c_i32_i8_e32 v140, v156, v18
	v_add_u32_e32 v18, 0x61d0, v131
	v_add_u32_e32 v134, 0x61d8, v131
	;; [unrolled: 1-line block ×3, first 2 shown]
	v_dot4c_i32_i8_e32 v140, v157, v19
	ds_read2_b32 v[18:19], v18 offset1:1
	ds_read2_b32 v[134:135], v134 offset1:1
	;; [unrolled: 1-line block ×3, first 2 shown]
	s_waitcnt lgkmcnt(3)
	v_dot4c_i32_i8_e32 v140, v2, v20
	v_dot4c_i32_i8_e32 v140, v3, v21
	s_waitcnt lgkmcnt(2)
	v_dot4c_i32_i8_e32 v140, v18, v14
	v_mov_b32_e32 v18, 0
	s_waitcnt lgkmcnt(0)
	v_dot4c_i32_i8_e32 v18, v138, v10
	v_add_u32_e32 v10, 0x61e8, v131
	v_dot4c_i32_i8_e32 v18, v139, v11
	ds_read2_b32 v[10:11], v10 offset1:1
	v_add_u32_e32 v14, 0x61f0, v131
	v_dot4c_i32_i8_e32 v140, v19, v15
	ds_read2_b32 v[14:15], v14 offset1:1
	v_dot4c_i32_i8_e32 v140, v134, v16
	v_add_u32_e32 v16, 0x61f8, v131
	v_dot4c_i32_i8_e32 v140, v135, v17
	ds_read2_b32 v[16:17], v16 offset1:1
	s_waitcnt lgkmcnt(2)
	v_dot4c_i32_i8_e32 v18, v10, v12
	v_dot4c_i32_i8_e32 v18, v11, v13
	s_waitcnt lgkmcnt(1)
	v_dot4c_i32_i8_e32 v18, v14, v6
	v_dot4c_i32_i8_e32 v18, v15, v7
	v_bfe_u32 v2, v136, 16, 8
	s_waitcnt lgkmcnt(0)
	v_dot4c_i32_i8_e32 v18, v16, v8
	v_lshrrev_b32_e32 v185, 24, v136
	v_mul_lo_u32 v2, v140, v2
	v_dot4c_i32_i8_e32 v18, v17, v9
	v_cvt_f32_i32_e32 v2, v2
	v_cvt_f32_f16_sdwa v7, v153 dst_sel:DWORD dst_unused:UNUSED_PAD src0_sel:WORD_1
	v_cvt_f32_ubyte2_e32 v3, v137
	v_mul_lo_u32 v6, v18, v185
	v_cvt_f32_i32_e32 v8, v6
	v_cvt_f32_f16_e32 v6, v153
	v_cvt_f32_ubyte3_e32 v9, v137
	v_pk_fma_f32 v[2:3], v[142:143], v[2:3], 0 op_sel_hi:[1,1,0]
	v_mul_f32_e32 v10, v169, v7
	v_pk_fma_f32 v[2:3], v[4:5], v[8:9], v[2:3]
	v_fma_mix_f32 v10, v168, v153, -v10 op_sel_hi:[0,1,0]
	v_pk_mul_f32 v[2:3], v[2:3], v[6:7]
	v_add_f32_e32 v10, v83, v10
	v_sub_f32_e32 v2, v2, v3
	v_add_f32_e32 v83, v10, v2
	s_cmp_ge_i32 s10, s9
	s_barrier
	s_cbranch_scc1 .LBB194_5
; %bb.13:                               ;   in Loop: Header=BB194_6 Depth=1
	v_cmp_gt_i32_e32 vcc, s12, v144
	s_and_b64 s[22:23], s[2:3], vcc
	s_and_saveexec_b64 s[4:5], s[22:23]
	s_cbranch_execz .LBB194_15
; %bb.14:                               ;   in Loop: Header=BB194_6 Depth=1
	v_add_u32_e32 v2, v56, v144
	v_mad_i64_i32 v[2:3], s[22:23], v2, 36, v[54:55]
	global_load_dword v2, v[2:3], off offset:4
	s_waitcnt vmcnt(0)
	ds_write_b32 v115, v2
.LBB194_15:                             ;   in Loop: Header=BB194_6 Depth=1
	s_or_b64 exec, exec, s[4:5]
	s_and_saveexec_b64 s[4:5], s[0:1]
	s_cbranch_execz .LBB194_4
; %bb.16:                               ;   in Loop: Header=BB194_6 Depth=1
	v_add_u32_e32 v2, 4, v103
	v_cmp_gt_i32_e32 vcc, s12, v2
	s_and_b64 s[22:23], s[2:3], vcc
	s_and_b64 exec, exec, s[22:23]
	s_cbranch_execz .LBB194_4
; %bb.17:                               ;   in Loop: Header=BB194_6 Depth=1
	v_ashrrev_i32_e32 v2, 31, v103
	v_add_co_u32_e32 v3, vcc, v56, v103
	v_addc_co_u32_e32 v4, vcc, v1, v2, vcc
	v_mad_u64_u32 v[2:3], s[22:23], v3, 36, s[6:7]
	v_mad_i32_i24 v3, v4, 36, v3
	global_load_dword v2, v[2:3], off
	s_waitcnt vmcnt(0)
	ds_write_b32 v117, v2
	s_branch .LBB194_4
.LBB194_18:
	v_mov_b32_e32 v99, 0
	v_mov_b32_e32 v123, 0
	;; [unrolled: 1-line block ×3, first 2 shown]
.LBB194_19:
	s_mul_i32 s0, s14, s11
	s_waitcnt vmcnt(0)
	v_cmp_gt_i32_e32 vcc, s0, v101
	s_and_saveexec_b64 s[0:1], vcc
	s_cbranch_execz .LBB194_28
; %bb.20:
	v_and_b32_e32 v0, 0x3ff, v0
	v_add_u32_e32 v1, s15, v0
	v_mul_lo_u32 v0, v101, s13
	v_cmp_gt_u32_e32 vcc, s13, v1
	s_and_saveexec_b64 s[0:1], vcc
	s_cbranch_execz .LBB194_22
; %bb.21:
	v_add_u32_e32 v2, v0, v1
	v_mov_b32_e32 v3, 0
	v_lshlrev_b64 v[2:3], 2, v[2:3]
	v_mov_b32_e32 v4, s21
	v_add_co_u32_e32 v2, vcc, s20, v2
	v_addc_co_u32_e32 v3, vcc, v4, v3, vcc
	global_store_dword v[2:3], v122, off
.LBB194_22:
	s_or_b64 exec, exec, s[0:1]
	v_add_u32_e32 v2, 32, v1
	v_cmp_gt_u32_e32 vcc, s13, v2
	s_and_saveexec_b64 s[0:1], vcc
	s_cbranch_execz .LBB194_24
; %bb.23:
	v_add_u32_e32 v2, v0, v2
	v_mov_b32_e32 v3, 0
	v_lshlrev_b64 v[2:3], 2, v[2:3]
	v_mov_b32_e32 v4, s21
	v_add_co_u32_e32 v2, vcc, s20, v2
	v_addc_co_u32_e32 v3, vcc, v4, v3, vcc
	global_store_dword v[2:3], v123, off
.LBB194_24:
	s_or_b64 exec, exec, s[0:1]
	v_add_u32_e32 v2, 64, v1
	;; [unrolled: 14-line block ×3, first 2 shown]
	v_cmp_gt_u32_e32 vcc, s13, v1
	s_and_b64 exec, exec, vcc
	s_cbranch_execz .LBB194_28
; %bb.27:
	v_add_u32_e32 v0, v0, v1
	v_mov_b32_e32 v1, 0
	v_lshlrev_b64 v[0:1], 2, v[0:1]
	v_mov_b32_e32 v2, s21
	v_add_co_u32_e32 v0, vcc, s20, v0
	v_addc_co_u32_e32 v1, vcc, v2, v1, vcc
	global_store_dword v[0:1], v83, off
.LBB194_28:
	s_endpgm
	.section	.rodata,"a",@progbits
	.p2align	6, 0x0
	.amdhsa_kernel _ZL8moe_q5_KIfLb1EEvPKvS1_PT_PKiS5_S5_iiiiiii
		.amdhsa_group_segment_fixed_size 37072
		.amdhsa_private_segment_fixed_size 0
		.amdhsa_kernarg_size 76
		.amdhsa_user_sgpr_count 6
		.amdhsa_user_sgpr_private_segment_buffer 1
		.amdhsa_user_sgpr_dispatch_ptr 0
		.amdhsa_user_sgpr_queue_ptr 0
		.amdhsa_user_sgpr_kernarg_segment_ptr 1
		.amdhsa_user_sgpr_dispatch_id 0
		.amdhsa_user_sgpr_flat_scratch_init 0
		.amdhsa_user_sgpr_kernarg_preload_length 0
		.amdhsa_user_sgpr_kernarg_preload_offset 0
		.amdhsa_user_sgpr_private_segment_size 0
		.amdhsa_uses_dynamic_stack 0
		.amdhsa_system_sgpr_private_segment_wavefront_offset 0
		.amdhsa_system_sgpr_workgroup_id_x 1
		.amdhsa_system_sgpr_workgroup_id_y 1
		.amdhsa_system_sgpr_workgroup_id_z 0
		.amdhsa_system_sgpr_workgroup_info 0
		.amdhsa_system_vgpr_workitem_id 1
		.amdhsa_next_free_vgpr 191
		.amdhsa_next_free_sgpr 28
		.amdhsa_accum_offset 192
		.amdhsa_reserve_vcc 1
		.amdhsa_reserve_flat_scratch 0
		.amdhsa_float_round_mode_32 0
		.amdhsa_float_round_mode_16_64 0
		.amdhsa_float_denorm_mode_32 3
		.amdhsa_float_denorm_mode_16_64 3
		.amdhsa_dx10_clamp 1
		.amdhsa_ieee_mode 1
		.amdhsa_fp16_overflow 0
		.amdhsa_tg_split 0
		.amdhsa_exception_fp_ieee_invalid_op 0
		.amdhsa_exception_fp_denorm_src 0
		.amdhsa_exception_fp_ieee_div_zero 0
		.amdhsa_exception_fp_ieee_overflow 0
		.amdhsa_exception_fp_ieee_underflow 0
		.amdhsa_exception_fp_ieee_inexact 0
		.amdhsa_exception_int_div_zero 0
	.end_amdhsa_kernel
	.section	.text._ZL8moe_q5_KIfLb1EEvPKvS1_PT_PKiS5_S5_iiiiiii,"axG",@progbits,_ZL8moe_q5_KIfLb1EEvPKvS1_PT_PKiS5_S5_iiiiiii,comdat
.Lfunc_end194:
	.size	_ZL8moe_q5_KIfLb1EEvPKvS1_PT_PKiS5_S5_iiiiiii, .Lfunc_end194-_ZL8moe_q5_KIfLb1EEvPKvS1_PT_PKiS5_S5_iiiiiii
                                        ; -- End function
	.section	.AMDGPU.csdata,"",@progbits
; Kernel info:
; codeLenInByte = 11356
; NumSgprs: 32
; NumVgprs: 191
; NumAgprs: 0
; TotalNumVgprs: 191
; ScratchSize: 0
; MemoryBound: 0
; FloatMode: 240
; IeeeMode: 1
; LDSByteSize: 37072 bytes/workgroup (compile time only)
; SGPRBlocks: 3
; VGPRBlocks: 23
; NumSGPRsForWavesPerEU: 32
; NumVGPRsForWavesPerEU: 191
; AccumOffset: 192
; Occupancy: 1
; WaveLimiterHint : 1
; COMPUTE_PGM_RSRC2:SCRATCH_EN: 0
; COMPUTE_PGM_RSRC2:USER_SGPR: 6
; COMPUTE_PGM_RSRC2:TRAP_HANDLER: 0
; COMPUTE_PGM_RSRC2:TGID_X_EN: 1
; COMPUTE_PGM_RSRC2:TGID_Y_EN: 1
; COMPUTE_PGM_RSRC2:TGID_Z_EN: 0
; COMPUTE_PGM_RSRC2:TIDIG_COMP_CNT: 1
; COMPUTE_PGM_RSRC3_GFX90A:ACCUM_OFFSET: 47
; COMPUTE_PGM_RSRC3_GFX90A:TG_SPLIT: 0
	.section	.text._ZL8moe_q6_KIfLb0EEvPKvS1_PT_PKiS5_S5_iiiiiii,"axG",@progbits,_ZL8moe_q6_KIfLb0EEvPKvS1_PT_PKiS5_S5_iiiiiii,comdat
	.globl	_ZL8moe_q6_KIfLb0EEvPKvS1_PT_PKiS5_S5_iiiiiii ; -- Begin function _ZL8moe_q6_KIfLb0EEvPKvS1_PT_PKiS5_S5_iiiiiii
	.p2align	8
	.type	_ZL8moe_q6_KIfLb0EEvPKvS1_PT_PKiS5_S5_iiiiiii,@function
_ZL8moe_q6_KIfLb0EEvPKvS1_PT_PKiS5_S5_iiiiiii: ; @_ZL8moe_q6_KIfLb0EEvPKvS1_PT_PKiS5_S5_iiiiiii
; %bb.0:
	s_load_dwordx4 s[0:3], s[4:5], 0x18
	s_mov_b32 s8, s7
	s_mov_b32 s9, 0
	s_lshl_b64 s[10:11], s[8:9], 2
	s_waitcnt lgkmcnt(0)
	s_add_u32 s2, s2, s10
	s_addc_u32 s3, s3, s11
	s_load_dword s2, s[2:3], 0x0
	s_waitcnt lgkmcnt(0)
	s_cmpk_gt_u32 s2, 0xff
	s_cbranch_scc1 .LBB195_28
; %bb.1:
	s_load_dwordx2 s[10:11], s[4:5], 0x28
	s_lshl_b32 s3, s8, 3
	s_waitcnt lgkmcnt(0)
	s_load_dword s7, s[10:11], 0x0
	s_waitcnt lgkmcnt(0)
	s_cmp_gt_u32 s3, s7
	s_cbranch_scc1 .LBB195_28
; %bb.2:
	v_bfe_u32 v4, v0, 10, 10
	v_add_u32_e32 v74, s3, v4
	v_mov_b32_e32 v75, 0
	v_lshlrev_b64 v[2:3], 2, v[74:75]
	v_mov_b32_e32 v1, s1
	v_add_co_u32_e32 v2, vcc, s0, v2
	v_addc_co_u32_e32 v3, vcc, v1, v3, vcc
	global_load_dword v104, v[2:3], off
	s_load_dwordx2 s[14:15], s[4:5], 0x30
	s_load_dwordx2 s[12:13], s[4:5], 0x10
	s_load_dwordx4 s[8:11], s[4:5], 0x3c
	s_lshl_b32 s18, s6, 7
	s_waitcnt lgkmcnt(0)
	s_cmpk_lt_i32 s15, 0x100
	s_cbranch_scc1 .LBB195_18
; %bb.3:
	v_and_b32_e32 v105, 0x3ff, v0
	v_and_b32_e32 v1, 31, v105
	s_ashr_i32 s0, s15, 31
	v_add_u16_e32 v2, -16, v1
	v_cmp_gt_u32_e32 vcc, 16, v1
	s_lshr_b32 s0, s0, 24
	v_cndmask_b32_e32 v2, v2, v1, vcc
	s_add_i32 s0, s15, s0
	v_cmp_lt_u16_e32 vcc, 7, v2
	s_ashr_i32 s19, s0, 8
	s_ashr_i32 s0, s9, 31
	v_cndmask_b32_e64 v2, 0, 1, vcc
	v_cmp_lt_u32_e32 vcc, 15, v1
	s_lshr_b32 s0, s0, 27
	v_lshlrev_b32_e32 v106, 1, v2
	v_cndmask_b32_e64 v2, 0, 1, vcc
	s_add_i32 s0, s9, s0
	v_lshlrev_b32_e32 v9, 5, v2
	s_ashr_i32 s9, s0, 5
	v_and_or_b32 v2, v105, 15, v9
	v_mul_u32_u24_e32 v3, 0x41, v4
	s_lshl_b32 s0, s19, 3
	v_add_lshl_u32 v107, v2, v3, 2
	v_mov_b32_e32 v2, s0
	v_mad_i32_i24 v11, s19, v4, v2
	v_lshlrev_b32_e32 v2, 5, v4
	v_add_u32_e32 v3, v2, v105
	v_and_b32_e32 v7, 0x7f, v3
	v_lshrrev_b32_e32 v22, 3, v3
	s_mul_i32 s14, s2, s14
	v_mul_i32_i24_e32 v39, s19, v7
	v_and_b32_e32 v22, 12, v22
	v_lshlrev_b32_e32 v7, 2, v7
	s_mov_b32 s2, 0x8e40
	v_add3_u32 v123, v7, v22, s2
	v_lshlrev_b32_e32 v7, 3, v4
	v_lshrrev_b32_e32 v22, 2, v105
	v_add_u32_e32 v23, v22, v7
	v_and_b32_e32 v24, 3, v105
	v_add_u16_e32 v7, v22, v7
	v_lshlrev_b32_e32 v33, 2, v24
	v_and_b32_e32 v23, 0x7f, v23
	v_lshrrev_b16_e32 v7, 1, v7
	s_load_dwordx4 s[4:7], s[4:5], 0x0
	v_lshl_or_b32 v24, v23, 4, v33
	v_and_b32_e32 v7, 60, v7
	s_mov_b32 s3, 0x8200
	v_add3_u32 v124, v24, v7, s3
	v_xor_b32_e32 v7, 64, v23
	v_mul_i32_i24_e32 v27, s19, v7
	v_lshl_or_b32 v22, v7, 4, v33
	v_lshrrev_b32_e32 v7, 1, v7
	v_lshlrev_b32_e32 v10, 2, v1
	v_and_b32_e32 v7, 60, v7
	v_or_b32_e32 v1, v2, v1
	v_lshlrev_b32_e32 v2, 2, v105
	v_add3_u32 v125, v22, v7, s3
	v_and_b32_e32 v7, 28, v2
	s_waitcnt lgkmcnt(0)
	v_add_co_u32_e32 v22, vcc, s6, v7
	v_mov_b32_e32 v7, 0x8a40
	s_movk_i32 s16, 0xffe4
	v_lshl_add_u32 v126, v1, 2, v7
	v_mad_i32_i24 v1, v4, s16, v3
	v_mov_b32_e32 v3, 0x9050
	v_lshrrev_b32_e32 v128, 3, v105
	v_lshrrev_b32_e32 v5, 5, v105
	v_lshl_add_u32 v127, v1, 2, v3
	v_lshlrev_b32_e32 v1, 2, v128
	v_lshlrev_b32_e32 v3, 4, v105
	v_add3_u32 v131, v3, v1, s3
	v_lshlrev_b32_e32 v1, 2, v5
	v_add3_u32 v133, v1, v2, s2
	v_add_u32_e32 v1, 32, v105
	v_lshrrev_b32_e32 v134, 3, v1
	v_lshlrev_b32_e32 v3, 2, v134
	v_lshlrev_b32_e32 v1, 4, v1
	v_add3_u32 v135, v3, v1, s3
	v_and_b32_e32 v1, 60, v134
	v_add3_u32 v136, v2, v1, s2
	v_add_u32_e32 v1, 64, v105
	v_lshrrev_b32_e32 v3, 3, v1
	v_lshl_add_u32 v129, v4, 7, v7
	v_lshlrev_b32_e32 v7, 2, v3
	v_lshlrev_b32_e32 v1, 4, v1
	s_abs_i32 s16, s11
	v_add3_u32 v137, v7, v1, s3
	v_and_b32_e32 v1, 60, v3
	v_cvt_f32_u32_e32 v24, s16
	v_add3_u32 v138, v2, v1, s2
	v_add_u32_e32 v1, 0x60, v105
	v_lshrrev_b32_e32 v3, 3, v1
	v_lshlrev_b32_e32 v7, 2, v3
	v_lshlrev_b32_e32 v1, 4, v1
	v_add3_u32 v139, v7, v1, s3
	v_and_b32_e32 v1, 60, v3
	v_rcp_iflag_f32_e32 v3, v24
	v_add3_u32 v140, v2, v1, s2
	s_sub_i32 s2, 0, s16
	v_mul_i32_i24_e32 v34, s19, v23
	v_mul_f32_e32 v2, 0x4f7ffffe, v3
	v_cvt_u32_f32_e32 v2, v2
	s_waitcnt vmcnt(0)
	v_sub_u32_e32 v3, 0, v104
	v_max_i32_e32 v3, v104, v3
	v_mov_b32_e32 v23, s7
	v_mul_lo_u32 v7, s2, v2
	v_mul_hi_u32 v7, v2, v7
	v_add_u32_e32 v2, v2, v7
	v_mul_hi_u32 v2, v3, v2
	v_mul_lo_u32 v7, v2, s16
	v_addc_co_u32_e32 v23, vcc, 0, v23, vcc
	v_sub_u32_e32 v3, v3, v7
	v_add_u32_e32 v7, 1, v2
	v_cmp_le_u32_e32 vcc, s16, v3
	v_cndmask_b32_e32 v2, v2, v7, vcc
	v_subrev_u32_e32 v7, s16, v3
	v_cndmask_b32_e32 v3, v3, v7, vcc
	v_xor_b32_e32 v1, s11, v104
	v_add_u32_e32 v7, 1, v2
	v_cmp_le_u32_e32 vcc, s16, v3
	s_mul_i32 s22, s19, s18
	v_ashrrev_i32_e32 v1, 31, v1
	v_cndmask_b32_e32 v2, v2, v7, vcc
	v_xor_b32_e32 v2, v2, v1
	s_mul_hi_i32 s27, s22, 0xd2
	s_mul_i32 s26, s22, 0xd2
	v_sub_u32_e32 v1, v2, v1
	s_movk_i32 s21, 0xd2
	v_pk_mov_b32 v[2:3], s[26:27], s[26:27] op_sel:[0,1]
	v_and_b32_e32 v8, 7, v105
	v_mul_i32_i24_e32 v6, s19, v4
	v_mad_u64_u32 v[2:3], s[28:29], v5, s21, v[2:3]
	v_mad_u64_u32 v[6:7], s[28:29], v6, s21, v[2:3]
	v_lshl_or_b32 v92, v8, 2, v9
	v_add_co_u32_e32 v5, vcc, v6, v92
	v_addc_co_u32_e32 v8, vcc, 0, v7, vcc
	v_mov_b32_e32 v94, s5
	v_add_co_u32_e32 v5, vcc, s4, v5
	v_addc_co_u32_e32 v8, vcc, v8, v94, vcc
	s_movk_i32 s20, 0x80
	v_add_co_u32_e32 v26, vcc, s20, v5
	v_addc_co_u32_e32 v25, vcc, 0, v8, vcc
	v_mad_u64_u32 v[8:9], s[28:29], v27, s21, 0
	v_mov_b32_e32 v5, 0xd2
	v_mad_i64_i32 v[8:9], s[28:29], s22, v5, v[8:9]
	v_add_co_u32_e32 v8, vcc, v8, v33
	v_addc_co_u32_e32 v9, vcc, 0, v9, vcc
	v_add_co_u32_e32 v8, vcc, s4, v8
	v_addc_co_u32_e32 v9, vcc, v9, v94, vcc
	s_movk_i32 s24, 0xc0
	v_add_co_u32_e32 v28, vcc, s24, v8
	v_addc_co_u32_e32 v27, vcc, 0, v9, vcc
	v_add_co_u32_e32 v6, vcc, v6, v10
	v_addc_co_u32_e32 v7, vcc, 0, v7, vcc
	v_add_co_u32_e32 v6, vcc, s4, v6
	v_addc_co_u32_e32 v7, vcc, v7, v94, vcc
	v_add_co_u32_e32 v30, vcc, 2, v6
	v_addc_co_u32_e32 v29, vcc, 0, v7, vcc
	v_mad_u64_u32 v[6:7], s[28:29], v11, s21, v[2:3]
	v_add_co_u32_e32 v8, vcc, v6, v92
	v_addc_co_u32_e32 v9, vcc, 0, v7, vcc
	v_add_co_u32_e32 v8, vcc, s4, v8
	v_addc_co_u32_e32 v9, vcc, v9, v94, vcc
	;; [unrolled: 2-line block ×3, first 2 shown]
	v_mad_u64_u32 v[8:9], s[28:29], v34, s21, 0
	v_mad_i64_i32 v[8:9], s[22:23], s22, v5, v[8:9]
	v_add_co_u32_e32 v5, vcc, v8, v33
	v_addc_co_u32_e32 v8, vcc, 0, v9, vcc
	v_add_co_u32_e32 v5, vcc, s4, v5
	v_addc_co_u32_e32 v8, vcc, v8, v94, vcc
	;; [unrolled: 2-line block ×5, first 2 shown]
	v_add_u32_e32 v12, s0, v11
	v_add_co_u32_e32 v36, vcc, 2, v5
	v_addc_co_u32_e32 v35, vcc, 0, v6, vcc
	v_mad_u64_u32 v[6:7], s[22:23], v12, s21, v[2:3]
	s_ashr_i32 s25, s14, 31
	v_add_co_u32_e32 v5, vcc, v6, v92
	s_add_u32 s16, s6, 0x90
	v_addc_co_u32_e32 v8, vcc, 0, v7, vcc
	s_addc_u32 s17, s7, 0
	v_add_co_u32_e32 v5, vcc, s4, v5
	v_addc_co_u32_e32 v8, vcc, v8, v94, vcc
	s_add_u32 s22, s4, s26
	v_add_co_u32_e32 v38, vcc, s20, v5
	s_addc_u32 s23, s5, s27
	v_addc_co_u32_e32 v37, vcc, 0, v8, vcc
	v_pk_mov_b32 v[8:9], s[22:23], s[22:23] op_sel:[0,1]
	v_mad_u64_u32 v[8:9], s[22:23], v39, s21, v[8:9]
	s_movk_i32 s22, 0xd0
	v_add_co_u32_e32 v40, vcc, s22, v8
	v_addc_co_u32_e32 v39, vcc, 0, v9, vcc
	v_add_co_u32_e32 v5, vcc, v6, v10
	v_addc_co_u32_e32 v6, vcc, 0, v7, vcc
	v_add_co_u32_e32 v5, vcc, s4, v5
	v_addc_co_u32_e32 v6, vcc, v6, v94, vcc
	v_add_u32_e32 v13, s0, v12
	v_add_co_u32_e32 v42, vcc, 2, v5
	v_addc_co_u32_e32 v41, vcc, 0, v6, vcc
	v_mad_u64_u32 v[6:7], s[22:23], v13, s21, v[2:3]
	v_add_co_u32_e32 v5, vcc, v6, v92
	v_addc_co_u32_e32 v8, vcc, 0, v7, vcc
	v_add_co_u32_e32 v5, vcc, s4, v5
	v_addc_co_u32_e32 v8, vcc, v8, v94, vcc
	s_mul_i32 s22, s19, 0x78
	v_add_co_u32_e32 v44, vcc, s20, v5
	v_mov_b32_e32 v5, s22
	v_lshlrev_b32_e32 v130, 4, v4
	v_mad_i32_i24 v4, s19, v4, v5
	v_addc_co_u32_e32 v43, vcc, 0, v8, vcc
	v_mad_u64_u32 v[4:5], s[22:23], v4, s21, v[2:3]
	v_add_co_u32_e32 v8, vcc, v4, v10
	v_addc_co_u32_e32 v9, vcc, 0, v5, vcc
	v_mov_b32_e32 v11, s5
	v_add_co_u32_e32 v46, vcc, s4, v8
	v_addc_co_u32_e32 v45, vcc, v11, v9, vcc
	v_add_co_u32_e32 v6, vcc, v6, v10
	v_addc_co_u32_e32 v7, vcc, 0, v7, vcc
	;; [unrolled: 2-line block ×3, first 2 shown]
	v_add_u32_e32 v14, s0, v13
	v_add_co_u32_e32 v48, vcc, 2, v6
	v_addc_co_u32_e32 v47, vcc, 0, v7, vcc
	v_mad_u64_u32 v[6:7], s[22:23], v14, s21, v[2:3]
	v_add_co_u32_e32 v8, vcc, v6, v92
	v_addc_co_u32_e32 v9, vcc, 0, v7, vcc
	v_add_co_u32_e32 v8, vcc, s4, v8
	v_addc_co_u32_e32 v9, vcc, v9, v94, vcc
	;; [unrolled: 2-line block ×6, first 2 shown]
	v_add_co_u32_e32 v4, vcc, v6, v10
	v_add_u32_e32 v15, s0, v14
	v_addc_co_u32_e32 v5, vcc, 0, v7, vcc
	v_add_u32_e32 v16, s0, v15
	v_add_co_u32_e32 v4, vcc, s4, v4
	v_add_u32_e32 v17, s0, v16
	v_addc_co_u32_e32 v5, vcc, v5, v94, vcc
	v_add_u32_e32 v18, s0, v17
	v_add_co_u32_e32 v54, vcc, 2, v4
	v_add_u32_e32 v19, s0, v18
	v_addc_co_u32_e32 v53, vcc, 0, v5, vcc
	v_mad_u64_u32 v[4:5], s[22:23], v15, s21, v[2:3]
	v_add_u32_e32 v20, s0, v19
	v_add_co_u32_e32 v6, vcc, v4, v92
	v_add_u32_e32 v21, s0, v20
	v_addc_co_u32_e32 v7, vcc, 0, v5, vcc
	v_add_u32_e32 v75, s0, v21
	v_add_co_u32_e32 v6, vcc, s4, v6
	v_add_u32_e32 v69, s0, v75
	v_addc_co_u32_e32 v7, vcc, v7, v94, vcc
	v_add_u32_e32 v57, s0, v69
	v_add_co_u32_e32 v56, vcc, s20, v6
	v_addc_co_u32_e32 v55, vcc, 0, v7, vcc
	v_mad_u64_u32 v[6:7], s[22:23], v57, s21, v[2:3]
	v_add_co_u32_e32 v8, vcc, v6, v10
	v_addc_co_u32_e32 v9, vcc, 0, v7, vcc
	v_add_co_u32_e32 v58, vcc, s4, v8
	v_addc_co_u32_e32 v57, vcc, v11, v9, vcc
	v_add_co_u32_e32 v4, vcc, v4, v10
	v_addc_co_u32_e32 v5, vcc, 0, v5, vcc
	v_add_co_u32_e32 v4, vcc, s4, v4
	v_addc_co_u32_e32 v5, vcc, v5, v94, vcc
	v_add_co_u32_e32 v60, vcc, 2, v4
	v_addc_co_u32_e32 v59, vcc, 0, v5, vcc
	v_mad_u64_u32 v[4:5], s[22:23], v16, s21, v[2:3]
	v_add_co_u32_e32 v8, vcc, v4, v92
	v_addc_co_u32_e32 v9, vcc, 0, v5, vcc
	v_add_co_u32_e32 v8, vcc, s4, v8
	v_addc_co_u32_e32 v9, vcc, v9, v94, vcc
	v_add_co_u32_e32 v62, vcc, s20, v8
	v_addc_co_u32_e32 v61, vcc, 0, v9, vcc
	v_add_co_u32_e32 v6, vcc, v6, v92
	v_addc_co_u32_e32 v7, vcc, 0, v7, vcc
	v_add_co_u32_e32 v6, vcc, s4, v6
	v_addc_co_u32_e32 v7, vcc, v7, v94, vcc
	v_add_co_u32_e32 v64, vcc, s20, v6
	v_addc_co_u32_e32 v63, vcc, 0, v7, vcc
	v_add_co_u32_e32 v4, vcc, v4, v10
	v_addc_co_u32_e32 v5, vcc, 0, v5, vcc
	v_add_co_u32_e32 v4, vcc, s4, v4
	v_addc_co_u32_e32 v5, vcc, v5, v94, vcc
	v_add_co_u32_e32 v66, vcc, 2, v4
	v_addc_co_u32_e32 v65, vcc, 0, v5, vcc
	v_mad_u64_u32 v[4:5], s[22:23], v17, s21, v[2:3]
	v_add_co_u32_e32 v6, vcc, v4, v92
	v_addc_co_u32_e32 v7, vcc, 0, v5, vcc
	v_add_co_u32_e32 v6, vcc, s4, v6
	v_addc_co_u32_e32 v7, vcc, v7, v94, vcc
	v_add_co_u32_e32 v68, vcc, s20, v6
	v_addc_co_u32_e32 v67, vcc, 0, v7, vcc
	v_mad_u64_u32 v[6:7], s[22:23], v69, s21, v[2:3]
	v_add_co_u32_e32 v8, vcc, v6, v10
	v_addc_co_u32_e32 v9, vcc, 0, v7, vcc
	v_add_co_u32_e32 v70, vcc, s4, v8
	v_addc_co_u32_e32 v69, vcc, v11, v9, vcc
	v_add_co_u32_e32 v4, vcc, v4, v10
	v_addc_co_u32_e32 v5, vcc, 0, v5, vcc
	v_add_co_u32_e32 v4, vcc, s4, v4
	v_addc_co_u32_e32 v5, vcc, v5, v94, vcc
	v_add_co_u32_e32 v72, vcc, 2, v4
	v_addc_co_u32_e32 v71, vcc, 0, v5, vcc
	v_mad_u64_u32 v[4:5], s[22:23], v18, s21, v[2:3]
	v_add_co_u32_e32 v8, vcc, v4, v92
	v_addc_co_u32_e32 v9, vcc, 0, v5, vcc
	v_add_co_u32_e32 v8, vcc, s4, v8
	v_addc_co_u32_e32 v9, vcc, v9, v94, vcc
	v_add_co_u32_e32 v74, vcc, s20, v8
	v_addc_co_u32_e32 v73, vcc, 0, v9, vcc
	v_add_co_u32_e32 v6, vcc, v6, v92
	v_addc_co_u32_e32 v7, vcc, 0, v7, vcc
	v_add_co_u32_e32 v6, vcc, s4, v6
	v_addc_co_u32_e32 v7, vcc, v7, v94, vcc
	v_add_co_u32_e32 v76, vcc, s20, v6
	v_addc_co_u32_e32 v77, vcc, 0, v7, vcc
	v_add_co_u32_e32 v4, vcc, v4, v10
	v_addc_co_u32_e32 v5, vcc, 0, v5, vcc
	v_add_co_u32_e32 v4, vcc, s4, v4
	v_addc_co_u32_e32 v5, vcc, v5, v94, vcc
	v_add_co_u32_e32 v78, vcc, 2, v4
	v_addc_co_u32_e32 v79, vcc, 0, v5, vcc
	v_mad_u64_u32 v[4:5], s[22:23], v19, s21, v[2:3]
	v_add_co_u32_e32 v6, vcc, v4, v92
	v_addc_co_u32_e32 v7, vcc, 0, v5, vcc
	v_add_co_u32_e32 v6, vcc, s4, v6
	v_addc_co_u32_e32 v7, vcc, v7, v94, vcc
	;; [unrolled: 37-line block ×3, first 2 shown]
	v_add_co_u32_e32 v92, vcc, s20, v4
	v_addc_co_u32_e32 v93, vcc, 0, v5, vcc
	v_add_co_u32_e32 v2, vcc, v2, v10
	v_addc_co_u32_e32 v3, vcc, 0, v3, vcc
	;; [unrolled: 2-line block ×3, first 2 shown]
	v_mul_lo_u32 v24, v1, s9
	v_add_co_u32_e32 v94, vcc, 2, v2
	v_add_u32_e32 v108, 0x820, v107
	v_add_u32_e32 v109, 0x1040, v107
	;; [unrolled: 1-line block ×15, first 2 shown]
	v_cmp_gt_u32_e64 s[0:1], 4, v105
	v_mul_u32_u24_e32 v132, 0x104, v105
	v_cmp_gt_i32_e64 s[2:3], s8, v1
	v_ashrrev_i32_e32 v1, 31, v24
	v_addc_co_u32_e32 v95, vcc, 0, v3, vcc
	v_mov_b32_e32 v141, 0
	s_mov_b32 s21, 0xf0f0f0f
	s_mov_b32 s22, 0x30303030
	s_movk_i32 s23, 0x3f00
	s_movk_i32 s24, 0xe000
	v_mov_b32_e32 v144, s25
	v_mov_b32_e32 v145, 8
	;; [unrolled: 1-line block ×5, first 2 shown]
	s_branch .LBB195_6
.LBB195_4:                              ;   in Loop: Header=BB195_6 Depth=1
	s_or_b64 exec, exec, s[4:5]
	s_waitcnt lgkmcnt(0)
	s_barrier
	ds_read_b128 v[6:9], v129
	ds_read_b128 v[10:13], v129 offset:16
	ds_read_b128 v[14:17], v129 offset:32
	;; [unrolled: 1-line block ×3, first 2 shown]
	ds_read_b32 v146, v133
	ds_read2_b32 v[96:97], v132 offset0:38 offset1:39
	ds_read2_b32 v[100:101], v132 offset0:36 offset1:37
	;; [unrolled: 1-line block ×6, first 2 shown]
	ds_read_b128 v[2:5], v130 offset:36944
	ds_read2_b32 v[98:99], v131 offset0:2 offset1:3
	v_mov_b32_e32 v147, 0
	ds_read2_b32 v[154:155], v132 offset0:42 offset1:43
	ds_read2_b32 v[156:157], v132 offset0:40 offset1:41
	s_waitcnt lgkmcnt(4)
	v_dot4c_i32_i8_e32 v147, v152, v18
	v_dot4c_i32_i8_e32 v147, v153, v19
	;; [unrolled: 1-line block ×4, first 2 shown]
	v_mov_b32_e32 v151, 0
	v_dot4c_i32_i8_e32 v151, v100, v10
	v_dot4c_i32_i8_e32 v151, v101, v11
	v_dot4c_i32_i8_e32 v151, v96, v12
	v_dot4c_i32_i8_e32 v151, v97, v13
	v_mov_b32_e32 v97, 0
	v_dot4c_i32_i8_e32 v97, v148, v6
	v_dot4c_i32_i8_e32 v97, v149, v7
	s_waitcnt lgkmcnt(2)
	v_bfe_i32 v96, v98, 8, 8
	v_dot4c_i32_i8_e32 v97, v102, v8
	v_mul_lo_u32 v96, v151, v96
	v_dot4c_i32_i8_e32 v97, v103, v9
	v_bfe_i32 v100, v98, 0, 8
	v_mov_b32_e32 v150, 0
	s_waitcnt lgkmcnt(0)
	v_dot4c_i32_i8_e32 v150, v156, v14
	v_mad_u64_u32 v[96:97], s[4:5], v97, v100, v[96:97]
	v_cvt_f32_i32_e32 v96, v96
	v_dot4c_i32_i8_e32 v150, v157, v15
	v_dot4c_i32_i8_e32 v150, v154, v16
	;; [unrolled: 1-line block ×3, first 2 shown]
	v_fma_f32 v162, v2, v96, 0
	v_ashrrev_i32_e32 v96, 24, v98
	v_bfe_i32 v97, v98, 16, 8
	v_mul_lo_u32 v96, v147, v96
	v_mad_u64_u32 v[96:97], s[4:5], v150, v97, v[96:97]
	v_add_u32_e32 v100, 0x2110, v132
	v_add_u32_e32 v148, 0x2108, v132
	v_add_u32_e32 v150, 0x2100, v132
	v_add_u32_e32 v152, 0x2138, v132
	v_add_u32_e32 v154, 0x2130, v132
	v_cvt_f32_i32_e32 v147, v96
	ds_read2_b32 v[96:97], v137 offset0:2 offset1:3
	ds_read_b32 v166, v136 offset:128
	ds_read2_b32 v[102:103], v135 offset0:2 offset1:3
	ds_read2_b32 v[100:101], v100 offset1:1
	ds_read2_b32 v[148:149], v148 offset1:1
	;; [unrolled: 1-line block ×5, first 2 shown]
	v_mov_b32_e32 v163, 0
	v_add_u32_e32 v98, 0x2118, v132
	v_add_u32_e32 v156, 0x2128, v132
	;; [unrolled: 1-line block ×3, first 2 shown]
	s_waitcnt lgkmcnt(0)
	v_dot4c_i32_i8_e32 v163, v154, v18
	v_dot4c_i32_i8_e32 v163, v155, v19
	v_add_u32_e32 v160, 0x4198, v132
	v_dot4c_i32_i8_e32 v163, v152, v20
	ds_read2_b32 v[156:157], v156 offset1:1
	ds_read2_b32 v[158:159], v158 offset1:1
	;; [unrolled: 1-line block ×3, first 2 shown]
	v_dot4c_i32_i8_e32 v163, v153, v21
	ds_read2_b32 v[152:153], v98 offset1:1
	v_mov_b32_e32 v155, 0
	v_dot4c_i32_i8_e32 v155, v100, v10
	v_dot4c_i32_i8_e32 v155, v101, v11
	v_mov_b32_e32 v101, 0
	v_dot4c_i32_i8_e32 v101, v150, v6
	s_waitcnt lgkmcnt(0)
	v_dot4c_i32_i8_e32 v155, v152, v12
	v_dot4c_i32_i8_e32 v101, v151, v7
	v_mov_b32_e32 v154, 0
	v_dot4c_i32_i8_e32 v155, v153, v13
	v_bfe_i32 v100, v102, 8, 8
	v_dot4c_i32_i8_e32 v101, v148, v8
	v_dot4c_i32_i8_e32 v154, v158, v14
	v_mul_lo_u32 v100, v155, v100
	v_dot4c_i32_i8_e32 v101, v149, v9
	v_bfe_i32 v148, v102, 0, 8
	v_dot4c_i32_i8_e32 v154, v159, v15
	v_dot4c_i32_i8_e32 v154, v156, v16
	v_mad_u64_u32 v[100:101], s[4:5], v101, v148, v[100:101]
	v_cvt_f32_i32_e32 v148, v100
	v_ashrrev_i32_e32 v100, 24, v102
	v_dot4c_i32_i8_e32 v154, v157, v17
	v_bfe_i32 v101, v102, 16, 8
	v_mul_lo_u32 v100, v163, v100
	v_fmac_f32_e32 v162, v3, v147
	v_mad_u64_u32 v[100:101], s[4:5], v154, v101, v[100:101]
	v_cvt_f32_i32_e32 v100, v100
	v_fma_f32 v101, v2, v148, 0
	v_add_u32_e32 v147, 0x4188, v132
	v_add_u32_e32 v150, 0x4180, v132
	v_fmac_f32_e32 v101, v3, v100
	v_add_u32_e32 v100, 0x4190, v132
	v_add_u32_e32 v152, 0x41b8, v132
	ds_read_b32 v98, v140 offset:384
	ds_read_b32 v102, v138 offset:256
	v_fmac_f32_e32 v143, v166, v101
	ds_read2_b32 v[100:101], v100 offset1:1
	ds_read2_b32 v[148:149], v147 offset1:1
	;; [unrolled: 1-line block ×4, first 2 shown]
	v_add_u32_e32 v147, 0x41b0, v132
	ds_read2_b32 v[154:155], v147 offset1:1
	v_mov_b32_e32 v164, 0
	v_add_u32_e32 v156, 0x41a8, v132
	v_add_u32_e32 v158, 0x41a0, v132
	v_fmac_f32_e32 v141, v146, v162
	s_waitcnt lgkmcnt(0)
	v_dot4c_i32_i8_e32 v164, v154, v18
	v_dot4c_i32_i8_e32 v164, v155, v19
	;; [unrolled: 1-line block ×3, first 2 shown]
	v_mov_b32_e32 v152, 0
	v_dot4c_i32_i8_e32 v152, v100, v10
	v_dot4c_i32_i8_e32 v152, v101, v11
	v_mov_b32_e32 v101, 0
	v_dot4c_i32_i8_e32 v101, v150, v6
	v_dot4c_i32_i8_e32 v152, v160, v12
	;; [unrolled: 1-line block ×4, first 2 shown]
	v_bfe_i32 v100, v96, 8, 8
	v_dot4c_i32_i8_e32 v101, v148, v8
	v_add_u32_e32 v147, 0x6218, v132
	ds_read2_b32 v[156:157], v156 offset1:1
	ds_read2_b32 v[158:159], v158 offset1:1
	;; [unrolled: 1-line block ×3, first 2 shown]
	v_mul_lo_u32 v100, v152, v100
	v_dot4c_i32_i8_e32 v101, v149, v9
	v_bfe_i32 v148, v96, 0, 8
	v_mov_b32_e32 v147, 0
	s_waitcnt lgkmcnt(1)
	v_dot4c_i32_i8_e32 v147, v158, v14
	v_mad_u64_u32 v[100:101], s[4:5], v101, v148, v[100:101]
	v_cvt_f32_i32_e32 v100, v100
	v_dot4c_i32_i8_e32 v147, v159, v15
	v_dot4c_i32_i8_e32 v164, v153, v21
	v_dot4c_i32_i8_e32 v147, v156, v16
	v_fma_f32 v167, v2, v100, 0
	v_bfe_i32 v100, v96, 16, 8
	v_ashrrev_i32_e32 v96, 24, v96
	v_dot4c_i32_i8_e32 v147, v157, v17
	v_mul_lo_u32 v96, v164, v96
	v_add_u32_e32 v150, 0x6208, v132
	v_add_u32_e32 v152, 0x6200, v132
	v_mad_u64_u32 v[100:101], s[4:5], v147, v100, v[96:97]
	v_add_u32_e32 v147, 0x6210, v132
	v_add_u32_e32 v154, 0x6238, v132
	v_cvt_f32_i32_e32 v96, v100
	ds_read2_b32 v[100:101], v139 offset0:2 offset1:3
	ds_read2_b32 v[148:149], v147 offset1:1
	ds_read2_b32 v[150:151], v150 offset1:1
	;; [unrolled: 1-line block ×4, first 2 shown]
	v_add_u32_e32 v147, 0x6230, v132
	ds_read2_b32 v[156:157], v147 offset1:1
	v_add_u32_e32 v158, 0x6228, v132
	v_add_u32_e32 v160, 0x6220, v132
	;; [unrolled: 1-line block ×3, first 2 shown]
	ds_read2_b32 v[158:159], v158 offset1:1
	ds_read2_b32 v[160:161], v160 offset1:1
	;; [unrolled: 1-line block ×3, first 2 shown]
	v_mov_b32_e32 v168, 0
	s_waitcnt lgkmcnt(3)
	v_dot4c_i32_i8_e32 v168, v156, v18
	v_mov_b32_e32 v18, 0
	s_waitcnt lgkmcnt(1)
	v_dot4c_i32_i8_e32 v18, v160, v14
	v_mov_b32_e32 v14, 0
	v_dot4c_i32_i8_e32 v14, v148, v10
	v_dot4c_i32_i8_e32 v14, v149, v11
	v_mov_b32_e32 v11, 0
	v_dot4c_i32_i8_e32 v11, v152, v6
	v_dot4c_i32_i8_e32 v14, v162, v12
	;; [unrolled: 1-line block ×4, first 2 shown]
	v_bfe_i32 v10, v100, 8, 8
	v_dot4c_i32_i8_e32 v11, v150, v8
	v_dot4c_i32_i8_e32 v168, v157, v19
	v_mul_lo_u32 v10, v14, v10
	v_dot4c_i32_i8_e32 v11, v151, v9
	v_bfe_i32 v6, v100, 0, 8
	v_dot4c_i32_i8_e32 v168, v154, v20
	v_dot4c_i32_i8_e32 v18, v161, v15
	v_mad_u64_u32 v[6:7], s[4:5], v11, v6, v[10:11]
	v_dot4c_i32_i8_e32 v168, v155, v21
	v_dot4c_i32_i8_e32 v18, v158, v16
	v_cvt_f32_i32_e32 v8, v6
	v_ashrrev_i32_e32 v6, 24, v100
	v_dot4c_i32_i8_e32 v18, v159, v17
	v_bfe_i32 v7, v100, 16, 8
	v_mul_lo_u32 v6, v168, v6
	v_fma_f32 v2, v2, v8, 0
	v_mad_u64_u32 v[6:7], s[4:5], v18, v7, v[6:7]
	v_cvt_f32_i32_e32 v6, v6
	v_fmac_f32_e32 v167, v3, v96
	v_mov_b32_e32 v96, 0
	v_bfe_i32 v147, v99, 0, 8
	v_fmac_f32_e32 v2, v3, v6
	v_fmac_f32_e32 v75, v98, v2
	ds_read_b128 v[10:13], v129 offset:80
	ds_read_b128 v[6:9], v129 offset:64
	;; [unrolled: 1-line block ×4, first 2 shown]
	ds_read2_b32 v[2:3], v132 offset0:62 offset1:63
	ds_read2_b32 v[148:149], v132 offset0:60 offset1:61
	;; [unrolled: 1-line block ×6, first 2 shown]
	s_waitcnt lgkmcnt(4)
	v_dot4c_i32_i8_e32 v96, v148, v18
	v_dot4c_i32_i8_e32 v96, v149, v19
	;; [unrolled: 1-line block ×3, first 2 shown]
	v_mov_b32_e32 v2, 0
	s_waitcnt lgkmcnt(2)
	v_dot4c_i32_i8_e32 v2, v152, v10
	v_dot4c_i32_i8_e32 v2, v153, v11
	;; [unrolled: 1-line block ×5, first 2 shown]
	v_bfe_i32 v3, v99, 8, 8
	ds_read2_b32 v[158:159], v132 offset0:58 offset1:59
	ds_read2_b32 v[160:161], v132 offset0:56 offset1:57
	v_mul_lo_u32 v2, v2, v3
	v_mov_b32_e32 v3, 0
	s_waitcnt lgkmcnt(2)
	v_dot4c_i32_i8_e32 v3, v156, v6
	v_dot4c_i32_i8_e32 v3, v157, v7
	;; [unrolled: 1-line block ×4, first 2 shown]
	v_mov_b32_e32 v100, 0
	s_waitcnt lgkmcnt(0)
	v_dot4c_i32_i8_e32 v100, v160, v14
	v_dot4c_i32_i8_e32 v100, v161, v15
	v_mad_u64_u32 v[2:3], s[4:5], v3, v147, v[2:3]
	v_cvt_f32_i32_e32 v2, v2
	v_dot4c_i32_i8_e32 v100, v158, v16
	v_dot4c_i32_i8_e32 v100, v159, v17
	v_bfe_i32 v3, v99, 16, 8
	v_fma_f32 v147, v4, v2, 0
	v_ashrrev_i32_e32 v2, 24, v99
	v_mul_lo_u32 v2, v96, v2
	v_mad_u64_u32 v[2:3], s[4:5], v100, v3, v[2:3]
	v_cvt_f32_i32_e32 v96, v2
	v_add_u32_e32 v2, 0x2150, v132
	v_add_u32_e32 v99, 0x2148, v132
	v_add_u32_e32 v152, 0x2178, v132
	v_add_u32_e32 v100, 0x2140, v132
	ds_read2_b32 v[2:3], v2 offset1:1
	ds_read2_b32 v[148:149], v99 offset1:1
	;; [unrolled: 1-line block ×4, first 2 shown]
	v_add_u32_e32 v99, 0x2170, v132
	ds_read2_b32 v[154:155], v99 offset1:1
	v_mov_b32_e32 v100, 0
	v_add_u32_e32 v156, 0x2168, v132
	v_add_u32_e32 v158, 0x2160, v132
	;; [unrolled: 1-line block ×3, first 2 shown]
	s_waitcnt lgkmcnt(0)
	v_dot4c_i32_i8_e32 v100, v154, v18
	v_dot4c_i32_i8_e32 v100, v155, v19
	;; [unrolled: 1-line block ×3, first 2 shown]
	v_mov_b32_e32 v152, 0
	v_dot4c_i32_i8_e32 v152, v2, v10
	ds_read2_b32 v[156:157], v156 offset1:1
	ds_read2_b32 v[158:159], v158 offset1:1
	ds_read2_b32 v[160:161], v99 offset1:1
	v_dot4c_i32_i8_e32 v152, v3, v11
	v_mov_b32_e32 v3, 0
	v_dot4c_i32_i8_e32 v3, v150, v6
	v_dot4c_i32_i8_e32 v152, v164, v12
	;; [unrolled: 1-line block ×3, first 2 shown]
	v_mov_b32_e32 v99, 0
	v_dot4c_i32_i8_e32 v152, v165, v13
	v_bfe_i32 v2, v103, 8, 8
	v_dot4c_i32_i8_e32 v3, v148, v8
	s_waitcnt lgkmcnt(1)
	v_dot4c_i32_i8_e32 v99, v158, v14
	v_mul_lo_u32 v2, v152, v2
	v_dot4c_i32_i8_e32 v3, v149, v9
	v_bfe_i32 v148, v103, 0, 8
	v_dot4c_i32_i8_e32 v99, v159, v15
	v_dot4c_i32_i8_e32 v100, v153, v21
	v_mad_u64_u32 v[2:3], s[4:5], v3, v148, v[2:3]
	v_dot4c_i32_i8_e32 v99, v156, v16
	v_cvt_f32_i32_e32 v148, v2
	v_ashrrev_i32_e32 v2, 24, v103
	v_dot4c_i32_i8_e32 v99, v157, v17
	v_bfe_i32 v3, v103, 16, 8
	v_mul_lo_u32 v2, v100, v2
	v_fmac_f32_e32 v147, v5, v96
	v_mad_u64_u32 v[2:3], s[4:5], v99, v3, v[2:3]
	v_cvt_f32_i32_e32 v2, v2
	v_fma_f32 v3, v4, v148, 0
	v_add_u32_e32 v96, 0x41c8, v132
	v_add_u32_e32 v100, 0x41f8, v132
	v_fmac_f32_e32 v3, v5, v2
	v_add_u32_e32 v2, 0x41d0, v132
	v_fmac_f32_e32 v141, v146, v147
	v_fmac_f32_e32 v143, v166, v3
	v_add_u32_e32 v99, 0x41c0, v132
	ds_read2_b32 v[2:3], v2 offset1:1
	ds_read2_b32 v[146:147], v96 offset1:1
	;; [unrolled: 1-line block ×4, first 2 shown]
	v_add_u32_e32 v96, 0x41f0, v132
	v_add_u32_e32 v100, 0x41e8, v132
	v_add_u32_e32 v103, 0x41e0, v132
	ds_read2_b32 v[152:153], v96 offset1:1
	v_add_u32_e32 v96, 0x6258, v132
	ds_read2_b32 v[154:155], v100 offset1:1
	ds_read2_b32 v[156:157], v103 offset1:1
	;; [unrolled: 1-line block ×3, first 2 shown]
	v_mov_b32_e32 v100, 0
	s_waitcnt lgkmcnt(7)
	v_dot4c_i32_i8_e32 v100, v2, v10
	v_dot4c_i32_i8_e32 v100, v3, v11
	v_mov_b32_e32 v3, 0
	s_waitcnt lgkmcnt(5)
	v_dot4c_i32_i8_e32 v3, v148, v6
	v_dot4c_i32_i8_e32 v100, v160, v12
	;; [unrolled: 1-line block ×4, first 2 shown]
	v_bfe_i32 v2, v97, 8, 8
	v_dot4c_i32_i8_e32 v3, v146, v8
	v_dot4c_i32_i8_e32 v3, v147, v9
	v_mul_lo_u32 v2, v100, v2
	v_bfe_i32 v100, v97, 0, 8
	v_mov_b32_e32 v99, 0
	v_mad_u64_u32 v[2:3], s[4:5], v3, v100, v[2:3]
	v_cvt_f32_i32_e32 v2, v2
	s_waitcnt lgkmcnt(3)
	v_dot4c_i32_i8_e32 v99, v152, v18
	v_mov_b32_e32 v96, 0
	v_dot4c_i32_i8_e32 v99, v153, v19
	s_waitcnt lgkmcnt(1)
	v_dot4c_i32_i8_e32 v96, v156, v14
	v_dot4c_i32_i8_e32 v99, v150, v20
	;; [unrolled: 1-line block ×5, first 2 shown]
	v_fma_f32 v100, v4, v2, 0
	v_ashrrev_i32_e32 v2, 24, v97
	v_dot4c_i32_i8_e32 v96, v155, v17
	v_bfe_i32 v3, v97, 16, 8
	v_mul_lo_u32 v2, v99, v2
	v_add_u32_e32 v103, 0x6240, v132
	v_mad_u64_u32 v[2:3], s[4:5], v96, v3, v[2:3]
	v_cvt_f32_i32_e32 v99, v2
	v_add_u32_e32 v2, 0x6250, v132
	v_add_u32_e32 v96, 0x6248, v132
	;; [unrolled: 1-line block ×3, first 2 shown]
	ds_read2_b32 v[2:3], v2 offset1:1
	ds_read2_b32 v[96:97], v96 offset1:1
	ds_read2_b32 v[146:147], v103 offset1:1
	ds_read2_b32 v[148:149], v148 offset1:1
	v_add_u32_e32 v103, 0x6270, v132
	ds_read2_b32 v[150:151], v103 offset1:1
	v_add_u32_e32 v103, 0x6268, v132
	v_add_u32_e32 v154, 0x6260, v132
	ds_read2_b32 v[152:153], v103 offset1:1
	ds_read2_b32 v[154:155], v154 offset1:1
	v_mov_b32_e32 v156, 0
	s_waitcnt lgkmcnt(2)
	v_dot4c_i32_i8_e32 v156, v150, v18
	v_mov_b32_e32 v18, 0
	v_dot4c_i32_i8_e32 v156, v151, v19
	s_waitcnt lgkmcnt(0)
	v_dot4c_i32_i8_e32 v18, v154, v14
	v_mov_b32_e32 v14, 0
	v_dot4c_i32_i8_e32 v14, v2, v10
	v_dot4c_i32_i8_e32 v14, v3, v11
	v_mov_b32_e32 v3, 0
	v_dot4c_i32_i8_e32 v3, v146, v6
	v_dot4c_i32_i8_e32 v14, v158, v12
	;; [unrolled: 1-line block ×4, first 2 shown]
	v_bfe_i32 v2, v101, 8, 8
	v_dot4c_i32_i8_e32 v3, v96, v8
	v_dot4c_i32_i8_e32 v3, v97, v9
	v_mul_lo_u32 v2, v14, v2
	v_bfe_i32 v6, v101, 0, 8
	v_dot4c_i32_i8_e32 v156, v148, v20
	v_dot4c_i32_i8_e32 v18, v155, v15
	v_mad_u64_u32 v[2:3], s[4:5], v3, v6, v[2:3]
	v_dot4c_i32_i8_e32 v156, v149, v21
	v_dot4c_i32_i8_e32 v18, v152, v16
	v_cvt_f32_i32_e32 v6, v2
	v_ashrrev_i32_e32 v2, 24, v101
	v_dot4c_i32_i8_e32 v18, v153, v17
	v_bfe_i32 v3, v101, 16, 8
	v_mul_lo_u32 v2, v156, v2
	v_fmac_f32_e32 v142, v102, v167
	v_mad_u64_u32 v[2:3], s[4:5], v18, v3, v[2:3]
	v_cvt_f32_i32_e32 v2, v2
	v_fma_f32 v3, v4, v6, 0
	v_fmac_f32_e32 v100, v5, v99
	v_fmac_f32_e32 v142, v102, v100
	;; [unrolled: 1-line block ×4, first 2 shown]
	s_barrier
.LBB195_5:                              ;   in Loop: Header=BB195_6 Depth=1
	v_add_co_u32_e32 v26, vcc, 0xd2, v26
	v_addc_co_u32_e32 v25, vcc, 0, v25, vcc
	v_add_co_u32_e32 v28, vcc, 0xd2, v28
	v_addc_co_u32_e32 v27, vcc, 0, v27, vcc
	;; [unrolled: 2-line block ×34, first 2 shown]
	s_add_i32 s19, s19, -1
	s_addk_i32 s20, 0x100
	v_add_co_u32_e32 v94, vcc, 0xd2, v94
	v_add_u32_e32 v105, 8, v105
	v_add_u32_e32 v134, 8, v134
	;; [unrolled: 1-line block ×3, first 2 shown]
	s_cmp_eq_u32 s19, 0
	v_addc_co_u32_e32 v95, vcc, 0, v95, vcc
	s_cbranch_scc1 .LBB195_19
.LBB195_6:                              ; =>This Inner Loop Header: Depth=1
	v_add_co_u32_e32 v2, vcc, s14, v30
	v_addc_co_u32_e32 v3, vcc, v29, v144, vcc
	global_load_dword v6, v[2:3], off offset:-2
	v_add_co_u32_e32 v2, vcc, s14, v26
	v_addc_co_u32_e32 v3, vcc, v25, v144, vcc
	global_load_dword v7, v[2:3], off
	v_add_co_u32_e32 v2, vcc, s14, v36
	v_addc_co_u32_e32 v3, vcc, v35, v144, vcc
	global_load_dword v8, v[2:3], off offset:-2
	v_add_co_u32_e32 v2, vcc, s14, v32
	v_addc_co_u32_e32 v3, vcc, v31, v144, vcc
	global_load_dword v9, v[2:3], off
	v_add_co_u32_e32 v2, vcc, s14, v42
	v_addc_co_u32_e32 v3, vcc, v41, v144, vcc
	v_add_co_u32_e32 v4, vcc, s14, v38
	v_addc_co_u32_e32 v5, vcc, v37, v144, vcc
	global_load_dword v10, v[2:3], off offset:-2
	global_load_dword v11, v[4:5], off
	v_add_co_u32_e32 v2, vcc, s14, v48
	v_addc_co_u32_e32 v3, vcc, v47, v144, vcc
	v_add_co_u32_e32 v4, vcc, s14, v44
	v_addc_co_u32_e32 v5, vcc, v43, v144, vcc
	global_load_dword v12, v[2:3], off offset:-2
	s_nop 0
	global_load_dword v4, v[4:5], off
	s_add_i32 s4, s20, 0xffffff80
	s_cmp_lt_i32 s4, s15
	s_waitcnt vmcnt(7)
	v_and_b32_e32 v2, 0xf0f0f0f, v6
	v_lshrrev_b32_e32 v3, 4, v6
	s_waitcnt vmcnt(6)
	v_ashrrev_i32_e32 v5, v106, v7
	s_waitcnt vmcnt(5)
	v_and_b32_e32 v6, 0xf0f0f0f, v8
	v_lshrrev_b32_e32 v7, 4, v8
	s_waitcnt vmcnt(4)
	v_ashrrev_i32_e32 v8, v106, v9
	v_lshlrev_b32_e32 v9, 4, v5
	v_and_b32_e32 v5, 0x30303030, v5
	v_lshlrev_b32_e32 v13, 4, v8
	v_and_b32_e32 v8, 0x30303030, v8
	v_and_or_b32 v2, v9, s22, v2
	v_and_or_b32 v3, v3, s21, v5
	v_and_or_b32 v5, v13, s22, v6
	v_and_or_b32 v6, v7, s21, v8
	v_and_b32_e32 v7, 0x3f00, v2
	v_lshlrev_b16_e32 v8, 8, v2
	v_and_b32_sdwa v9, v2, s23 dst_sel:DWORD dst_unused:UNUSED_PAD src0_sel:WORD_1 src1_sel:DWORD
	v_lshlrev_b16_sdwa v2, v145, v2 dst_sel:DWORD dst_unused:UNUSED_PAD src0_sel:DWORD src1_sel:WORD_1
	v_and_b32_e32 v13, 0x3f00, v3
	v_lshlrev_b16_e32 v14, 8, v3
	v_and_b32_sdwa v15, v3, s23 dst_sel:DWORD dst_unused:UNUSED_PAD src0_sel:WORD_1 src1_sel:DWORD
	v_lshlrev_b16_sdwa v3, v145, v3 dst_sel:DWORD dst_unused:UNUSED_PAD src0_sel:DWORD src1_sel:WORD_1
	v_add_u16_e32 v8, 0xe000, v8
	v_add_u16_e32 v2, 0xe000, v2
	v_add_u16_e32 v14, 0xe000, v14
	v_add_u16_e32 v3, 0xe000, v3
	v_or_b32_sdwa v7, v7, v8 dst_sel:DWORD dst_unused:UNUSED_PAD src0_sel:DWORD src1_sel:BYTE_1
	v_or_b32_sdwa v2, v9, v2 dst_sel:DWORD dst_unused:UNUSED_PAD src0_sel:DWORD src1_sel:BYTE_1
	;; [unrolled: 1-line block ×4, first 2 shown]
	v_add_u16_e32 v7, 0xe000, v7
	v_add_u16_sdwa v2, v2, s24 dst_sel:WORD_1 dst_unused:UNUSED_PAD src0_sel:DWORD src1_sel:DWORD
	v_add_u16_e32 v8, 0xe000, v8
	v_add_u16_sdwa v3, v3, s24 dst_sel:WORD_1 dst_unused:UNUSED_PAD src0_sel:DWORD src1_sel:DWORD
	v_lshlrev_b16_e32 v20, 8, v6
	v_or_b32_e32 v2, v7, v2
	v_or_b32_e32 v3, v8, v3
	v_and_b32_e32 v19, 0x3f00, v6
	ds_write2_b32 v107, v2, v3 offset1:16
	v_add_u16_e32 v2, 0xe000, v20
	v_or_b32_sdwa v2, v19, v2 dst_sel:DWORD dst_unused:UNUSED_PAD src0_sel:DWORD src1_sel:BYTE_1
	v_and_b32_e32 v16, 0x3f00, v5
	v_lshlrev_b16_e32 v17, 8, v5
	v_and_b32_sdwa v18, v5, s23 dst_sel:DWORD dst_unused:UNUSED_PAD src0_sel:WORD_1 src1_sel:DWORD
	v_lshlrev_b16_sdwa v5, v145, v5 dst_sel:DWORD dst_unused:UNUSED_PAD src0_sel:DWORD src1_sel:WORD_1
	v_add_u16_e32 v7, 0xe000, v2
	v_add_co_u32_e32 v2, vcc, s14, v54
	v_add_u16_e32 v17, 0xe000, v17
	v_add_u16_e32 v5, 0xe000, v5
	v_addc_co_u32_e32 v3, vcc, v53, v144, vcc
	v_or_b32_sdwa v9, v16, v17 dst_sel:DWORD dst_unused:UNUSED_PAD src0_sel:DWORD src1_sel:BYTE_1
	v_or_b32_sdwa v5, v18, v5 dst_sel:DWORD dst_unused:UNUSED_PAD src0_sel:DWORD src1_sel:BYTE_1
	global_load_dword v8, v[2:3], off offset:-2
	v_add_co_u32_e32 v2, vcc, s14, v50
	v_add_u16_e32 v9, 0xe000, v9
	v_add_u16_sdwa v5, v5, s24 dst_sel:WORD_1 dst_unused:UNUSED_PAD src0_sel:DWORD src1_sel:DWORD
	v_addc_co_u32_e32 v3, vcc, v49, v144, vcc
	v_or_b32_e32 v5, v9, v5
	global_load_dword v9, v[2:3], off
	v_lshlrev_b16_sdwa v3, v145, v6 dst_sel:DWORD dst_unused:UNUSED_PAD src0_sel:DWORD src1_sel:WORD_1
	v_and_b32_sdwa v2, v6, s23 dst_sel:DWORD dst_unused:UNUSED_PAD src0_sel:WORD_1 src1_sel:DWORD
	v_add_u16_e32 v3, 0xe000, v3
	v_or_b32_sdwa v2, v2, v3 dst_sel:DWORD dst_unused:UNUSED_PAD src0_sel:DWORD src1_sel:BYTE_1
	v_add_u16_sdwa v2, v2, s24 dst_sel:WORD_1 dst_unused:UNUSED_PAD src0_sel:DWORD src1_sel:DWORD
	v_or_b32_e32 v2, v7, v2
	ds_write2_b32 v108, v5, v2 offset1:16
	s_waitcnt vmcnt(4)
	v_ashrrev_i32_e32 v5, v106, v11
	v_and_b32_e32 v2, 0xf0f0f0f, v10
	v_lshlrev_b32_e32 v6, 4, v5
	v_and_or_b32 v2, v6, s22, v2
	v_lshlrev_b16_e32 v7, 8, v2
	v_and_b32_e32 v6, 0x3f00, v2
	v_add_u16_e32 v7, 0xe000, v7
	v_or_b32_sdwa v6, v6, v7 dst_sel:DWORD dst_unused:UNUSED_PAD src0_sel:DWORD src1_sel:BYTE_1
	v_and_b32_sdwa v7, v2, s23 dst_sel:DWORD dst_unused:UNUSED_PAD src0_sel:WORD_1 src1_sel:DWORD
	v_lshlrev_b16_sdwa v2, v145, v2 dst_sel:DWORD dst_unused:UNUSED_PAD src0_sel:DWORD src1_sel:WORD_1
	v_add_u16_e32 v2, 0xe000, v2
	v_lshrrev_b32_e32 v3, 4, v10
	v_and_b32_e32 v5, 0x30303030, v5
	v_or_b32_sdwa v2, v7, v2 dst_sel:DWORD dst_unused:UNUSED_PAD src0_sel:DWORD src1_sel:BYTE_1
	v_add_u16_e32 v6, 0xe000, v6
	v_add_u16_sdwa v2, v2, s24 dst_sel:WORD_1 dst_unused:UNUSED_PAD src0_sel:DWORD src1_sel:DWORD
	v_and_or_b32 v3, v3, s21, v5
	v_or_b32_e32 v2, v6, v2
	v_lshlrev_b16_e32 v6, 8, v3
	v_and_b32_e32 v5, 0x3f00, v3
	v_add_u16_e32 v6, 0xe000, v6
	v_or_b32_sdwa v5, v5, v6 dst_sel:DWORD dst_unused:UNUSED_PAD src0_sel:DWORD src1_sel:BYTE_1
	v_and_b32_sdwa v6, v3, s23 dst_sel:DWORD dst_unused:UNUSED_PAD src0_sel:WORD_1 src1_sel:DWORD
	v_lshlrev_b16_sdwa v3, v145, v3 dst_sel:DWORD dst_unused:UNUSED_PAD src0_sel:DWORD src1_sel:WORD_1
	v_add_u16_e32 v3, 0xe000, v3
	v_or_b32_sdwa v3, v6, v3 dst_sel:DWORD dst_unused:UNUSED_PAD src0_sel:DWORD src1_sel:BYTE_1
	v_add_u16_e32 v5, 0xe000, v5
	v_add_u16_sdwa v3, v3, s24 dst_sel:WORD_1 dst_unused:UNUSED_PAD src0_sel:DWORD src1_sel:DWORD
	v_or_b32_e32 v3, v5, v3
	ds_write2_b32 v109, v2, v3 offset1:16
	v_add_co_u32_e32 v2, vcc, s14, v60
	v_addc_co_u32_e32 v3, vcc, v59, v144, vcc
	global_load_dword v7, v[2:3], off offset:-2
	v_add_co_u32_e32 v2, vcc, s14, v56
	v_addc_co_u32_e32 v3, vcc, v55, v144, vcc
	global_load_dword v10, v[2:3], off
	s_waitcnt vmcnt(4)
	v_ashrrev_i32_e32 v4, v106, v4
	v_and_b32_e32 v5, 0xf0f0f0f, v12
	v_lshlrev_b32_e32 v2, 4, v4
	v_and_or_b32 v2, v2, s22, v5
	v_lshlrev_b16_e32 v5, 8, v2
	v_and_b32_e32 v3, 0x30303030, v4
	v_and_b32_e32 v4, 0x3f00, v2
	v_add_u16_e32 v5, 0xe000, v5
	v_or_b32_sdwa v4, v4, v5 dst_sel:DWORD dst_unused:UNUSED_PAD src0_sel:DWORD src1_sel:BYTE_1
	v_and_b32_sdwa v5, v2, s23 dst_sel:DWORD dst_unused:UNUSED_PAD src0_sel:WORD_1 src1_sel:DWORD
	v_lshlrev_b16_sdwa v2, v145, v2 dst_sel:DWORD dst_unused:UNUSED_PAD src0_sel:DWORD src1_sel:WORD_1
	v_lshrrev_b32_e32 v6, 4, v12
	v_add_u16_e32 v2, 0xe000, v2
	v_or_b32_sdwa v2, v5, v2 dst_sel:DWORD dst_unused:UNUSED_PAD src0_sel:DWORD src1_sel:BYTE_1
	v_and_or_b32 v3, v6, s21, v3
	v_add_u16_e32 v4, 0xe000, v4
	v_add_u16_sdwa v2, v2, s24 dst_sel:WORD_1 dst_unused:UNUSED_PAD src0_sel:DWORD src1_sel:DWORD
	v_lshlrev_b16_e32 v5, 8, v3
	v_or_b32_e32 v2, v4, v2
	v_and_b32_e32 v4, 0x3f00, v3
	v_add_u16_e32 v5, 0xe000, v5
	v_or_b32_sdwa v4, v4, v5 dst_sel:DWORD dst_unused:UNUSED_PAD src0_sel:DWORD src1_sel:BYTE_1
	v_and_b32_sdwa v5, v3, s23 dst_sel:DWORD dst_unused:UNUSED_PAD src0_sel:WORD_1 src1_sel:DWORD
	v_lshlrev_b16_sdwa v3, v145, v3 dst_sel:DWORD dst_unused:UNUSED_PAD src0_sel:DWORD src1_sel:WORD_1
	v_add_u16_e32 v3, 0xe000, v3
	v_or_b32_sdwa v3, v5, v3 dst_sel:DWORD dst_unused:UNUSED_PAD src0_sel:DWORD src1_sel:BYTE_1
	v_add_u16_e32 v4, 0xe000, v4
	v_add_u16_sdwa v3, v3, s24 dst_sel:WORD_1 dst_unused:UNUSED_PAD src0_sel:DWORD src1_sel:DWORD
	v_or_b32_e32 v3, v4, v3
	ds_write2_b32 v110, v2, v3 offset1:16
	v_add_co_u32_e32 v2, vcc, s14, v66
	v_addc_co_u32_e32 v3, vcc, v65, v144, vcc
	s_waitcnt vmcnt(3)
	v_and_b32_e32 v4, 0xf0f0f0f, v8
	v_lshrrev_b32_e32 v5, 4, v8
	global_load_dword v8, v[2:3], off offset:-2
	v_add_co_u32_e32 v2, vcc, s14, v62
	v_addc_co_u32_e32 v3, vcc, v61, v144, vcc
	s_waitcnt vmcnt(3)
	v_ashrrev_i32_e32 v6, v106, v9
	global_load_dword v9, v[2:3], off
	v_lshlrev_b32_e32 v2, 4, v6
	v_and_or_b32 v2, v2, s22, v4
	v_and_b32_e32 v3, 0x30303030, v6
	v_lshlrev_b16_e32 v6, 8, v2
	v_and_b32_e32 v4, 0x3f00, v2
	v_add_u16_e32 v6, 0xe000, v6
	v_or_b32_sdwa v4, v4, v6 dst_sel:DWORD dst_unused:UNUSED_PAD src0_sel:DWORD src1_sel:BYTE_1
	v_and_b32_sdwa v6, v2, s23 dst_sel:DWORD dst_unused:UNUSED_PAD src0_sel:WORD_1 src1_sel:DWORD
	v_lshlrev_b16_sdwa v2, v145, v2 dst_sel:DWORD dst_unused:UNUSED_PAD src0_sel:DWORD src1_sel:WORD_1
	v_add_u16_e32 v2, 0xe000, v2
	v_or_b32_sdwa v2, v6, v2 dst_sel:DWORD dst_unused:UNUSED_PAD src0_sel:DWORD src1_sel:BYTE_1
	v_and_or_b32 v5, v5, s21, v3
	v_add_u16_e32 v4, 0xe000, v4
	v_add_u16_sdwa v2, v2, s24 dst_sel:WORD_1 dst_unused:UNUSED_PAD src0_sel:DWORD src1_sel:DWORD
	v_lshlrev_b16_e32 v3, 8, v5
	v_or_b32_e32 v4, v4, v2
	v_and_b32_e32 v2, 0x3f00, v5
	v_add_u16_e32 v3, 0xe000, v3
	v_or_b32_sdwa v2, v2, v3 dst_sel:DWORD dst_unused:UNUSED_PAD src0_sel:DWORD src1_sel:BYTE_1
	v_add_u16_e32 v6, 0xe000, v2
	v_add_co_u32_e32 v2, vcc, s14, v72
	v_addc_co_u32_e32 v3, vcc, v71, v144, vcc
	global_load_dword v11, v[2:3], off offset:-2
	v_add_co_u32_e32 v2, vcc, s14, v68
	v_addc_co_u32_e32 v3, vcc, v67, v144, vcc
	global_load_dword v12, v[2:3], off
	v_lshlrev_b16_sdwa v3, v145, v5 dst_sel:DWORD dst_unused:UNUSED_PAD src0_sel:DWORD src1_sel:WORD_1
	v_and_b32_sdwa v2, v5, s23 dst_sel:DWORD dst_unused:UNUSED_PAD src0_sel:WORD_1 src1_sel:DWORD
	v_add_u16_e32 v3, 0xe000, v3
	v_or_b32_sdwa v2, v2, v3 dst_sel:DWORD dst_unused:UNUSED_PAD src0_sel:DWORD src1_sel:BYTE_1
	v_add_u16_sdwa v2, v2, s24 dst_sel:WORD_1 dst_unused:UNUSED_PAD src0_sel:DWORD src1_sel:DWORD
	v_or_b32_e32 v2, v6, v2
	ds_write2_b32 v111, v4, v2 offset1:16
	s_waitcnt vmcnt(4)
	v_ashrrev_i32_e32 v4, v106, v10
	v_and_b32_e32 v2, 0xf0f0f0f, v7
	v_lshlrev_b32_e32 v5, 4, v4
	v_and_or_b32 v2, v5, s22, v2
	v_lshlrev_b16_e32 v6, 8, v2
	v_and_b32_e32 v5, 0x3f00, v2
	v_add_u16_e32 v6, 0xe000, v6
	v_or_b32_sdwa v5, v5, v6 dst_sel:DWORD dst_unused:UNUSED_PAD src0_sel:DWORD src1_sel:BYTE_1
	v_and_b32_sdwa v6, v2, s23 dst_sel:DWORD dst_unused:UNUSED_PAD src0_sel:WORD_1 src1_sel:DWORD
	v_lshlrev_b16_sdwa v2, v145, v2 dst_sel:DWORD dst_unused:UNUSED_PAD src0_sel:DWORD src1_sel:WORD_1
	v_lshrrev_b32_e32 v3, 4, v7
	v_and_b32_e32 v4, 0x30303030, v4
	v_add_u16_e32 v2, 0xe000, v2
	v_or_b32_sdwa v2, v6, v2 dst_sel:DWORD dst_unused:UNUSED_PAD src0_sel:DWORD src1_sel:BYTE_1
	v_and_or_b32 v4, v3, s21, v4
	v_add_u16_e32 v5, 0xe000, v5
	v_add_u16_sdwa v2, v2, s24 dst_sel:WORD_1 dst_unused:UNUSED_PAD src0_sel:DWORD src1_sel:DWORD
	v_lshlrev_b16_e32 v3, 8, v4
	v_or_b32_e32 v5, v5, v2
	v_and_b32_e32 v2, 0x3f00, v4
	v_add_u16_e32 v3, 0xe000, v3
	v_or_b32_sdwa v2, v2, v3 dst_sel:DWORD dst_unused:UNUSED_PAD src0_sel:DWORD src1_sel:BYTE_1
	v_add_u16_e32 v6, 0xe000, v2
	v_add_co_u32_e32 v2, vcc, s14, v78
	v_addc_co_u32_e32 v3, vcc, v79, v144, vcc
	global_load_dword v7, v[2:3], off offset:-2
	v_add_co_u32_e32 v2, vcc, s14, v74
	v_addc_co_u32_e32 v3, vcc, v73, v144, vcc
	global_load_dword v10, v[2:3], off
	v_lshlrev_b16_sdwa v3, v145, v4 dst_sel:DWORD dst_unused:UNUSED_PAD src0_sel:DWORD src1_sel:WORD_1
	v_and_b32_sdwa v2, v4, s23 dst_sel:DWORD dst_unused:UNUSED_PAD src0_sel:WORD_1 src1_sel:DWORD
	v_add_u16_e32 v3, 0xe000, v3
	v_or_b32_sdwa v2, v2, v3 dst_sel:DWORD dst_unused:UNUSED_PAD src0_sel:DWORD src1_sel:BYTE_1
	v_add_u16_sdwa v2, v2, s24 dst_sel:WORD_1 dst_unused:UNUSED_PAD src0_sel:DWORD src1_sel:DWORD
	v_or_b32_e32 v2, v6, v2
	ds_write2_b32 v112, v5, v2 offset1:16
	s_waitcnt vmcnt(5)
	v_and_b32_e32 v2, 0xf0f0f0f, v8
	v_lshrrev_b32_e32 v3, 4, v8
	s_waitcnt vmcnt(4)
	v_ashrrev_i32_e32 v4, v106, v9
	v_lshlrev_b32_e32 v5, 4, v4
	v_and_or_b32 v2, v5, s22, v2
	v_lshlrev_b16_e32 v6, 8, v2
	v_and_b32_e32 v5, 0x3f00, v2
	v_add_u16_e32 v6, 0xe000, v6
	v_or_b32_sdwa v5, v5, v6 dst_sel:DWORD dst_unused:UNUSED_PAD src0_sel:DWORD src1_sel:BYTE_1
	v_and_b32_sdwa v6, v2, s23 dst_sel:DWORD dst_unused:UNUSED_PAD src0_sel:WORD_1 src1_sel:DWORD
	v_lshlrev_b16_sdwa v2, v145, v2 dst_sel:DWORD dst_unused:UNUSED_PAD src0_sel:DWORD src1_sel:WORD_1
	v_add_u16_e32 v2, 0xe000, v2
	v_and_b32_e32 v4, 0x30303030, v4
	v_or_b32_sdwa v2, v6, v2 dst_sel:DWORD dst_unused:UNUSED_PAD src0_sel:DWORD src1_sel:BYTE_1
	v_add_u16_e32 v5, 0xe000, v5
	v_add_u16_sdwa v2, v2, s24 dst_sel:WORD_1 dst_unused:UNUSED_PAD src0_sel:DWORD src1_sel:DWORD
	v_and_or_b32 v3, v3, s21, v4
	v_or_b32_e32 v2, v5, v2
	v_lshlrev_b16_e32 v5, 8, v3
	v_and_b32_e32 v4, 0x3f00, v3
	v_add_u16_e32 v5, 0xe000, v5
	v_or_b32_sdwa v4, v4, v5 dst_sel:DWORD dst_unused:UNUSED_PAD src0_sel:DWORD src1_sel:BYTE_1
	v_and_b32_sdwa v5, v3, s23 dst_sel:DWORD dst_unused:UNUSED_PAD src0_sel:WORD_1 src1_sel:DWORD
	v_lshlrev_b16_sdwa v3, v145, v3 dst_sel:DWORD dst_unused:UNUSED_PAD src0_sel:DWORD src1_sel:WORD_1
	v_add_u16_e32 v3, 0xe000, v3
	v_or_b32_sdwa v3, v5, v3 dst_sel:DWORD dst_unused:UNUSED_PAD src0_sel:DWORD src1_sel:BYTE_1
	v_add_u16_e32 v4, 0xe000, v4
	v_add_u16_sdwa v3, v3, s24 dst_sel:WORD_1 dst_unused:UNUSED_PAD src0_sel:DWORD src1_sel:DWORD
	v_or_b32_e32 v3, v4, v3
	ds_write2_b32 v113, v2, v3 offset1:16
	v_add_co_u32_e32 v2, vcc, s14, v84
	v_addc_co_u32_e32 v3, vcc, v85, v144, vcc
	global_load_dword v8, v[2:3], off offset:-2
	v_add_co_u32_e32 v2, vcc, s14, v80
	v_addc_co_u32_e32 v3, vcc, v81, v144, vcc
	s_waitcnt vmcnt(3)
	v_ashrrev_i32_e32 v6, v106, v12
	global_load_dword v9, v[2:3], off
	v_and_b32_e32 v4, 0xf0f0f0f, v11
	v_lshlrev_b32_e32 v2, 4, v6
	v_and_or_b32 v2, v2, s22, v4
	v_and_b32_e32 v3, 0x30303030, v6
	v_lshlrev_b16_e32 v6, 8, v2
	v_and_b32_e32 v4, 0x3f00, v2
	v_add_u16_e32 v6, 0xe000, v6
	v_or_b32_sdwa v4, v4, v6 dst_sel:DWORD dst_unused:UNUSED_PAD src0_sel:DWORD src1_sel:BYTE_1
	v_and_b32_sdwa v6, v2, s23 dst_sel:DWORD dst_unused:UNUSED_PAD src0_sel:WORD_1 src1_sel:DWORD
	v_lshlrev_b16_sdwa v2, v145, v2 dst_sel:DWORD dst_unused:UNUSED_PAD src0_sel:DWORD src1_sel:WORD_1
	v_lshrrev_b32_e32 v5, 4, v11
	v_add_u16_e32 v2, 0xe000, v2
	v_or_b32_sdwa v2, v6, v2 dst_sel:DWORD dst_unused:UNUSED_PAD src0_sel:DWORD src1_sel:BYTE_1
	v_and_or_b32 v3, v5, s21, v3
	v_add_u16_e32 v4, 0xe000, v4
	v_add_u16_sdwa v2, v2, s24 dst_sel:WORD_1 dst_unused:UNUSED_PAD src0_sel:DWORD src1_sel:DWORD
	v_lshlrev_b16_e32 v5, 8, v3
	v_or_b32_e32 v2, v4, v2
	v_and_b32_e32 v4, 0x3f00, v3
	v_add_u16_e32 v5, 0xe000, v5
	v_or_b32_sdwa v4, v4, v5 dst_sel:DWORD dst_unused:UNUSED_PAD src0_sel:DWORD src1_sel:BYTE_1
	v_and_b32_sdwa v5, v3, s23 dst_sel:DWORD dst_unused:UNUSED_PAD src0_sel:WORD_1 src1_sel:DWORD
	v_lshlrev_b16_sdwa v3, v145, v3 dst_sel:DWORD dst_unused:UNUSED_PAD src0_sel:DWORD src1_sel:WORD_1
	v_add_u16_e32 v3, 0xe000, v3
	v_or_b32_sdwa v3, v5, v3 dst_sel:DWORD dst_unused:UNUSED_PAD src0_sel:DWORD src1_sel:BYTE_1
	v_add_u16_e32 v4, 0xe000, v4
	v_add_u16_sdwa v3, v3, s24 dst_sel:WORD_1 dst_unused:UNUSED_PAD src0_sel:DWORD src1_sel:DWORD
	v_or_b32_e32 v3, v4, v3
	ds_write2_b32 v114, v2, v3 offset1:16
	v_add_co_u32_e32 v2, vcc, s14, v90
	v_addc_co_u32_e32 v3, vcc, v91, v144, vcc
	s_waitcnt vmcnt(3)
	v_and_b32_e32 v4, 0xf0f0f0f, v7
	v_lshrrev_b32_e32 v5, 4, v7
	global_load_dword v7, v[2:3], off offset:-2
	v_add_co_u32_e32 v2, vcc, s14, v86
	v_addc_co_u32_e32 v3, vcc, v87, v144, vcc
	s_waitcnt vmcnt(3)
	v_ashrrev_i32_e32 v6, v106, v10
	global_load_dword v10, v[2:3], off
	v_lshlrev_b32_e32 v2, 4, v6
	v_and_or_b32 v2, v2, s22, v4
	v_and_b32_e32 v3, 0x30303030, v6
	v_lshlrev_b16_e32 v6, 8, v2
	v_and_b32_e32 v4, 0x3f00, v2
	v_add_u16_e32 v6, 0xe000, v6
	v_or_b32_sdwa v4, v4, v6 dst_sel:DWORD dst_unused:UNUSED_PAD src0_sel:DWORD src1_sel:BYTE_1
	v_and_b32_sdwa v6, v2, s23 dst_sel:DWORD dst_unused:UNUSED_PAD src0_sel:WORD_1 src1_sel:DWORD
	v_lshlrev_b16_sdwa v2, v145, v2 dst_sel:DWORD dst_unused:UNUSED_PAD src0_sel:DWORD src1_sel:WORD_1
	v_add_u16_e32 v2, 0xe000, v2
	v_or_b32_sdwa v2, v6, v2 dst_sel:DWORD dst_unused:UNUSED_PAD src0_sel:DWORD src1_sel:BYTE_1
	v_and_or_b32 v5, v5, s21, v3
	v_add_u16_e32 v4, 0xe000, v4
	v_add_u16_sdwa v2, v2, s24 dst_sel:WORD_1 dst_unused:UNUSED_PAD src0_sel:DWORD src1_sel:DWORD
	v_lshlrev_b16_e32 v3, 8, v5
	v_or_b32_e32 v4, v4, v2
	v_and_b32_e32 v2, 0x3f00, v5
	v_add_u16_e32 v3, 0xe000, v3
	v_or_b32_sdwa v2, v2, v3 dst_sel:DWORD dst_unused:UNUSED_PAD src0_sel:DWORD src1_sel:BYTE_1
	v_add_u16_e32 v6, 0xe000, v2
	v_add_co_u32_e32 v2, vcc, s14, v94
	v_addc_co_u32_e32 v3, vcc, v95, v144, vcc
	global_load_dword v11, v[2:3], off offset:-2
	v_add_co_u32_e32 v2, vcc, s14, v92
	v_addc_co_u32_e32 v3, vcc, v93, v144, vcc
	global_load_dword v12, v[2:3], off
	v_lshlrev_b16_sdwa v3, v145, v5 dst_sel:DWORD dst_unused:UNUSED_PAD src0_sel:DWORD src1_sel:WORD_1
	v_and_b32_sdwa v2, v5, s23 dst_sel:DWORD dst_unused:UNUSED_PAD src0_sel:WORD_1 src1_sel:DWORD
	v_add_u16_e32 v3, 0xe000, v3
	v_or_b32_sdwa v2, v2, v3 dst_sel:DWORD dst_unused:UNUSED_PAD src0_sel:DWORD src1_sel:BYTE_1
	v_add_u16_sdwa v2, v2, s24 dst_sel:WORD_1 dst_unused:UNUSED_PAD src0_sel:DWORD src1_sel:DWORD
	v_or_b32_e32 v2, v6, v2
	ds_write2_b32 v115, v4, v2 offset1:16
	s_waitcnt vmcnt(4)
	v_ashrrev_i32_e32 v4, v106, v9
	v_and_b32_e32 v2, 0xf0f0f0f, v8
	v_lshlrev_b32_e32 v5, 4, v4
	v_and_or_b32 v2, v5, s22, v2
	v_lshlrev_b16_e32 v6, 8, v2
	v_and_b32_e32 v5, 0x3f00, v2
	v_add_u16_e32 v6, 0xe000, v6
	v_or_b32_sdwa v5, v5, v6 dst_sel:DWORD dst_unused:UNUSED_PAD src0_sel:DWORD src1_sel:BYTE_1
	v_and_b32_sdwa v6, v2, s23 dst_sel:DWORD dst_unused:UNUSED_PAD src0_sel:WORD_1 src1_sel:DWORD
	v_lshlrev_b16_sdwa v2, v145, v2 dst_sel:DWORD dst_unused:UNUSED_PAD src0_sel:DWORD src1_sel:WORD_1
	v_lshrrev_b32_e32 v3, 4, v8
	v_and_b32_e32 v4, 0x30303030, v4
	v_add_u16_e32 v2, 0xe000, v2
	v_or_b32_sdwa v2, v6, v2 dst_sel:DWORD dst_unused:UNUSED_PAD src0_sel:DWORD src1_sel:BYTE_1
	v_and_or_b32 v4, v3, s21, v4
	v_add_u16_e32 v5, 0xe000, v5
	v_add_u16_sdwa v2, v2, s24 dst_sel:WORD_1 dst_unused:UNUSED_PAD src0_sel:DWORD src1_sel:DWORD
	v_lshlrev_b16_e32 v3, 8, v4
	v_or_b32_e32 v5, v5, v2
	v_and_b32_e32 v2, 0x3f00, v4
	v_add_u16_e32 v3, 0xe000, v3
	v_or_b32_sdwa v2, v2, v3 dst_sel:DWORD dst_unused:UNUSED_PAD src0_sel:DWORD src1_sel:BYTE_1
	v_add_u16_e32 v6, 0xe000, v2
	v_add_co_u32_e32 v2, vcc, s14, v82
	v_addc_co_u32_e32 v3, vcc, v83, v144, vcc
	global_load_dword v8, v[2:3], off
	v_add_co_u32_e32 v2, vcc, s14, v88
	v_addc_co_u32_e32 v3, vcc, v89, v144, vcc
	global_load_dword v9, v[2:3], off
	v_lshlrev_b16_sdwa v3, v145, v4 dst_sel:DWORD dst_unused:UNUSED_PAD src0_sel:DWORD src1_sel:WORD_1
	v_and_b32_sdwa v2, v4, s23 dst_sel:DWORD dst_unused:UNUSED_PAD src0_sel:WORD_1 src1_sel:DWORD
	v_add_u16_e32 v3, 0xe000, v3
	v_or_b32_sdwa v2, v2, v3 dst_sel:DWORD dst_unused:UNUSED_PAD src0_sel:DWORD src1_sel:BYTE_1
	v_add_u16_sdwa v2, v2, s24 dst_sel:WORD_1 dst_unused:UNUSED_PAD src0_sel:DWORD src1_sel:DWORD
	v_or_b32_e32 v2, v6, v2
	ds_write2_b32 v116, v5, v2 offset1:16
	s_waitcnt vmcnt(5)
	v_and_b32_e32 v2, 0xf0f0f0f, v7
	v_lshrrev_b32_e32 v3, 4, v7
	s_waitcnt vmcnt(4)
	v_ashrrev_i32_e32 v4, v106, v10
	v_lshlrev_b32_e32 v5, 4, v4
	v_and_or_b32 v2, v5, s22, v2
	v_lshlrev_b16_e32 v6, 8, v2
	v_and_b32_e32 v5, 0x3f00, v2
	v_add_u16_e32 v6, 0xe000, v6
	v_or_b32_sdwa v5, v5, v6 dst_sel:DWORD dst_unused:UNUSED_PAD src0_sel:DWORD src1_sel:BYTE_1
	v_and_b32_sdwa v6, v2, s23 dst_sel:DWORD dst_unused:UNUSED_PAD src0_sel:WORD_1 src1_sel:DWORD
	v_lshlrev_b16_sdwa v2, v145, v2 dst_sel:DWORD dst_unused:UNUSED_PAD src0_sel:DWORD src1_sel:WORD_1
	v_add_u16_e32 v2, 0xe000, v2
	v_and_b32_e32 v4, 0x30303030, v4
	v_or_b32_sdwa v2, v6, v2 dst_sel:DWORD dst_unused:UNUSED_PAD src0_sel:DWORD src1_sel:BYTE_1
	v_add_u16_e32 v5, 0xe000, v5
	v_add_u16_sdwa v2, v2, s24 dst_sel:WORD_1 dst_unused:UNUSED_PAD src0_sel:DWORD src1_sel:DWORD
	v_and_or_b32 v3, v3, s21, v4
	v_or_b32_e32 v2, v5, v2
	v_lshlrev_b16_e32 v5, 8, v3
	v_and_b32_e32 v4, 0x3f00, v3
	v_add_u16_e32 v5, 0xe000, v5
	v_or_b32_sdwa v4, v4, v5 dst_sel:DWORD dst_unused:UNUSED_PAD src0_sel:DWORD src1_sel:BYTE_1
	v_and_b32_sdwa v5, v3, s23 dst_sel:DWORD dst_unused:UNUSED_PAD src0_sel:WORD_1 src1_sel:DWORD
	v_lshlrev_b16_sdwa v3, v145, v3 dst_sel:DWORD dst_unused:UNUSED_PAD src0_sel:DWORD src1_sel:WORD_1
	v_add_u16_e32 v3, 0xe000, v3
	v_or_b32_sdwa v3, v5, v3 dst_sel:DWORD dst_unused:UNUSED_PAD src0_sel:DWORD src1_sel:BYTE_1
	v_add_u16_e32 v4, 0xe000, v4
	v_add_u16_sdwa v3, v3, s24 dst_sel:WORD_1 dst_unused:UNUSED_PAD src0_sel:DWORD src1_sel:DWORD
	v_or_b32_e32 v3, v4, v3
	ds_write2_b32 v117, v2, v3 offset1:16
	v_add_co_u32_e32 v2, vcc, s14, v70
	v_addc_co_u32_e32 v3, vcc, v69, v144, vcc
	global_load_dword v7, v[2:3], off
	v_add_co_u32_e32 v2, vcc, s14, v76
	v_addc_co_u32_e32 v3, vcc, v77, v144, vcc
	global_load_dword v10, v[2:3], off
	s_waitcnt vmcnt(4)
	v_ashrrev_i32_e32 v6, v106, v12
	v_and_b32_e32 v4, 0xf0f0f0f, v11
	v_lshlrev_b32_e32 v2, 4, v6
	v_and_or_b32 v2, v2, s22, v4
	v_and_b32_e32 v3, 0x30303030, v6
	v_lshlrev_b16_e32 v6, 8, v2
	v_and_b32_e32 v4, 0x3f00, v2
	v_add_u16_e32 v6, 0xe000, v6
	v_or_b32_sdwa v4, v4, v6 dst_sel:DWORD dst_unused:UNUSED_PAD src0_sel:DWORD src1_sel:BYTE_1
	v_and_b32_sdwa v6, v2, s23 dst_sel:DWORD dst_unused:UNUSED_PAD src0_sel:WORD_1 src1_sel:DWORD
	v_lshlrev_b16_sdwa v2, v145, v2 dst_sel:DWORD dst_unused:UNUSED_PAD src0_sel:DWORD src1_sel:WORD_1
	v_lshrrev_b32_e32 v5, 4, v11
	v_add_u16_e32 v2, 0xe000, v2
	v_or_b32_sdwa v2, v6, v2 dst_sel:DWORD dst_unused:UNUSED_PAD src0_sel:DWORD src1_sel:BYTE_1
	v_and_or_b32 v3, v5, s21, v3
	v_add_u16_e32 v4, 0xe000, v4
	v_add_u16_sdwa v2, v2, s24 dst_sel:WORD_1 dst_unused:UNUSED_PAD src0_sel:DWORD src1_sel:DWORD
	v_lshlrev_b16_e32 v5, 8, v3
	v_or_b32_e32 v2, v4, v2
	v_and_b32_e32 v4, 0x3f00, v3
	v_add_u16_e32 v5, 0xe000, v5
	v_or_b32_sdwa v4, v4, v5 dst_sel:DWORD dst_unused:UNUSED_PAD src0_sel:DWORD src1_sel:BYTE_1
	v_and_b32_sdwa v5, v3, s23 dst_sel:DWORD dst_unused:UNUSED_PAD src0_sel:WORD_1 src1_sel:DWORD
	v_lshlrev_b16_sdwa v3, v145, v3 dst_sel:DWORD dst_unused:UNUSED_PAD src0_sel:DWORD src1_sel:WORD_1
	v_add_u16_e32 v3, 0xe000, v3
	v_or_b32_sdwa v3, v5, v3 dst_sel:DWORD dst_unused:UNUSED_PAD src0_sel:DWORD src1_sel:BYTE_1
	v_add_u16_e32 v4, 0xe000, v4
	v_add_u16_sdwa v3, v3, s24 dst_sel:WORD_1 dst_unused:UNUSED_PAD src0_sel:DWORD src1_sel:DWORD
	v_or_b32_e32 v3, v4, v3
	ds_write2_b32 v118, v2, v3 offset1:16
	s_waitcnt vmcnt(3)
	v_and_b32_e32 v2, 0xf0f0f0f, v8
	v_lshrrev_b32_e32 v4, 4, v8
	s_waitcnt vmcnt(2)
	v_ashrrev_i32_e32 v3, v106, v9
	v_lshlrev_b32_e32 v5, 4, v3
	v_and_or_b32 v5, v5, s22, v2
	v_add_co_u32_e32 v2, vcc, s14, v58
	v_and_b32_e32 v6, 0x30303030, v3
	v_addc_co_u32_e32 v3, vcc, v57, v144, vcc
	global_load_dword v11, v[2:3], off
	v_add_co_u32_e32 v2, vcc, s14, v64
	v_addc_co_u32_e32 v3, vcc, v63, v144, vcc
	v_and_b32_e32 v8, 0x3f00, v5
	v_lshlrev_b16_e32 v9, 8, v5
	global_load_dword v12, v[2:3], off
	v_and_b32_sdwa v3, v5, s23 dst_sel:DWORD dst_unused:UNUSED_PAD src0_sel:WORD_1 src1_sel:DWORD
	v_lshlrev_b16_sdwa v5, v145, v5 dst_sel:DWORD dst_unused:UNUSED_PAD src0_sel:DWORD src1_sel:WORD_1
	v_add_u16_e32 v2, 0xe000, v9
	v_add_u16_e32 v5, 0xe000, v5
	v_or_b32_sdwa v2, v8, v2 dst_sel:DWORD dst_unused:UNUSED_PAD src0_sel:DWORD src1_sel:BYTE_1
	v_or_b32_sdwa v3, v3, v5 dst_sel:DWORD dst_unused:UNUSED_PAD src0_sel:DWORD src1_sel:BYTE_1
	v_add_u16_e32 v2, 0xe000, v2
	v_add_u16_sdwa v3, v3, s24 dst_sel:WORD_1 dst_unused:UNUSED_PAD src0_sel:DWORD src1_sel:DWORD
	v_or_b32_e32 v5, v2, v3
	v_and_or_b32 v2, v4, s21, v6
	v_lshlrev_b16_e32 v4, 8, v2
	v_and_b32_e32 v3, 0x3f00, v2
	v_add_u16_e32 v4, 0xe000, v4
	v_or_b32_sdwa v3, v3, v4 dst_sel:DWORD dst_unused:UNUSED_PAD src0_sel:DWORD src1_sel:BYTE_1
	v_add_u16_e32 v4, 0xe000, v3
	v_and_b32_sdwa v3, v2, s23 dst_sel:DWORD dst_unused:UNUSED_PAD src0_sel:WORD_1 src1_sel:DWORD
	v_lshlrev_b16_sdwa v2, v145, v2 dst_sel:DWORD dst_unused:UNUSED_PAD src0_sel:DWORD src1_sel:WORD_1
	v_add_u16_e32 v2, 0xe000, v2
	v_or_b32_sdwa v2, v3, v2 dst_sel:DWORD dst_unused:UNUSED_PAD src0_sel:DWORD src1_sel:BYTE_1
	v_add_u16_sdwa v6, v2, s24 dst_sel:WORD_1 dst_unused:UNUSED_PAD src0_sel:DWORD src1_sel:DWORD
	v_add_co_u32_e32 v2, vcc, s14, v46
	v_addc_co_u32_e32 v3, vcc, v45, v144, vcc
	global_load_dword v8, v[2:3], off
	v_add_co_u32_e32 v2, vcc, s14, v52
	v_addc_co_u32_e32 v3, vcc, v51, v144, vcc
	global_load_dword v9, v[2:3], off
	v_or_b32_e32 v2, v4, v6
	s_waitcnt vmcnt(4)
	v_ashrrev_i32_e32 v3, v106, v10
	ds_write2_b32 v119, v5, v2 offset1:16
	v_and_b32_e32 v2, 0xf0f0f0f, v7
	v_lshlrev_b32_e32 v5, 4, v3
	v_and_or_b32 v2, v5, s22, v2
	v_lshlrev_b16_e32 v5, 8, v2
	v_and_b32_e32 v6, 0x30303030, v3
	v_and_b32_e32 v3, 0x3f00, v2
	v_add_u16_e32 v5, 0xe000, v5
	v_or_b32_sdwa v3, v3, v5 dst_sel:DWORD dst_unused:UNUSED_PAD src0_sel:DWORD src1_sel:BYTE_1
	v_add_u16_e32 v5, 0xe000, v3
	v_and_b32_sdwa v3, v2, s23 dst_sel:DWORD dst_unused:UNUSED_PAD src0_sel:WORD_1 src1_sel:DWORD
	v_lshlrev_b16_sdwa v2, v145, v2 dst_sel:DWORD dst_unused:UNUSED_PAD src0_sel:DWORD src1_sel:WORD_1
	v_add_u16_e32 v2, 0xe000, v2
	v_or_b32_sdwa v2, v3, v2 dst_sel:DWORD dst_unused:UNUSED_PAD src0_sel:DWORD src1_sel:BYTE_1
	v_lshrrev_b32_e32 v4, 4, v7
	v_add_u16_sdwa v7, v2, s24 dst_sel:WORD_1 dst_unused:UNUSED_PAD src0_sel:DWORD src1_sel:DWORD
	v_add_co_u32_e32 v2, vcc, s14, v40
	v_addc_co_u32_e32 v3, vcc, v39, v144, vcc
	global_load_ushort v10, v[2:3], off
	v_add_co_u32_e32 v2, vcc, s14, v34
	v_addc_co_u32_e32 v3, vcc, v33, v144, vcc
	global_load_dword v13, v[2:3], off
	v_add_co_u32_e32 v2, vcc, s14, v28
	v_addc_co_u32_e32 v3, vcc, v27, v144, vcc
	global_load_dword v2, v[2:3], off
	v_and_or_b32 v4, v4, s21, v6
	v_lshlrev_b16_e32 v6, 8, v4
	v_or_b32_e32 v3, v5, v7
	v_and_b32_e32 v5, 0x3f00, v4
	v_add_u16_e32 v6, 0xe000, v6
	v_or_b32_sdwa v5, v5, v6 dst_sel:DWORD dst_unused:UNUSED_PAD src0_sel:DWORD src1_sel:BYTE_1
	v_and_b32_sdwa v6, v4, s23 dst_sel:DWORD dst_unused:UNUSED_PAD src0_sel:WORD_1 src1_sel:DWORD
	v_lshlrev_b16_sdwa v4, v145, v4 dst_sel:DWORD dst_unused:UNUSED_PAD src0_sel:DWORD src1_sel:WORD_1
	v_add_u16_e32 v4, 0xe000, v4
	v_or_b32_sdwa v4, v6, v4 dst_sel:DWORD dst_unused:UNUSED_PAD src0_sel:DWORD src1_sel:BYTE_1
	v_add_u16_e32 v5, 0xe000, v5
	v_add_u16_sdwa v4, v4, s24 dst_sel:WORD_1 dst_unused:UNUSED_PAD src0_sel:DWORD src1_sel:DWORD
	v_or_b32_e32 v4, v5, v4
	ds_write2_b32 v120, v3, v4 offset1:16
	s_waitcnt vmcnt(6)
	v_and_b32_e32 v3, 0xf0f0f0f, v11
	v_lshrrev_b32_e32 v4, 4, v11
	s_waitcnt vmcnt(5)
	v_ashrrev_i32_e32 v5, v106, v12
	v_lshlrev_b32_e32 v6, 4, v5
	v_and_or_b32 v3, v6, s22, v3
	v_lshlrev_b16_e32 v7, 8, v3
	v_and_b32_e32 v6, 0x3f00, v3
	v_add_u16_e32 v7, 0xe000, v7
	v_or_b32_sdwa v6, v6, v7 dst_sel:DWORD dst_unused:UNUSED_PAD src0_sel:DWORD src1_sel:BYTE_1
	v_and_b32_sdwa v7, v3, s23 dst_sel:DWORD dst_unused:UNUSED_PAD src0_sel:WORD_1 src1_sel:DWORD
	v_lshlrev_b16_sdwa v3, v145, v3 dst_sel:DWORD dst_unused:UNUSED_PAD src0_sel:DWORD src1_sel:WORD_1
	v_add_u16_e32 v3, 0xe000, v3
	v_and_b32_e32 v5, 0x30303030, v5
	v_or_b32_sdwa v3, v7, v3 dst_sel:DWORD dst_unused:UNUSED_PAD src0_sel:DWORD src1_sel:BYTE_1
	v_add_u16_e32 v6, 0xe000, v6
	v_add_u16_sdwa v3, v3, s24 dst_sel:WORD_1 dst_unused:UNUSED_PAD src0_sel:DWORD src1_sel:DWORD
	v_and_or_b32 v4, v4, s21, v5
	v_or_b32_e32 v3, v6, v3
	v_lshlrev_b16_e32 v6, 8, v4
	v_and_b32_e32 v5, 0x3f00, v4
	v_add_u16_e32 v6, 0xe000, v6
	v_or_b32_sdwa v5, v5, v6 dst_sel:DWORD dst_unused:UNUSED_PAD src0_sel:DWORD src1_sel:BYTE_1
	v_and_b32_sdwa v6, v4, s23 dst_sel:DWORD dst_unused:UNUSED_PAD src0_sel:WORD_1 src1_sel:DWORD
	v_lshlrev_b16_sdwa v4, v145, v4 dst_sel:DWORD dst_unused:UNUSED_PAD src0_sel:DWORD src1_sel:WORD_1
	v_add_u16_e32 v4, 0xe000, v4
	v_or_b32_sdwa v4, v6, v4 dst_sel:DWORD dst_unused:UNUSED_PAD src0_sel:DWORD src1_sel:BYTE_1
	v_add_u16_e32 v5, 0xe000, v5
	v_add_u16_sdwa v4, v4, s24 dst_sel:WORD_1 dst_unused:UNUSED_PAD src0_sel:DWORD src1_sel:DWORD
	v_or_b32_e32 v4, v5, v4
	ds_write2_b32 v121, v3, v4 offset1:16
	s_waitcnt vmcnt(4)
	v_and_b32_e32 v3, 0xf0f0f0f, v8
	v_lshrrev_b32_e32 v4, 4, v8
	s_waitcnt vmcnt(3)
	v_ashrrev_i32_e32 v5, v106, v9
	v_lshlrev_b32_e32 v6, 4, v5
	v_and_or_b32 v3, v6, s22, v3
	v_lshlrev_b16_e32 v7, 8, v3
	v_and_b32_e32 v6, 0x3f00, v3
	v_add_u16_e32 v7, 0xe000, v7
	v_or_b32_sdwa v6, v6, v7 dst_sel:DWORD dst_unused:UNUSED_PAD src0_sel:DWORD src1_sel:BYTE_1
	v_and_b32_sdwa v7, v3, s23 dst_sel:DWORD dst_unused:UNUSED_PAD src0_sel:WORD_1 src1_sel:DWORD
	v_lshlrev_b16_sdwa v3, v145, v3 dst_sel:DWORD dst_unused:UNUSED_PAD src0_sel:DWORD src1_sel:WORD_1
	v_add_u16_e32 v3, 0xe000, v3
	v_and_b32_e32 v5, 0x30303030, v5
	v_or_b32_sdwa v3, v7, v3 dst_sel:DWORD dst_unused:UNUSED_PAD src0_sel:DWORD src1_sel:BYTE_1
	v_add_u16_e32 v6, 0xe000, v6
	v_add_u16_sdwa v3, v3, s24 dst_sel:WORD_1 dst_unused:UNUSED_PAD src0_sel:DWORD src1_sel:DWORD
	v_and_or_b32 v4, v4, s21, v5
	v_or_b32_e32 v3, v6, v3
	v_lshlrev_b16_e32 v6, 8, v4
	v_and_b32_e32 v5, 0x3f00, v4
	v_add_u16_e32 v6, 0xe000, v6
	v_or_b32_sdwa v5, v5, v6 dst_sel:DWORD dst_unused:UNUSED_PAD src0_sel:DWORD src1_sel:BYTE_1
	v_and_b32_sdwa v6, v4, s23 dst_sel:DWORD dst_unused:UNUSED_PAD src0_sel:WORD_1 src1_sel:DWORD
	v_lshlrev_b16_sdwa v4, v145, v4 dst_sel:DWORD dst_unused:UNUSED_PAD src0_sel:DWORD src1_sel:WORD_1
	v_add_u16_e32 v4, 0xe000, v4
	v_or_b32_sdwa v4, v6, v4 dst_sel:DWORD dst_unused:UNUSED_PAD src0_sel:DWORD src1_sel:BYTE_1
	s_waitcnt vmcnt(2)
	v_cvt_f32_f16_e32 v6, v10
	v_add_u16_e32 v5, 0xe000, v5
	v_add_u16_sdwa v4, v4, s24 dst_sel:WORD_1 dst_unused:UNUSED_PAD src0_sel:DWORD src1_sel:DWORD
	v_or_b32_e32 v4, v5, v4
	ds_write2_b32 v122, v3, v4 offset1:16
	ds_write_b32 v123, v6
	s_waitcnt vmcnt(1)
	ds_write_b32 v124, v13
	s_waitcnt vmcnt(0)
	ds_write_b32 v125, v2
	s_cbranch_scc0 .LBB195_5
; %bb.7:                                ;   in Loop: Header=BB195_6 Depth=1
	v_cmp_gt_i32_e32 vcc, s9, v128
	s_and_b64 s[26:27], s[2:3], vcc
	s_and_saveexec_b64 s[4:5], s[26:27]
	s_cbranch_execz .LBB195_9
; %bb.8:                                ;   in Loop: Header=BB195_6 Depth=1
	v_add_u32_e32 v2, v24, v128
	v_mad_i64_i32 v[2:3], s[26:27], v2, 36, v[22:23]
	global_load_dword v2, v[2:3], off offset:4
	s_waitcnt vmcnt(0)
	ds_write_b32 v126, v2
.LBB195_9:                              ;   in Loop: Header=BB195_6 Depth=1
	s_or_b64 exec, exec, s[4:5]
	s_and_saveexec_b64 s[4:5], s[0:1]
	s_cbranch_execz .LBB195_12
; %bb.10:                               ;   in Loop: Header=BB195_6 Depth=1
	v_cmp_gt_i32_e32 vcc, s9, v105
	s_and_b64 s[26:27], s[2:3], vcc
	s_and_b64 exec, exec, s[26:27]
	s_cbranch_execz .LBB195_12
; %bb.11:                               ;   in Loop: Header=BB195_6 Depth=1
	v_add_u32_e32 v2, v24, v105
	v_mad_i64_i32 v[2:3], s[26:27], v2, 36, s[6:7]
	global_load_dword v2, v[2:3], off
	s_waitcnt vmcnt(0)
	v_cvt_f32_f16_e32 v2, v2
	ds_write_b32 v127, v2
.LBB195_12:                             ;   in Loop: Header=BB195_6 Depth=1
	s_or_b64 exec, exec, s[4:5]
	s_waitcnt lgkmcnt(0)
	s_barrier
	ds_read_b128 v[6:9], v129
	ds_read_b128 v[10:13], v129 offset:16
	ds_read_b128 v[14:17], v129 offset:32
	;; [unrolled: 1-line block ×3, first 2 shown]
	ds_read_b32 v146, v133
	ds_read2_b32 v[96:97], v132 offset0:6 offset1:7
	ds_read2_b32 v[100:101], v132 offset0:4 offset1:5
	;; [unrolled: 1-line block ×3, first 2 shown]
	ds_read2_b32 v[148:149], v132 offset1:1
	ds_read2_b32 v[150:151], v132 offset0:14 offset1:15
	ds_read2_b32 v[152:153], v132 offset0:12 offset1:13
	ds_read_b128 v[2:5], v130 offset:36944
	ds_read2_b32 v[98:99], v131 offset1:1
	v_mov_b32_e32 v147, 0
	ds_read2_b32 v[154:155], v132 offset0:10 offset1:11
	ds_read2_b32 v[156:157], v132 offset0:8 offset1:9
	s_waitcnt lgkmcnt(4)
	v_dot4c_i32_i8_e32 v147, v152, v18
	v_dot4c_i32_i8_e32 v147, v153, v19
	;; [unrolled: 1-line block ×4, first 2 shown]
	v_mov_b32_e32 v151, 0
	v_dot4c_i32_i8_e32 v151, v100, v10
	v_dot4c_i32_i8_e32 v151, v101, v11
	v_dot4c_i32_i8_e32 v151, v96, v12
	v_dot4c_i32_i8_e32 v151, v97, v13
	v_mov_b32_e32 v97, 0
	v_dot4c_i32_i8_e32 v97, v148, v6
	v_dot4c_i32_i8_e32 v97, v149, v7
	s_waitcnt lgkmcnt(2)
	v_bfe_i32 v96, v98, 8, 8
	v_dot4c_i32_i8_e32 v97, v102, v8
	v_mul_lo_u32 v96, v151, v96
	v_dot4c_i32_i8_e32 v97, v103, v9
	v_bfe_i32 v100, v98, 0, 8
	v_mov_b32_e32 v150, 0
	s_waitcnt lgkmcnt(0)
	v_dot4c_i32_i8_e32 v150, v156, v14
	v_mad_u64_u32 v[96:97], s[4:5], v97, v100, v[96:97]
	v_cvt_f32_i32_e32 v96, v96
	v_dot4c_i32_i8_e32 v150, v157, v15
	v_dot4c_i32_i8_e32 v150, v154, v16
	;; [unrolled: 1-line block ×3, first 2 shown]
	v_fma_f32 v162, v2, v96, 0
	v_ashrrev_i32_e32 v96, 24, v98
	v_bfe_i32 v97, v98, 16, 8
	v_mul_lo_u32 v96, v147, v96
	v_mad_u64_u32 v[96:97], s[4:5], v150, v97, v[96:97]
	v_add_u32_e32 v100, 0x2090, v132
	v_add_u32_e32 v148, 0x2088, v132
	v_add_u32_e32 v150, 0x2080, v132
	v_add_u32_e32 v152, 0x20b8, v132
	v_add_u32_e32 v154, 0x20b0, v132
	v_cvt_f32_i32_e32 v147, v96
	ds_read2_b32 v[96:97], v137 offset1:1
	ds_read_b32 v166, v136 offset:128
	ds_read2_b32 v[102:103], v135 offset1:1
	ds_read2_b32 v[100:101], v100 offset1:1
	ds_read2_b32 v[148:149], v148 offset1:1
	ds_read2_b32 v[150:151], v150 offset1:1
	ds_read2_b32 v[152:153], v152 offset1:1
	ds_read2_b32 v[154:155], v154 offset1:1
	v_mov_b32_e32 v163, 0
	v_add_u32_e32 v98, 0x2098, v132
	v_add_u32_e32 v156, 0x20a8, v132
	;; [unrolled: 1-line block ×3, first 2 shown]
	s_waitcnt lgkmcnt(0)
	v_dot4c_i32_i8_e32 v163, v154, v18
	v_dot4c_i32_i8_e32 v163, v155, v19
	v_add_u32_e32 v160, 0x4118, v132
	v_dot4c_i32_i8_e32 v163, v152, v20
	ds_read2_b32 v[156:157], v156 offset1:1
	ds_read2_b32 v[158:159], v158 offset1:1
	;; [unrolled: 1-line block ×3, first 2 shown]
	v_dot4c_i32_i8_e32 v163, v153, v21
	ds_read2_b32 v[152:153], v98 offset1:1
	v_mov_b32_e32 v155, 0
	v_dot4c_i32_i8_e32 v155, v100, v10
	v_dot4c_i32_i8_e32 v155, v101, v11
	v_mov_b32_e32 v101, 0
	v_dot4c_i32_i8_e32 v101, v150, v6
	s_waitcnt lgkmcnt(0)
	v_dot4c_i32_i8_e32 v155, v152, v12
	v_dot4c_i32_i8_e32 v101, v151, v7
	v_mov_b32_e32 v154, 0
	v_dot4c_i32_i8_e32 v155, v153, v13
	v_bfe_i32 v100, v102, 8, 8
	v_dot4c_i32_i8_e32 v101, v148, v8
	v_dot4c_i32_i8_e32 v154, v158, v14
	v_mul_lo_u32 v100, v155, v100
	v_dot4c_i32_i8_e32 v101, v149, v9
	v_bfe_i32 v148, v102, 0, 8
	v_dot4c_i32_i8_e32 v154, v159, v15
	v_dot4c_i32_i8_e32 v154, v156, v16
	v_mad_u64_u32 v[100:101], s[4:5], v101, v148, v[100:101]
	v_cvt_f32_i32_e32 v148, v100
	v_ashrrev_i32_e32 v100, 24, v102
	v_dot4c_i32_i8_e32 v154, v157, v17
	v_bfe_i32 v101, v102, 16, 8
	v_mul_lo_u32 v100, v163, v100
	v_fmac_f32_e32 v162, v3, v147
	v_mad_u64_u32 v[100:101], s[4:5], v154, v101, v[100:101]
	v_cvt_f32_i32_e32 v100, v100
	v_fma_f32 v101, v2, v148, 0
	v_add_u32_e32 v147, 0x4108, v132
	v_add_u32_e32 v150, 0x4100, v132
	v_fmac_f32_e32 v101, v3, v100
	v_add_u32_e32 v100, 0x4110, v132
	v_add_u32_e32 v152, 0x4138, v132
	ds_read_b32 v98, v140 offset:384
	ds_read_b32 v102, v138 offset:256
	v_fmac_f32_e32 v143, v166, v101
	ds_read2_b32 v[100:101], v100 offset1:1
	ds_read2_b32 v[148:149], v147 offset1:1
	;; [unrolled: 1-line block ×4, first 2 shown]
	v_add_u32_e32 v147, 0x4130, v132
	ds_read2_b32 v[154:155], v147 offset1:1
	v_mov_b32_e32 v164, 0
	v_add_u32_e32 v156, 0x4128, v132
	v_add_u32_e32 v158, 0x4120, v132
	v_fmac_f32_e32 v141, v146, v162
	s_waitcnt lgkmcnt(0)
	v_dot4c_i32_i8_e32 v164, v154, v18
	v_dot4c_i32_i8_e32 v164, v155, v19
	;; [unrolled: 1-line block ×3, first 2 shown]
	v_mov_b32_e32 v152, 0
	v_dot4c_i32_i8_e32 v152, v100, v10
	v_dot4c_i32_i8_e32 v152, v101, v11
	v_mov_b32_e32 v101, 0
	v_dot4c_i32_i8_e32 v101, v150, v6
	v_dot4c_i32_i8_e32 v152, v160, v12
	;; [unrolled: 1-line block ×4, first 2 shown]
	v_bfe_i32 v100, v96, 8, 8
	v_dot4c_i32_i8_e32 v101, v148, v8
	v_add_u32_e32 v147, 0x6198, v132
	ds_read2_b32 v[156:157], v156 offset1:1
	ds_read2_b32 v[158:159], v158 offset1:1
	;; [unrolled: 1-line block ×3, first 2 shown]
	v_mul_lo_u32 v100, v152, v100
	v_dot4c_i32_i8_e32 v101, v149, v9
	v_bfe_i32 v148, v96, 0, 8
	v_mov_b32_e32 v147, 0
	s_waitcnt lgkmcnt(1)
	v_dot4c_i32_i8_e32 v147, v158, v14
	v_mad_u64_u32 v[100:101], s[4:5], v101, v148, v[100:101]
	v_cvt_f32_i32_e32 v100, v100
	v_dot4c_i32_i8_e32 v147, v159, v15
	v_dot4c_i32_i8_e32 v164, v153, v21
	;; [unrolled: 1-line block ×3, first 2 shown]
	v_fma_f32 v167, v2, v100, 0
	v_bfe_i32 v100, v96, 16, 8
	v_ashrrev_i32_e32 v96, 24, v96
	v_dot4c_i32_i8_e32 v147, v157, v17
	v_mul_lo_u32 v96, v164, v96
	v_add_u32_e32 v150, 0x6188, v132
	v_add_u32_e32 v152, 0x6180, v132
	v_mad_u64_u32 v[100:101], s[4:5], v147, v100, v[96:97]
	v_add_u32_e32 v147, 0x6190, v132
	v_add_u32_e32 v154, 0x61b8, v132
	v_cvt_f32_i32_e32 v96, v100
	ds_read2_b32 v[100:101], v139 offset1:1
	ds_read2_b32 v[148:149], v147 offset1:1
	ds_read2_b32 v[150:151], v150 offset1:1
	ds_read2_b32 v[152:153], v152 offset1:1
	ds_read2_b32 v[154:155], v154 offset1:1
	v_add_u32_e32 v147, 0x61b0, v132
	ds_read2_b32 v[156:157], v147 offset1:1
	v_add_u32_e32 v158, 0x61a8, v132
	v_add_u32_e32 v160, 0x61a0, v132
	;; [unrolled: 1-line block ×3, first 2 shown]
	ds_read2_b32 v[158:159], v158 offset1:1
	ds_read2_b32 v[160:161], v160 offset1:1
	;; [unrolled: 1-line block ×3, first 2 shown]
	v_mov_b32_e32 v168, 0
	s_waitcnt lgkmcnt(3)
	v_dot4c_i32_i8_e32 v168, v156, v18
	v_mov_b32_e32 v18, 0
	s_waitcnt lgkmcnt(1)
	v_dot4c_i32_i8_e32 v18, v160, v14
	v_mov_b32_e32 v14, 0
	v_dot4c_i32_i8_e32 v14, v148, v10
	v_dot4c_i32_i8_e32 v14, v149, v11
	v_mov_b32_e32 v11, 0
	v_dot4c_i32_i8_e32 v11, v152, v6
	v_dot4c_i32_i8_e32 v14, v162, v12
	;; [unrolled: 1-line block ×4, first 2 shown]
	v_bfe_i32 v10, v100, 8, 8
	v_dot4c_i32_i8_e32 v11, v150, v8
	v_dot4c_i32_i8_e32 v168, v157, v19
	v_mul_lo_u32 v10, v14, v10
	v_dot4c_i32_i8_e32 v11, v151, v9
	v_bfe_i32 v6, v100, 0, 8
	v_dot4c_i32_i8_e32 v168, v154, v20
	v_dot4c_i32_i8_e32 v18, v161, v15
	v_mad_u64_u32 v[6:7], s[4:5], v11, v6, v[10:11]
	v_dot4c_i32_i8_e32 v168, v155, v21
	v_dot4c_i32_i8_e32 v18, v158, v16
	v_cvt_f32_i32_e32 v8, v6
	v_ashrrev_i32_e32 v6, 24, v100
	v_dot4c_i32_i8_e32 v18, v159, v17
	v_bfe_i32 v7, v100, 16, 8
	v_mul_lo_u32 v6, v168, v6
	v_fma_f32 v2, v2, v8, 0
	v_mad_u64_u32 v[6:7], s[4:5], v18, v7, v[6:7]
	v_cvt_f32_i32_e32 v6, v6
	v_fmac_f32_e32 v167, v3, v96
	v_mov_b32_e32 v96, 0
	v_bfe_i32 v147, v99, 0, 8
	v_fmac_f32_e32 v2, v3, v6
	v_fmac_f32_e32 v75, v98, v2
	ds_read_b128 v[10:13], v129 offset:80
	ds_read_b128 v[6:9], v129 offset:64
	;; [unrolled: 1-line block ×4, first 2 shown]
	ds_read2_b32 v[2:3], v132 offset0:30 offset1:31
	ds_read2_b32 v[148:149], v132 offset0:28 offset1:29
	;; [unrolled: 1-line block ×6, first 2 shown]
	s_waitcnt lgkmcnt(4)
	v_dot4c_i32_i8_e32 v96, v148, v18
	v_dot4c_i32_i8_e32 v96, v149, v19
	;; [unrolled: 1-line block ×3, first 2 shown]
	v_mov_b32_e32 v2, 0
	s_waitcnt lgkmcnt(2)
	v_dot4c_i32_i8_e32 v2, v152, v10
	v_dot4c_i32_i8_e32 v2, v153, v11
	v_dot4c_i32_i8_e32 v2, v150, v12
	v_dot4c_i32_i8_e32 v96, v3, v21
	v_dot4c_i32_i8_e32 v2, v151, v13
	v_bfe_i32 v3, v99, 8, 8
	ds_read2_b32 v[158:159], v132 offset0:26 offset1:27
	ds_read2_b32 v[160:161], v132 offset0:24 offset1:25
	v_mul_lo_u32 v2, v2, v3
	v_mov_b32_e32 v3, 0
	s_waitcnt lgkmcnt(2)
	v_dot4c_i32_i8_e32 v3, v156, v6
	v_dot4c_i32_i8_e32 v3, v157, v7
	;; [unrolled: 1-line block ×4, first 2 shown]
	v_mov_b32_e32 v100, 0
	s_waitcnt lgkmcnt(0)
	v_dot4c_i32_i8_e32 v100, v160, v14
	v_dot4c_i32_i8_e32 v100, v161, v15
	v_mad_u64_u32 v[2:3], s[4:5], v3, v147, v[2:3]
	v_cvt_f32_i32_e32 v2, v2
	v_dot4c_i32_i8_e32 v100, v158, v16
	v_dot4c_i32_i8_e32 v100, v159, v17
	v_bfe_i32 v3, v99, 16, 8
	v_fma_f32 v147, v4, v2, 0
	v_ashrrev_i32_e32 v2, 24, v99
	v_mul_lo_u32 v2, v96, v2
	v_mad_u64_u32 v[2:3], s[4:5], v100, v3, v[2:3]
	v_cvt_f32_i32_e32 v96, v2
	v_add_u32_e32 v2, 0x20d0, v132
	v_add_u32_e32 v99, 0x20c8, v132
	v_add_u32_e32 v152, 0x20f8, v132
	v_add_u32_e32 v100, 0x20c0, v132
	ds_read2_b32 v[2:3], v2 offset1:1
	ds_read2_b32 v[148:149], v99 offset1:1
	;; [unrolled: 1-line block ×4, first 2 shown]
	v_add_u32_e32 v99, 0x20f0, v132
	ds_read2_b32 v[154:155], v99 offset1:1
	v_mov_b32_e32 v100, 0
	v_add_u32_e32 v156, 0x20e8, v132
	v_add_u32_e32 v158, 0x20e0, v132
	;; [unrolled: 1-line block ×3, first 2 shown]
	s_waitcnt lgkmcnt(0)
	v_dot4c_i32_i8_e32 v100, v154, v18
	v_dot4c_i32_i8_e32 v100, v155, v19
	;; [unrolled: 1-line block ×3, first 2 shown]
	v_mov_b32_e32 v152, 0
	v_dot4c_i32_i8_e32 v152, v2, v10
	ds_read2_b32 v[156:157], v156 offset1:1
	ds_read2_b32 v[158:159], v158 offset1:1
	;; [unrolled: 1-line block ×3, first 2 shown]
	v_dot4c_i32_i8_e32 v152, v3, v11
	v_mov_b32_e32 v3, 0
	v_dot4c_i32_i8_e32 v3, v150, v6
	v_dot4c_i32_i8_e32 v152, v164, v12
	v_dot4c_i32_i8_e32 v3, v151, v7
	v_mov_b32_e32 v99, 0
	v_dot4c_i32_i8_e32 v152, v165, v13
	v_bfe_i32 v2, v103, 8, 8
	v_dot4c_i32_i8_e32 v3, v148, v8
	s_waitcnt lgkmcnt(1)
	v_dot4c_i32_i8_e32 v99, v158, v14
	v_mul_lo_u32 v2, v152, v2
	v_dot4c_i32_i8_e32 v3, v149, v9
	v_bfe_i32 v148, v103, 0, 8
	v_dot4c_i32_i8_e32 v99, v159, v15
	v_dot4c_i32_i8_e32 v100, v153, v21
	v_mad_u64_u32 v[2:3], s[4:5], v3, v148, v[2:3]
	v_dot4c_i32_i8_e32 v99, v156, v16
	v_cvt_f32_i32_e32 v148, v2
	v_ashrrev_i32_e32 v2, 24, v103
	v_dot4c_i32_i8_e32 v99, v157, v17
	v_bfe_i32 v3, v103, 16, 8
	v_mul_lo_u32 v2, v100, v2
	v_fmac_f32_e32 v147, v5, v96
	v_mad_u64_u32 v[2:3], s[4:5], v99, v3, v[2:3]
	v_cvt_f32_i32_e32 v2, v2
	v_fma_f32 v3, v4, v148, 0
	v_add_u32_e32 v96, 0x4148, v132
	v_add_u32_e32 v100, 0x4178, v132
	v_fmac_f32_e32 v3, v5, v2
	v_add_u32_e32 v2, 0x4150, v132
	v_fmac_f32_e32 v141, v146, v147
	v_fmac_f32_e32 v143, v166, v3
	v_add_u32_e32 v99, 0x4140, v132
	ds_read2_b32 v[2:3], v2 offset1:1
	ds_read2_b32 v[146:147], v96 offset1:1
	;; [unrolled: 1-line block ×4, first 2 shown]
	v_add_u32_e32 v96, 0x4170, v132
	v_add_u32_e32 v100, 0x4168, v132
	;; [unrolled: 1-line block ×3, first 2 shown]
	ds_read2_b32 v[152:153], v96 offset1:1
	v_add_u32_e32 v96, 0x61d8, v132
	ds_read2_b32 v[154:155], v100 offset1:1
	ds_read2_b32 v[156:157], v103 offset1:1
	;; [unrolled: 1-line block ×3, first 2 shown]
	v_mov_b32_e32 v100, 0
	s_waitcnt lgkmcnt(7)
	v_dot4c_i32_i8_e32 v100, v2, v10
	v_dot4c_i32_i8_e32 v100, v3, v11
	v_mov_b32_e32 v3, 0
	s_waitcnt lgkmcnt(5)
	v_dot4c_i32_i8_e32 v3, v148, v6
	v_dot4c_i32_i8_e32 v100, v160, v12
	;; [unrolled: 1-line block ×4, first 2 shown]
	v_bfe_i32 v2, v97, 8, 8
	v_dot4c_i32_i8_e32 v3, v146, v8
	v_dot4c_i32_i8_e32 v3, v147, v9
	v_mul_lo_u32 v2, v100, v2
	v_bfe_i32 v100, v97, 0, 8
	v_mov_b32_e32 v99, 0
	v_mad_u64_u32 v[2:3], s[4:5], v3, v100, v[2:3]
	v_cvt_f32_i32_e32 v2, v2
	s_waitcnt lgkmcnt(3)
	v_dot4c_i32_i8_e32 v99, v152, v18
	v_mov_b32_e32 v96, 0
	v_dot4c_i32_i8_e32 v99, v153, v19
	s_waitcnt lgkmcnt(1)
	v_dot4c_i32_i8_e32 v96, v156, v14
	v_dot4c_i32_i8_e32 v99, v150, v20
	;; [unrolled: 1-line block ×5, first 2 shown]
	v_fma_f32 v100, v4, v2, 0
	v_ashrrev_i32_e32 v2, 24, v97
	v_dot4c_i32_i8_e32 v96, v155, v17
	v_bfe_i32 v3, v97, 16, 8
	v_mul_lo_u32 v2, v99, v2
	v_add_u32_e32 v103, 0x61c0, v132
	v_mad_u64_u32 v[2:3], s[4:5], v96, v3, v[2:3]
	v_cvt_f32_i32_e32 v99, v2
	v_add_u32_e32 v2, 0x61d0, v132
	v_add_u32_e32 v96, 0x61c8, v132
	;; [unrolled: 1-line block ×3, first 2 shown]
	ds_read2_b32 v[2:3], v2 offset1:1
	ds_read2_b32 v[96:97], v96 offset1:1
	;; [unrolled: 1-line block ×4, first 2 shown]
	v_add_u32_e32 v103, 0x61f0, v132
	ds_read2_b32 v[150:151], v103 offset1:1
	v_add_u32_e32 v103, 0x61e8, v132
	v_add_u32_e32 v154, 0x61e0, v132
	ds_read2_b32 v[152:153], v103 offset1:1
	ds_read2_b32 v[154:155], v154 offset1:1
	v_mov_b32_e32 v156, 0
	s_waitcnt lgkmcnt(2)
	v_dot4c_i32_i8_e32 v156, v150, v18
	v_mov_b32_e32 v18, 0
	v_dot4c_i32_i8_e32 v156, v151, v19
	s_waitcnt lgkmcnt(0)
	v_dot4c_i32_i8_e32 v18, v154, v14
	v_mov_b32_e32 v14, 0
	v_dot4c_i32_i8_e32 v14, v2, v10
	v_dot4c_i32_i8_e32 v14, v3, v11
	v_mov_b32_e32 v3, 0
	v_dot4c_i32_i8_e32 v3, v146, v6
	v_dot4c_i32_i8_e32 v14, v158, v12
	v_dot4c_i32_i8_e32 v3, v147, v7
	v_dot4c_i32_i8_e32 v14, v159, v13
	v_bfe_i32 v2, v101, 8, 8
	v_dot4c_i32_i8_e32 v3, v96, v8
	v_dot4c_i32_i8_e32 v3, v97, v9
	v_mul_lo_u32 v2, v14, v2
	v_bfe_i32 v6, v101, 0, 8
	v_dot4c_i32_i8_e32 v156, v148, v20
	v_dot4c_i32_i8_e32 v18, v155, v15
	v_mad_u64_u32 v[2:3], s[4:5], v3, v6, v[2:3]
	v_dot4c_i32_i8_e32 v156, v149, v21
	v_dot4c_i32_i8_e32 v18, v152, v16
	v_cvt_f32_i32_e32 v6, v2
	v_ashrrev_i32_e32 v2, 24, v101
	v_dot4c_i32_i8_e32 v18, v153, v17
	v_bfe_i32 v3, v101, 16, 8
	v_mul_lo_u32 v2, v156, v2
	v_fmac_f32_e32 v142, v102, v167
	v_mad_u64_u32 v[2:3], s[4:5], v18, v3, v[2:3]
	v_cvt_f32_i32_e32 v2, v2
	v_fma_f32 v3, v4, v6, 0
	v_fmac_f32_e32 v100, v5, v99
	v_fmac_f32_e32 v142, v102, v100
	v_fmac_f32_e32 v3, v5, v2
	v_fmac_f32_e32 v75, v98, v3
	s_cmp_ge_i32 s20, s15
	s_barrier
	s_cbranch_scc1 .LBB195_5
; %bb.13:                               ;   in Loop: Header=BB195_6 Depth=1
	v_cmp_gt_i32_e32 vcc, s9, v134
	s_and_b64 s[26:27], s[2:3], vcc
	s_and_saveexec_b64 s[4:5], s[26:27]
	s_cbranch_execz .LBB195_15
; %bb.14:                               ;   in Loop: Header=BB195_6 Depth=1
	v_add_u32_e32 v2, v24, v134
	v_mad_i64_i32 v[2:3], s[26:27], v2, 36, v[22:23]
	global_load_dword v2, v[2:3], off offset:4
	s_waitcnt vmcnt(0)
	ds_write_b32 v126, v2
.LBB195_15:                             ;   in Loop: Header=BB195_6 Depth=1
	s_or_b64 exec, exec, s[4:5]
	s_and_saveexec_b64 s[4:5], s[0:1]
	s_cbranch_execz .LBB195_4
; %bb.16:                               ;   in Loop: Header=BB195_6 Depth=1
	v_add_u32_e32 v2, 4, v105
	v_cmp_gt_i32_e32 vcc, s9, v2
	s_and_b64 s[26:27], s[2:3], vcc
	s_and_b64 exec, exec, s[26:27]
	s_cbranch_execz .LBB195_4
; %bb.17:                               ;   in Loop: Header=BB195_6 Depth=1
	v_ashrrev_i32_e32 v2, 31, v105
	v_add_co_u32_e32 v3, vcc, v24, v105
	v_addc_co_u32_e32 v4, vcc, v1, v2, vcc
	v_mad_u64_u32 v[2:3], s[26:27], v3, 36, s[16:17]
	v_mad_i32_i24 v3, v4, 36, v3
	global_load_dword v2, v[2:3], off
	s_waitcnt vmcnt(0)
	v_cvt_f32_f16_e32 v2, v2
	ds_write_b32 v127, v2
	s_branch .LBB195_4
.LBB195_18:
	v_mov_b32_e32 v142, 0
	v_mov_b32_e32 v143, 0
	;; [unrolled: 1-line block ×3, first 2 shown]
.LBB195_19:
	s_mul_i32 s0, s11, s8
	s_waitcnt vmcnt(0)
	v_cmp_gt_i32_e32 vcc, s0, v104
	s_and_saveexec_b64 s[0:1], vcc
	s_cbranch_execz .LBB195_28
; %bb.20:
	v_and_b32_e32 v0, 0x3ff, v0
	v_add_u32_e32 v1, s18, v0
	v_mul_lo_u32 v0, v104, s10
	v_cmp_gt_u32_e32 vcc, s10, v1
	s_and_saveexec_b64 s[0:1], vcc
	s_cbranch_execz .LBB195_22
; %bb.21:
	v_add_u32_e32 v2, v0, v1
	v_mov_b32_e32 v3, 0
	v_lshlrev_b64 v[2:3], 2, v[2:3]
	v_mov_b32_e32 v4, s13
	v_add_co_u32_e32 v2, vcc, s12, v2
	v_addc_co_u32_e32 v3, vcc, v4, v3, vcc
	global_store_dword v[2:3], v141, off
.LBB195_22:
	s_or_b64 exec, exec, s[0:1]
	v_add_u32_e32 v2, 32, v1
	v_cmp_gt_u32_e32 vcc, s10, v2
	s_and_saveexec_b64 s[0:1], vcc
	s_cbranch_execz .LBB195_24
; %bb.23:
	v_add_u32_e32 v2, v0, v2
	v_mov_b32_e32 v3, 0
	v_lshlrev_b64 v[2:3], 2, v[2:3]
	v_mov_b32_e32 v4, s13
	v_add_co_u32_e32 v2, vcc, s12, v2
	v_addc_co_u32_e32 v3, vcc, v4, v3, vcc
	global_store_dword v[2:3], v143, off
.LBB195_24:
	s_or_b64 exec, exec, s[0:1]
	v_add_u32_e32 v2, 64, v1
	;; [unrolled: 14-line block ×3, first 2 shown]
	v_cmp_gt_u32_e32 vcc, s10, v1
	s_and_b64 exec, exec, vcc
	s_cbranch_execz .LBB195_28
; %bb.27:
	v_add_u32_e32 v0, v0, v1
	v_mov_b32_e32 v1, 0
	v_lshlrev_b64 v[0:1], 2, v[0:1]
	v_mov_b32_e32 v2, s13
	v_add_co_u32_e32 v0, vcc, s12, v0
	v_addc_co_u32_e32 v1, vcc, v2, v1, vcc
	global_store_dword v[0:1], v75, off
.LBB195_28:
	s_endpgm
	.section	.rodata,"a",@progbits
	.p2align	6, 0x0
	.amdhsa_kernel _ZL8moe_q6_KIfLb0EEvPKvS1_PT_PKiS5_S5_iiiiiii
		.amdhsa_group_segment_fixed_size 37072
		.amdhsa_private_segment_fixed_size 0
		.amdhsa_kernarg_size 76
		.amdhsa_user_sgpr_count 6
		.amdhsa_user_sgpr_private_segment_buffer 1
		.amdhsa_user_sgpr_dispatch_ptr 0
		.amdhsa_user_sgpr_queue_ptr 0
		.amdhsa_user_sgpr_kernarg_segment_ptr 1
		.amdhsa_user_sgpr_dispatch_id 0
		.amdhsa_user_sgpr_flat_scratch_init 0
		.amdhsa_user_sgpr_kernarg_preload_length 0
		.amdhsa_user_sgpr_kernarg_preload_offset 0
		.amdhsa_user_sgpr_private_segment_size 0
		.amdhsa_uses_dynamic_stack 0
		.amdhsa_system_sgpr_private_segment_wavefront_offset 0
		.amdhsa_system_sgpr_workgroup_id_x 1
		.amdhsa_system_sgpr_workgroup_id_y 1
		.amdhsa_system_sgpr_workgroup_id_z 0
		.amdhsa_system_sgpr_workgroup_info 0
		.amdhsa_system_vgpr_workitem_id 1
		.amdhsa_next_free_vgpr 169
		.amdhsa_next_free_sgpr 30
		.amdhsa_accum_offset 172
		.amdhsa_reserve_vcc 1
		.amdhsa_reserve_flat_scratch 0
		.amdhsa_float_round_mode_32 0
		.amdhsa_float_round_mode_16_64 0
		.amdhsa_float_denorm_mode_32 3
		.amdhsa_float_denorm_mode_16_64 3
		.amdhsa_dx10_clamp 1
		.amdhsa_ieee_mode 1
		.amdhsa_fp16_overflow 0
		.amdhsa_tg_split 0
		.amdhsa_exception_fp_ieee_invalid_op 0
		.amdhsa_exception_fp_denorm_src 0
		.amdhsa_exception_fp_ieee_div_zero 0
		.amdhsa_exception_fp_ieee_overflow 0
		.amdhsa_exception_fp_ieee_underflow 0
		.amdhsa_exception_fp_ieee_inexact 0
		.amdhsa_exception_int_div_zero 0
	.end_amdhsa_kernel
	.section	.text._ZL8moe_q6_KIfLb0EEvPKvS1_PT_PKiS5_S5_iiiiiii,"axG",@progbits,_ZL8moe_q6_KIfLb0EEvPKvS1_PT_PKiS5_S5_iiiiiii,comdat
.Lfunc_end195:
	.size	_ZL8moe_q6_KIfLb0EEvPKvS1_PT_PKiS5_S5_iiiiiii, .Lfunc_end195-_ZL8moe_q6_KIfLb0EEvPKvS1_PT_PKiS5_S5_iiiiiii
                                        ; -- End function
	.section	.AMDGPU.csdata,"",@progbits
; Kernel info:
; codeLenInByte = 12160
; NumSgprs: 34
; NumVgprs: 169
; NumAgprs: 0
; TotalNumVgprs: 169
; ScratchSize: 0
; MemoryBound: 0
; FloatMode: 240
; IeeeMode: 1
; LDSByteSize: 37072 bytes/workgroup (compile time only)
; SGPRBlocks: 4
; VGPRBlocks: 21
; NumSGPRsForWavesPerEU: 34
; NumVGPRsForWavesPerEU: 169
; AccumOffset: 172
; Occupancy: 1
; WaveLimiterHint : 1
; COMPUTE_PGM_RSRC2:SCRATCH_EN: 0
; COMPUTE_PGM_RSRC2:USER_SGPR: 6
; COMPUTE_PGM_RSRC2:TRAP_HANDLER: 0
; COMPUTE_PGM_RSRC2:TGID_X_EN: 1
; COMPUTE_PGM_RSRC2:TGID_Y_EN: 1
; COMPUTE_PGM_RSRC2:TGID_Z_EN: 0
; COMPUTE_PGM_RSRC2:TIDIG_COMP_CNT: 1
; COMPUTE_PGM_RSRC3_GFX90A:ACCUM_OFFSET: 42
; COMPUTE_PGM_RSRC3_GFX90A:TG_SPLIT: 0
	.section	.text._ZL8moe_q6_KIfLb1EEvPKvS1_PT_PKiS5_S5_iiiiiii,"axG",@progbits,_ZL8moe_q6_KIfLb1EEvPKvS1_PT_PKiS5_S5_iiiiiii,comdat
	.globl	_ZL8moe_q6_KIfLb1EEvPKvS1_PT_PKiS5_S5_iiiiiii ; -- Begin function _ZL8moe_q6_KIfLb1EEvPKvS1_PT_PKiS5_S5_iiiiiii
	.p2align	8
	.type	_ZL8moe_q6_KIfLb1EEvPKvS1_PT_PKiS5_S5_iiiiiii,@function
_ZL8moe_q6_KIfLb1EEvPKvS1_PT_PKiS5_S5_iiiiiii: ; @_ZL8moe_q6_KIfLb1EEvPKvS1_PT_PKiS5_S5_iiiiiii
; %bb.0:
	s_load_dwordx4 s[0:3], s[4:5], 0x18
	s_mov_b32 s8, s7
	s_mov_b32 s9, 0
	s_lshl_b64 s[10:11], s[8:9], 2
	s_waitcnt lgkmcnt(0)
	s_add_u32 s2, s2, s10
	s_addc_u32 s3, s3, s11
	s_load_dword s2, s[2:3], 0x0
	s_waitcnt lgkmcnt(0)
	s_cmpk_gt_u32 s2, 0xff
	s_cbranch_scc1 .LBB196_28
; %bb.1:
	s_load_dwordx2 s[10:11], s[4:5], 0x28
	s_lshl_b32 s3, s8, 3
	s_waitcnt lgkmcnt(0)
	s_load_dword s7, s[10:11], 0x0
	s_waitcnt lgkmcnt(0)
	s_cmp_gt_u32 s3, s7
	s_cbranch_scc1 .LBB196_28
; %bb.2:
	v_bfe_u32 v1, v0, 10, 10
	v_add_u32_e32 v74, s3, v1
	v_mov_b32_e32 v75, 0
	v_lshlrev_b64 v[2:3], 2, v[74:75]
	v_mov_b32_e32 v4, s1
	v_add_co_u32_e32 v2, vcc, s0, v2
	v_addc_co_u32_e32 v3, vcc, v4, v3, vcc
	global_load_dword v97, v[2:3], off
	s_load_dwordx8 s[8:15], s[4:5], 0x30
	s_load_dwordx2 s[16:17], s[4:5], 0x10
	s_waitcnt lgkmcnt(0)
	s_lshl_b32 s15, s6, 7
	s_cmpk_lt_i32 s9, 0x100
	s_cbranch_scc1 .LBB196_18
; %bb.3:
	v_and_b32_e32 v99, 0x3ff, v0
	s_ashr_i32 s0, s9, 31
	v_and_b32_e32 v3, 31, v99
	s_lshr_b32 s0, s0, 24
	v_add_u16_e32 v2, -16, v3
	v_cmp_gt_u32_e32 vcc, 16, v3
	s_add_i32 s0, s9, s0
	v_cndmask_b32_e32 v2, v2, v3, vcc
	s_ashr_i32 s20, s0, 8
	s_ashr_i32 s0, s12, 31
	v_cmp_lt_u16_e32 vcc, 7, v2
	s_lshr_b32 s0, s0, 27
	v_cndmask_b32_e64 v2, 0, 1, vcc
	v_cmp_lt_u32_e32 vcc, 15, v3
	s_add_i32 s0, s12, s0
	v_lshlrev_b32_e32 v101, 1, v2
	v_cndmask_b32_e64 v2, 0, 1, vcc
	s_ashr_i32 s12, s0, 5
	s_not_b32 s0, s15
	v_lshlrev_b32_e32 v9, 5, v2
	s_mul_i32 s8, s2, s8
	s_add_i32 s2, s0, s10
	v_and_or_b32 v2, v99, 15, v9
	v_min_i32_e32 v6, s2, v1
	v_lshlrev_b32_e32 v2, 2, v2
	s_movk_i32 s3, 0x104
	v_mul_lo_u32 v7, v6, s20
	v_mad_u64_u32 v[22:23], s[0:1], v6, s3, v[2:3]
	v_add_u32_e32 v6, 8, v1
	v_min_i32_e32 v6, s2, v6
	v_mul_lo_u32 v10, v6, s20
	v_mad_u64_u32 v[24:25], s[0:1], v6, s3, v[2:3]
	v_add_u32_e32 v6, 16, v1
	v_min_i32_e32 v6, s2, v6
	;; [unrolled: 4-line block ×15, first 2 shown]
	v_mad_u64_u32 v[52:53], s[0:1], v6, s3, v[2:3]
	v_lshlrev_b32_e32 v2, 5, v1
	v_mul_lo_u32 v43, v6, s20
	v_add_u32_e32 v6, v2, v99
	v_and_b32_e32 v23, 0x7f, v6
	v_min_i32_e32 v23, s2, v23
	v_ashrrev_i32_e32 v25, 31, v23
	v_lshrrev_b32_e32 v25, 27, v25
	v_add_u32_e32 v25, v23, v25
	v_ashrrev_i32_e32 v25, 5, v25
	v_mul_lo_u32 v37, v23, s20
	v_lshlrev_b32_e32 v25, 2, v25
	v_lshlrev_b32_e32 v23, 2, v23
	s_mov_b32 s3, 0x8e40
	v_add3_u32 v103, v25, v23, s3
	v_lshrrev_b32_e32 v23, 2, v99
	v_lshl_add_u32 v23, v1, 3, v23
	v_and_b32_e32 v25, 3, v99
	v_and_b32_e32 v23, 0x7f, v23
	v_lshlrev_b32_e32 v31, 2, v25
	v_min_i32_e32 v25, s2, v23
	v_ashrrev_i32_e32 v27, 31, v25
	v_lshrrev_b32_e32 v27, 29, v27
	v_add_u32_e32 v27, v25, v27
	s_load_dwordx4 s[4:7], s[4:5], 0x0
	v_ashrrev_i32_e32 v27, 3, v27
	v_xor_b32_e32 v23, 64, v23
	v_lshlrev_b32_e32 v27, 2, v27
	s_mov_b32 s10, 0x8200
	v_min_i32_e32 v23, s2, v23
	v_add3_u32 v75, v27, v31, s10
	v_ashrrev_i32_e32 v27, 31, v23
	v_lshlrev_b32_e32 v4, 2, v3
	v_lshrrev_b32_e32 v27, 29, v27
	v_or_b32_e32 v2, v2, v3
	v_lshlrev_b32_e32 v3, 2, v99
	v_mul_lo_u32 v33, v25, s20
	v_lshlrev_b32_e32 v128, 4, v25
	v_mul_lo_u32 v25, v23, s20
	v_add_u32_e32 v27, v23, v27
	v_lshlrev_b32_e32 v130, 4, v23
	v_and_b32_e32 v23, 28, v3
	s_waitcnt lgkmcnt(0)
	v_add_co_u32_e32 v54, vcc, s6, v23
	v_mov_b32_e32 v23, 0x8a40
	s_movk_i32 s2, 0xffe4
	v_lshl_add_u32 v105, v2, 2, v23
	v_mad_i32_i24 v2, v1, s2, v6
	v_mov_b32_e32 v6, 0x9050
	v_lshrrev_b32_e32 v109, 3, v99
	v_lshrrev_b32_e32 v5, 5, v99
	v_lshl_add_u32 v107, v2, 2, v6
	v_lshl_add_u32 v111, v1, 7, v23
	v_lshlrev_b32_e32 v113, 4, v1
	v_lshlrev_b32_e32 v1, 2, v109
	;; [unrolled: 1-line block ×3, first 2 shown]
	v_add3_u32 v115, v2, v1, s10
	v_lshlrev_b32_e32 v1, 2, v5
	v_add3_u32 v119, v1, v3, s3
	v_add_u32_e32 v1, 32, v99
	v_lshrrev_b32_e32 v121, 3, v1
	v_lshlrev_b32_e32 v2, 2, v121
	v_lshlrev_b32_e32 v1, 4, v1
	v_add3_u32 v123, v2, v1, s10
	v_and_b32_e32 v1, 60, v121
	v_add3_u32 v125, v3, v1, s3
	v_add_u32_e32 v1, 64, v99
	v_lshrrev_b32_e32 v2, 3, v1
	v_lshlrev_b32_e32 v6, 2, v2
	v_lshlrev_b32_e32 v1, 4, v1
	s_abs_i32 s2, s14
	v_add3_u32 v127, v6, v1, s10
	v_and_b32_e32 v1, 60, v2
	v_cvt_f32_u32_e32 v23, s2
	v_add3_u32 v136, v3, v1, s3
	v_add_u32_e32 v1, 0x60, v99
	v_lshrrev_b32_e32 v2, 3, v1
	v_lshlrev_b32_e32 v6, 2, v2
	v_lshlrev_b32_e32 v1, 4, v1
	v_add3_u32 v137, v6, v1, s10
	v_and_b32_e32 v1, 60, v2
	v_rcp_iflag_f32_e32 v2, v23
	v_add3_u32 v138, v3, v1, s3
	s_sub_i32 s3, 0, s2
	s_waitcnt vmcnt(0)
	v_sub_u32_e32 v3, 0, v97
	v_mul_f32_e32 v2, 0x4f7ffffe, v2
	v_cvt_u32_f32_e32 v2, v2
	v_ashrrev_i32_e32 v27, 3, v27
	v_max_i32_e32 v3, v97, v3
	v_lshlrev_b32_e32 v27, 2, v27
	v_mul_lo_u32 v6, s3, v2
	v_mul_hi_u32 v6, v2, v6
	v_add_u32_e32 v2, v2, v6
	v_mul_hi_u32 v2, v3, v2
	v_add3_u32 v129, v27, v31, s10
	v_mov_b32_e32 v27, s7
	v_mul_lo_u32 v6, v2, s2
	v_addc_co_u32_e32 v55, vcc, 0, v27, vcc
	v_sub_u32_e32 v3, v3, v6
	v_add_u32_e32 v6, 1, v2
	v_cmp_le_u32_e32 vcc, s2, v3
	v_cndmask_b32_e32 v2, v2, v6, vcc
	v_subrev_u32_e32 v6, s2, v3
	v_cndmask_b32_e32 v3, v3, v6, vcc
	v_xor_b32_e32 v1, s14, v97
	v_add_u32_e32 v6, 1, v2
	v_cmp_le_u32_e32 vcc, s2, v3
	s_mul_i32 s23, s20, s15
	v_ashrrev_i32_e32 v1, 31, v1
	v_cndmask_b32_e32 v2, v2, v6, vcc
	v_xor_b32_e32 v2, v2, v1
	s_mul_hi_i32 s25, s23, 0xd2
	s_mul_i32 s24, s23, 0xd2
	v_sub_u32_e32 v1, v2, v1
	s_movk_i32 s22, 0xd2
	v_pk_mov_b32 v[2:3], s[24:25], s[24:25] op_sel:[0,1]
	v_and_b32_e32 v8, 7, v99
	v_mad_u64_u32 v[2:3], s[26:27], v5, s22, v[2:3]
	v_mad_i64_i32 v[6:7], s[26:27], v7, s22, v[2:3]
	v_lshl_or_b32 v5, v8, 2, v9
	v_add_co_u32_e32 v8, vcc, v6, v5
	v_addc_co_u32_e32 v9, vcc, 0, v7, vcc
	v_mov_b32_e32 v95, s5
	v_add_co_u32_e32 v8, vcc, s4, v8
	v_addc_co_u32_e32 v9, vcc, v9, v95, vcc
	s_movk_i32 s10, 0x80
	v_add_co_u32_e32 v58, vcc, s10, v8
	v_addc_co_u32_e32 v23, vcc, 0, v9, vcc
	v_mad_i64_i32 v[8:9], s[26:27], v25, s22, 0
	v_mov_b32_e32 v35, 0xd2
	v_mad_i64_i32 v[8:9], s[26:27], s23, v35, v[8:9]
	v_add_co_u32_e32 v8, vcc, v8, v31
	v_addc_co_u32_e32 v9, vcc, 0, v9, vcc
	v_add_co_u32_e32 v8, vcc, s4, v8
	v_addc_co_u32_e32 v9, vcc, v9, v95, vcc
	s_movk_i32 s28, 0xc0
	v_add_co_u32_e32 v60, vcc, s28, v8
	v_addc_co_u32_e32 v25, vcc, 0, v9, vcc
	v_add_co_u32_e32 v6, vcc, v6, v4
	v_addc_co_u32_e32 v7, vcc, 0, v7, vcc
	;; [unrolled: 2-line block ×4, first 2 shown]
	v_mad_i64_i32 v[6:7], s[26:27], v10, s22, v[2:3]
	v_add_co_u32_e32 v8, vcc, v6, v5
	v_addc_co_u32_e32 v9, vcc, 0, v7, vcc
	v_add_co_u32_e32 v8, vcc, s4, v8
	v_addc_co_u32_e32 v9, vcc, v9, v95, vcc
	;; [unrolled: 2-line block ×3, first 2 shown]
	v_mad_i64_i32 v[8:9], s[26:27], v33, s22, 0
	v_mad_i64_i32 v[8:9], s[26:27], s23, v35, v[8:9]
	v_add_co_u32_e32 v8, vcc, v8, v31
	v_addc_co_u32_e32 v9, vcc, 0, v9, vcc
	v_add_co_u32_e32 v8, vcc, s4, v8
	v_addc_co_u32_e32 v9, vcc, v9, v95, vcc
	;; [unrolled: 2-line block ×6, first 2 shown]
	v_mad_i64_i32 v[6:7], s[26:27], v11, s22, v[2:3]
	s_ashr_i32 s21, s8, 31
	v_add_co_u32_e32 v8, vcc, v6, v5
	s_add_u32 s18, s6, 0x90
	v_addc_co_u32_e32 v9, vcc, 0, v7, vcc
	s_addc_u32 s19, s7, 0
	v_add_co_u32_e32 v8, vcc, s4, v8
	v_addc_co_u32_e32 v9, vcc, v9, v95, vcc
	s_add_u32 s24, s4, s24
	v_add_co_u32_e32 v70, vcc, s10, v8
	s_addc_u32 s25, s5, s25
	v_addc_co_u32_e32 v35, vcc, 0, v9, vcc
	v_pk_mov_b32 v[8:9], s[24:25], s[24:25] op_sel:[0,1]
	v_mad_i64_i32 v[8:9], s[24:25], v37, s22, v[8:9]
	s_movk_i32 s23, 0xd0
	v_add_co_u32_e32 v72, vcc, s23, v8
	v_addc_co_u32_e32 v37, vcc, 0, v9, vcc
	v_add_co_u32_e32 v6, vcc, v6, v4
	v_addc_co_u32_e32 v7, vcc, 0, v7, vcc
	;; [unrolled: 2-line block ×4, first 2 shown]
	v_mad_i64_i32 v[6:7], s[24:25], v12, s22, v[2:3]
	v_add_co_u32_e32 v8, vcc, v6, v5
	v_addc_co_u32_e32 v9, vcc, 0, v7, vcc
	v_add_co_u32_e32 v8, vcc, s4, v8
	v_addc_co_u32_e32 v9, vcc, v9, v95, vcc
	;; [unrolled: 2-line block ×3, first 2 shown]
	v_mad_i64_i32 v[8:9], s[24:25], v43, s22, v[2:3]
	v_add_co_u32_e32 v10, vcc, v8, v4
	v_addc_co_u32_e32 v11, vcc, 0, v9, vcc
	v_mov_b32_e32 v12, s5
	v_add_co_u32_e32 v78, vcc, s4, v10
	v_addc_co_u32_e32 v43, vcc, v12, v11, vcc
	v_add_co_u32_e32 v6, vcc, v6, v4
	v_addc_co_u32_e32 v7, vcc, 0, v7, vcc
	v_add_co_u32_e32 v6, vcc, s4, v6
	v_addc_co_u32_e32 v7, vcc, v7, v95, vcc
	v_add_co_u32_e32 v80, vcc, 2, v6
	v_addc_co_u32_e32 v45, vcc, 0, v7, vcc
	v_mad_i64_i32 v[6:7], s[24:25], v13, s22, v[2:3]
	v_add_co_u32_e32 v10, vcc, v6, v5
	v_addc_co_u32_e32 v11, vcc, 0, v7, vcc
	v_add_co_u32_e32 v10, vcc, s4, v10
	v_addc_co_u32_e32 v11, vcc, v11, v95, vcc
	v_add_co_u32_e32 v82, vcc, s10, v10
	v_addc_co_u32_e32 v47, vcc, 0, v11, vcc
	v_add_co_u32_e32 v8, vcc, v8, v5
	v_addc_co_u32_e32 v9, vcc, 0, v9, vcc
	v_add_co_u32_e32 v8, vcc, s4, v8
	v_addc_co_u32_e32 v9, vcc, v9, v95, vcc
	v_add_co_u32_e32 v84, vcc, s10, v8
	v_addc_co_u32_e32 v49, vcc, 0, v9, vcc
	v_add_co_u32_e32 v6, vcc, v6, v4
	v_addc_co_u32_e32 v7, vcc, 0, v7, vcc
	v_add_co_u32_e32 v6, vcc, s4, v6
	v_addc_co_u32_e32 v7, vcc, v7, v95, vcc
	v_add_co_u32_e32 v86, vcc, 2, v6
	v_addc_co_u32_e32 v51, vcc, 0, v7, vcc
	v_mad_i64_i32 v[6:7], s[24:25], v14, s22, v[2:3]
	v_add_co_u32_e32 v8, vcc, v6, v5
	v_addc_co_u32_e32 v9, vcc, 0, v7, vcc
	v_add_co_u32_e32 v8, vcc, s4, v8
	v_addc_co_u32_e32 v9, vcc, v9, v95, vcc
	v_add_co_u32_e32 v88, vcc, s10, v8
	v_addc_co_u32_e32 v53, vcc, 0, v9, vcc
	v_mad_i64_i32 v[8:9], s[24:25], v57, s22, v[2:3]
	v_add_co_u32_e32 v10, vcc, v8, v4
	v_addc_co_u32_e32 v11, vcc, 0, v9, vcc
	v_add_co_u32_e32 v90, vcc, s4, v10
	v_addc_co_u32_e32 v57, vcc, v12, v11, vcc
	v_add_co_u32_e32 v6, vcc, v6, v4
	v_addc_co_u32_e32 v7, vcc, 0, v7, vcc
	v_add_co_u32_e32 v6, vcc, s4, v6
	v_addc_co_u32_e32 v7, vcc, v7, v95, vcc
	v_add_co_u32_e32 v92, vcc, 2, v6
	v_addc_co_u32_e32 v59, vcc, 0, v7, vcc
	v_mad_i64_i32 v[6:7], s[24:25], v15, s22, v[2:3]
	v_add_co_u32_e32 v10, vcc, v6, v5
	v_addc_co_u32_e32 v11, vcc, 0, v7, vcc
	v_add_co_u32_e32 v10, vcc, s4, v10
	v_addc_co_u32_e32 v11, vcc, v11, v95, vcc
	v_add_co_u32_e32 v94, vcc, s10, v10
	v_addc_co_u32_e32 v61, vcc, 0, v11, vcc
	v_add_co_u32_e32 v8, vcc, v8, v5
	v_addc_co_u32_e32 v9, vcc, 0, v9, vcc
	v_add_co_u32_e32 v8, vcc, s4, v8
	v_addc_co_u32_e32 v9, vcc, v9, v95, vcc
	v_add_co_u32_e32 v96, vcc, s10, v8
	v_addc_co_u32_e32 v63, vcc, 0, v9, vcc
	v_add_co_u32_e32 v6, vcc, v6, v4
	v_addc_co_u32_e32 v7, vcc, 0, v7, vcc
	v_add_co_u32_e32 v6, vcc, s4, v6
	v_addc_co_u32_e32 v7, vcc, v7, v95, vcc
	v_add_co_u32_e32 v98, vcc, 2, v6
	v_addc_co_u32_e32 v65, vcc, 0, v7, vcc
	v_mad_i64_i32 v[6:7], s[24:25], v16, s22, v[2:3]
	v_add_co_u32_e32 v8, vcc, v6, v5
	v_addc_co_u32_e32 v9, vcc, 0, v7, vcc
	v_add_co_u32_e32 v8, vcc, s4, v8
	v_addc_co_u32_e32 v9, vcc, v9, v95, vcc
	v_add_co_u32_e32 v100, vcc, s10, v8
	v_addc_co_u32_e32 v67, vcc, 0, v9, vcc
	v_mad_i64_i32 v[8:9], s[24:25], v69, s22, v[2:3]
	v_add_co_u32_e32 v10, vcc, v8, v4
	v_addc_co_u32_e32 v11, vcc, 0, v9, vcc
	;; [unrolled: 37-line block ×3, first 2 shown]
	v_add_co_u32_e32 v114, vcc, s4, v10
	v_addc_co_u32_e32 v83, vcc, v12, v11, vcc
	v_add_co_u32_e32 v6, vcc, v6, v4
	v_addc_co_u32_e32 v7, vcc, 0, v7, vcc
	;; [unrolled: 2-line block ×4, first 2 shown]
	v_mad_i64_i32 v[6:7], s[24:25], v19, s22, v[2:3]
	v_add_co_u32_e32 v10, vcc, v6, v5
	v_addc_co_u32_e32 v11, vcc, 0, v7, vcc
	v_add_co_u32_e32 v10, vcc, s4, v10
	v_addc_co_u32_e32 v11, vcc, v11, v95, vcc
	;; [unrolled: 2-line block ×9, first 2 shown]
	v_mad_i64_i32 v[2:3], s[22:23], v20, s22, v[2:3]
	v_add_co_u32_e32 v5, vcc, v2, v5
	v_addc_co_u32_e32 v6, vcc, 0, v3, vcc
	v_add_co_u32_e32 v5, vcc, s4, v5
	v_addc_co_u32_e32 v6, vcc, v6, v95, vcc
	v_add_co_u32_e32 v124, vcc, s10, v5
	v_addc_co_u32_e32 v93, vcc, 0, v6, vcc
	v_add_co_u32_e32 v2, vcc, v2, v4
	v_addc_co_u32_e32 v3, vcc, 0, v3, vcc
	v_add_co_u32_e32 v2, vcc, s4, v2
	v_addc_co_u32_e32 v3, vcc, v3, v95, vcc
	v_mul_lo_u32 v56, v1, s12
	v_add_co_u32_e32 v126, vcc, 2, v2
	v_cmp_gt_u32_e64 s[0:1], 4, v99
	v_mul_u32_u24_e32 v117, 0x104, v99
	v_cmp_gt_i32_e64 s[2:3], s11, v1
	v_ashrrev_i32_e32 v1, 31, v56
	v_addc_co_u32_e32 v95, vcc, 0, v3, vcc
	v_mov_b32_e32 v139, 0
	s_mov_b32 s22, 0xf0f0f0f
	s_mov_b32 s23, 0x30303030
	s_movk_i32 s24, 0x3f00
	s_movk_i32 s25, 0xe000
	v_add_u32_e32 v142, v75, v128
	v_add_u32_e32 v143, v129, v130
	v_mov_b32_e32 v144, 8
	v_mov_b32_e32 v141, 0
	;; [unrolled: 1-line block ×4, first 2 shown]
	s_branch .LBB196_6
.LBB196_4:                              ;   in Loop: Header=BB196_6 Depth=1
	s_or_b64 exec, exec, s[4:5]
	s_waitcnt lgkmcnt(0)
	s_barrier
	ds_read_b128 v[6:9], v111
	ds_read_b128 v[10:13], v111 offset:16
	ds_read_b128 v[14:17], v111 offset:32
	;; [unrolled: 1-line block ×3, first 2 shown]
	ds_read_b32 v145, v119
	ds_read2_b32 v[128:129], v117 offset0:38 offset1:39
	ds_read2_b32 v[132:133], v117 offset0:36 offset1:37
	;; [unrolled: 1-line block ×6, first 2 shown]
	ds_read_b128 v[2:5], v113 offset:36944
	ds_read2_b32 v[130:131], v115 offset0:2 offset1:3
	v_mov_b32_e32 v156, 0
	ds_read2_b32 v[152:153], v117 offset0:42 offset1:43
	ds_read2_b32 v[154:155], v117 offset0:40 offset1:41
	s_waitcnt lgkmcnt(4)
	v_dot4c_i32_i8_e32 v156, v150, v18
	v_dot4c_i32_i8_e32 v156, v151, v19
	;; [unrolled: 1-line block ×4, first 2 shown]
	v_mov_b32_e32 v149, 0
	v_dot4c_i32_i8_e32 v149, v132, v10
	v_dot4c_i32_i8_e32 v149, v133, v11
	;; [unrolled: 1-line block ×4, first 2 shown]
	v_mov_b32_e32 v129, 0
	v_dot4c_i32_i8_e32 v129, v146, v6
	v_dot4c_i32_i8_e32 v129, v147, v7
	s_waitcnt lgkmcnt(2)
	v_bfe_i32 v128, v130, 8, 8
	v_dot4c_i32_i8_e32 v129, v134, v8
	v_mul_lo_u32 v128, v149, v128
	v_dot4c_i32_i8_e32 v129, v135, v9
	v_bfe_i32 v132, v130, 0, 8
	v_mov_b32_e32 v148, 0
	s_waitcnt lgkmcnt(0)
	v_dot4c_i32_i8_e32 v148, v154, v14
	v_mad_u64_u32 v[128:129], s[4:5], v129, v132, v[128:129]
	v_cvt_f32_i32_e32 v128, v128
	v_dot4c_i32_i8_e32 v148, v155, v15
	v_dot4c_i32_i8_e32 v148, v152, v16
	;; [unrolled: 1-line block ×3, first 2 shown]
	v_fma_f32 v160, v2, v128, 0
	v_ashrrev_i32_e32 v128, 24, v130
	v_bfe_i32 v129, v130, 16, 8
	v_mul_lo_u32 v128, v156, v128
	v_mad_u64_u32 v[128:129], s[4:5], v148, v129, v[128:129]
	v_add_u32_e32 v132, 0x2110, v117
	v_add_u32_e32 v146, 0x2108, v117
	;; [unrolled: 1-line block ×5, first 2 shown]
	v_cvt_f32_i32_e32 v161, v128
	ds_read2_b32 v[128:129], v127 offset0:2 offset1:3
	ds_read_b32 v164, v125 offset:128
	ds_read2_b32 v[134:135], v123 offset0:2 offset1:3
	ds_read2_b32 v[132:133], v132 offset1:1
	ds_read2_b32 v[146:147], v146 offset1:1
	;; [unrolled: 1-line block ×5, first 2 shown]
	v_mov_b32_e32 v162, 0
	v_add_u32_e32 v130, 0x2118, v117
	v_add_u32_e32 v154, 0x2128, v117
	;; [unrolled: 1-line block ×3, first 2 shown]
	s_waitcnt lgkmcnt(0)
	v_dot4c_i32_i8_e32 v162, v152, v18
	v_dot4c_i32_i8_e32 v162, v153, v19
	v_add_u32_e32 v158, 0x4198, v117
	v_dot4c_i32_i8_e32 v162, v150, v20
	ds_read2_b32 v[154:155], v154 offset1:1
	ds_read2_b32 v[156:157], v156 offset1:1
	;; [unrolled: 1-line block ×3, first 2 shown]
	v_dot4c_i32_i8_e32 v162, v151, v21
	ds_read2_b32 v[150:151], v130 offset1:1
	v_mov_b32_e32 v153, 0
	v_dot4c_i32_i8_e32 v153, v132, v10
	v_dot4c_i32_i8_e32 v153, v133, v11
	v_mov_b32_e32 v133, 0
	v_dot4c_i32_i8_e32 v133, v148, v6
	s_waitcnt lgkmcnt(0)
	v_dot4c_i32_i8_e32 v153, v150, v12
	v_dot4c_i32_i8_e32 v133, v149, v7
	v_mov_b32_e32 v152, 0
	v_dot4c_i32_i8_e32 v153, v151, v13
	v_bfe_i32 v132, v134, 8, 8
	v_dot4c_i32_i8_e32 v133, v146, v8
	v_dot4c_i32_i8_e32 v152, v156, v14
	v_mul_lo_u32 v132, v153, v132
	v_dot4c_i32_i8_e32 v133, v147, v9
	v_bfe_i32 v146, v134, 0, 8
	v_dot4c_i32_i8_e32 v152, v157, v15
	v_dot4c_i32_i8_e32 v152, v154, v16
	v_mad_u64_u32 v[132:133], s[4:5], v133, v146, v[132:133]
	v_cvt_f32_i32_e32 v146, v132
	v_ashrrev_i32_e32 v132, 24, v134
	v_dot4c_i32_i8_e32 v152, v155, v17
	v_bfe_i32 v133, v134, 16, 8
	v_mul_lo_u32 v132, v162, v132
	v_add_u32_e32 v148, 0x4180, v117
	v_mad_u64_u32 v[132:133], s[4:5], v152, v133, v[132:133]
	v_cvt_f32_i32_e32 v132, v132
	v_fma_f32 v133, v2, v146, 0
	v_add_u32_e32 v146, 0x4188, v117
	v_add_u32_e32 v150, 0x41b8, v117
	v_fmac_f32_e32 v133, v3, v132
	v_add_u32_e32 v132, 0x4190, v117
	v_add_u32_e32 v152, 0x41b0, v117
	ds_read_b32 v130, v138 offset:384
	ds_read_b32 v134, v136 offset:256
	v_fmac_f32_e32 v141, v164, v133
	ds_read2_b32 v[132:133], v132 offset1:1
	ds_read2_b32 v[146:147], v146 offset1:1
	ds_read2_b32 v[148:149], v148 offset1:1
	ds_read2_b32 v[150:151], v150 offset1:1
	ds_read2_b32 v[152:153], v152 offset1:1
	v_mov_b32_e32 v162, 0
	v_fmac_f32_e32 v160, v3, v161
	v_fmac_f32_e32 v139, v145, v160
	v_add_u32_e32 v154, 0x41a8, v117
	s_waitcnt lgkmcnt(0)
	v_dot4c_i32_i8_e32 v162, v152, v18
	v_dot4c_i32_i8_e32 v162, v153, v19
	;; [unrolled: 1-line block ×4, first 2 shown]
	v_mov_b32_e32 v151, 0
	v_dot4c_i32_i8_e32 v151, v132, v10
	v_dot4c_i32_i8_e32 v151, v133, v11
	v_mov_b32_e32 v133, 0
	v_dot4c_i32_i8_e32 v133, v148, v6
	v_dot4c_i32_i8_e32 v151, v158, v12
	;; [unrolled: 1-line block ×3, first 2 shown]
	v_add_u32_e32 v156, 0x41a0, v117
	v_add_u32_e32 v160, 0x6218, v117
	v_dot4c_i32_i8_e32 v151, v159, v13
	v_bfe_i32 v132, v128, 8, 8
	v_dot4c_i32_i8_e32 v133, v146, v8
	ds_read2_b32 v[154:155], v154 offset1:1
	ds_read2_b32 v[156:157], v156 offset1:1
	ds_read2_b32 v[160:161], v160 offset1:1
	v_mul_lo_u32 v132, v151, v132
	v_dot4c_i32_i8_e32 v133, v147, v9
	v_bfe_i32 v146, v128, 0, 8
	v_mov_b32_e32 v150, 0
	s_waitcnt lgkmcnt(1)
	v_dot4c_i32_i8_e32 v150, v156, v14
	v_mad_u64_u32 v[132:133], s[4:5], v133, v146, v[132:133]
	v_cvt_f32_i32_e32 v132, v132
	v_dot4c_i32_i8_e32 v150, v157, v15
	v_dot4c_i32_i8_e32 v150, v154, v16
	;; [unrolled: 1-line block ×3, first 2 shown]
	v_fma_f32 v165, v2, v132, 0
	v_bfe_i32 v132, v128, 16, 8
	v_ashrrev_i32_e32 v128, 24, v128
	v_mul_lo_u32 v128, v162, v128
	v_mad_u64_u32 v[132:133], s[4:5], v150, v132, v[128:129]
	v_add_u32_e32 v146, 0x6210, v117
	v_add_u32_e32 v148, 0x6208, v117
	v_add_u32_e32 v150, 0x6200, v117
	v_add_u32_e32 v152, 0x6238, v117
	v_add_u32_e32 v154, 0x6230, v117
	v_cvt_f32_i32_e32 v128, v132
	ds_read2_b32 v[132:133], v137 offset0:2 offset1:3
	ds_read2_b32 v[146:147], v146 offset1:1
	ds_read2_b32 v[148:149], v148 offset1:1
	;; [unrolled: 1-line block ×5, first 2 shown]
	v_add_u32_e32 v156, 0x6228, v117
	v_add_u32_e32 v158, 0x6220, v117
	;; [unrolled: 1-line block ×3, first 2 shown]
	ds_read2_b32 v[156:157], v156 offset1:1
	ds_read2_b32 v[158:159], v158 offset1:1
	;; [unrolled: 1-line block ×3, first 2 shown]
	v_mov_b32_e32 v166, 0
	s_waitcnt lgkmcnt(3)
	v_dot4c_i32_i8_e32 v166, v154, v18
	v_mov_b32_e32 v18, 0
	s_waitcnt lgkmcnt(1)
	v_dot4c_i32_i8_e32 v18, v158, v14
	v_mov_b32_e32 v14, 0
	v_dot4c_i32_i8_e32 v14, v146, v10
	v_dot4c_i32_i8_e32 v14, v147, v11
	v_mov_b32_e32 v11, 0
	v_dot4c_i32_i8_e32 v11, v150, v6
	v_dot4c_i32_i8_e32 v14, v160, v12
	;; [unrolled: 1-line block ×4, first 2 shown]
	v_bfe_i32 v10, v132, 8, 8
	v_dot4c_i32_i8_e32 v11, v148, v8
	v_dot4c_i32_i8_e32 v166, v155, v19
	v_mul_lo_u32 v10, v14, v10
	v_dot4c_i32_i8_e32 v11, v149, v9
	v_bfe_i32 v6, v132, 0, 8
	v_dot4c_i32_i8_e32 v166, v152, v20
	v_dot4c_i32_i8_e32 v18, v159, v15
	v_mad_u64_u32 v[6:7], s[4:5], v11, v6, v[10:11]
	v_dot4c_i32_i8_e32 v166, v153, v21
	v_dot4c_i32_i8_e32 v18, v156, v16
	v_cvt_f32_i32_e32 v8, v6
	v_ashrrev_i32_e32 v6, 24, v132
	v_dot4c_i32_i8_e32 v18, v157, v17
	v_bfe_i32 v7, v132, 16, 8
	v_mul_lo_u32 v6, v166, v6
	v_fma_f32 v2, v2, v8, 0
	v_mad_u64_u32 v[6:7], s[4:5], v18, v7, v[6:7]
	v_cvt_f32_i32_e32 v6, v6
	v_fmac_f32_e32 v165, v3, v128
	v_mov_b32_e32 v128, 0
	v_mov_b32_e32 v132, 0
	v_fmac_f32_e32 v2, v3, v6
	v_fmac_f32_e32 v75, v130, v2
	ds_read_b128 v[10:13], v111 offset:80
	ds_read_b128 v[6:9], v111 offset:64
	;; [unrolled: 1-line block ×4, first 2 shown]
	ds_read2_b32 v[2:3], v117 offset0:62 offset1:63
	ds_read2_b32 v[146:147], v117 offset0:60 offset1:61
	;; [unrolled: 1-line block ×6, first 2 shown]
	s_waitcnt lgkmcnt(4)
	v_dot4c_i32_i8_e32 v128, v146, v18
	v_dot4c_i32_i8_e32 v128, v147, v19
	;; [unrolled: 1-line block ×3, first 2 shown]
	v_mov_b32_e32 v2, 0
	s_waitcnt lgkmcnt(2)
	v_dot4c_i32_i8_e32 v2, v150, v10
	v_dot4c_i32_i8_e32 v2, v151, v11
	;; [unrolled: 1-line block ×5, first 2 shown]
	v_bfe_i32 v3, v131, 8, 8
	ds_read2_b32 v[156:157], v117 offset0:58 offset1:59
	ds_read2_b32 v[158:159], v117 offset0:56 offset1:57
	v_mul_lo_u32 v2, v2, v3
	v_mov_b32_e32 v3, 0
	s_waitcnt lgkmcnt(2)
	v_dot4c_i32_i8_e32 v3, v154, v6
	v_dot4c_i32_i8_e32 v3, v155, v7
	;; [unrolled: 1-line block ×4, first 2 shown]
	v_bfe_i32 v146, v131, 0, 8
	s_waitcnt lgkmcnt(0)
	v_dot4c_i32_i8_e32 v132, v158, v14
	v_dot4c_i32_i8_e32 v132, v159, v15
	v_mad_u64_u32 v[2:3], s[4:5], v3, v146, v[2:3]
	v_cvt_f32_i32_e32 v2, v2
	v_dot4c_i32_i8_e32 v132, v156, v16
	v_dot4c_i32_i8_e32 v132, v157, v17
	v_bfe_i32 v3, v131, 16, 8
	v_fma_f32 v160, v4, v2, 0
	v_ashrrev_i32_e32 v2, 24, v131
	v_mul_lo_u32 v2, v128, v2
	v_mad_u64_u32 v[2:3], s[4:5], v132, v3, v[2:3]
	v_cvt_f32_i32_e32 v128, v2
	v_add_u32_e32 v2, 0x2150, v117
	v_add_u32_e32 v131, 0x2148, v117
	;; [unrolled: 1-line block ×4, first 2 shown]
	ds_read2_b32 v[2:3], v2 offset1:1
	ds_read2_b32 v[146:147], v131 offset1:1
	;; [unrolled: 1-line block ×4, first 2 shown]
	v_add_u32_e32 v131, 0x2170, v117
	ds_read2_b32 v[152:153], v131 offset1:1
	v_mov_b32_e32 v132, 0
	v_add_u32_e32 v154, 0x2168, v117
	v_add_u32_e32 v156, 0x2160, v117
	;; [unrolled: 1-line block ×3, first 2 shown]
	s_waitcnt lgkmcnt(0)
	v_dot4c_i32_i8_e32 v132, v152, v18
	v_dot4c_i32_i8_e32 v132, v153, v19
	;; [unrolled: 1-line block ×3, first 2 shown]
	v_mov_b32_e32 v150, 0
	v_dot4c_i32_i8_e32 v150, v2, v10
	ds_read2_b32 v[154:155], v154 offset1:1
	ds_read2_b32 v[156:157], v156 offset1:1
	;; [unrolled: 1-line block ×3, first 2 shown]
	v_dot4c_i32_i8_e32 v150, v3, v11
	v_mov_b32_e32 v3, 0
	v_dot4c_i32_i8_e32 v3, v148, v6
	v_dot4c_i32_i8_e32 v150, v162, v12
	v_dot4c_i32_i8_e32 v3, v149, v7
	v_mov_b32_e32 v131, 0
	v_dot4c_i32_i8_e32 v150, v163, v13
	v_bfe_i32 v2, v135, 8, 8
	v_dot4c_i32_i8_e32 v3, v146, v8
	s_waitcnt lgkmcnt(1)
	v_dot4c_i32_i8_e32 v131, v156, v14
	v_mul_lo_u32 v2, v150, v2
	v_dot4c_i32_i8_e32 v3, v147, v9
	v_bfe_i32 v146, v135, 0, 8
	v_dot4c_i32_i8_e32 v131, v157, v15
	v_dot4c_i32_i8_e32 v132, v151, v21
	v_mad_u64_u32 v[2:3], s[4:5], v3, v146, v[2:3]
	v_dot4c_i32_i8_e32 v131, v154, v16
	v_cvt_f32_i32_e32 v146, v2
	v_ashrrev_i32_e32 v2, 24, v135
	v_dot4c_i32_i8_e32 v131, v155, v17
	v_bfe_i32 v3, v135, 16, 8
	v_mul_lo_u32 v2, v132, v2
	v_fmac_f32_e32 v160, v5, v128
	v_mad_u64_u32 v[2:3], s[4:5], v131, v3, v[2:3]
	v_cvt_f32_i32_e32 v2, v2
	v_fma_f32 v3, v4, v146, 0
	v_add_u32_e32 v128, 0x41c8, v117
	v_add_u32_e32 v132, 0x41f8, v117
	v_fmac_f32_e32 v3, v5, v2
	v_add_u32_e32 v2, 0x41d0, v117
	v_fmac_f32_e32 v141, v164, v3
	v_add_u32_e32 v131, 0x41c0, v117
	ds_read2_b32 v[2:3], v2 offset1:1
	ds_read2_b32 v[146:147], v128 offset1:1
	;; [unrolled: 1-line block ×4, first 2 shown]
	v_add_u32_e32 v128, 0x41f0, v117
	v_add_u32_e32 v132, 0x41e8, v117
	v_fmac_f32_e32 v139, v145, v160
	v_add_u32_e32 v135, 0x41e0, v117
	ds_read2_b32 v[152:153], v128 offset1:1
	v_add_u32_e32 v128, 0x6258, v117
	ds_read2_b32 v[154:155], v132 offset1:1
	ds_read2_b32 v[156:157], v135 offset1:1
	;; [unrolled: 1-line block ×3, first 2 shown]
	v_mov_b32_e32 v132, 0
	s_waitcnt lgkmcnt(7)
	v_dot4c_i32_i8_e32 v132, v2, v10
	v_dot4c_i32_i8_e32 v132, v3, v11
	v_mov_b32_e32 v3, 0
	s_waitcnt lgkmcnt(5)
	v_dot4c_i32_i8_e32 v3, v148, v6
	v_dot4c_i32_i8_e32 v132, v158, v12
	;; [unrolled: 1-line block ×4, first 2 shown]
	v_bfe_i32 v2, v129, 8, 8
	v_dot4c_i32_i8_e32 v3, v146, v8
	v_dot4c_i32_i8_e32 v3, v147, v9
	v_mul_lo_u32 v2, v132, v2
	v_bfe_i32 v132, v129, 0, 8
	v_mov_b32_e32 v131, 0
	v_mad_u64_u32 v[2:3], s[4:5], v3, v132, v[2:3]
	v_cvt_f32_i32_e32 v2, v2
	s_waitcnt lgkmcnt(3)
	v_dot4c_i32_i8_e32 v131, v152, v18
	v_mov_b32_e32 v128, 0
	v_dot4c_i32_i8_e32 v131, v153, v19
	s_waitcnt lgkmcnt(1)
	v_dot4c_i32_i8_e32 v128, v156, v14
	v_dot4c_i32_i8_e32 v131, v150, v20
	;; [unrolled: 1-line block ×5, first 2 shown]
	v_fma_f32 v132, v4, v2, 0
	v_ashrrev_i32_e32 v2, 24, v129
	v_dot4c_i32_i8_e32 v128, v155, v17
	v_bfe_i32 v3, v129, 16, 8
	v_mul_lo_u32 v2, v131, v2
	v_add_u32_e32 v135, 0x6240, v117
	v_mad_u64_u32 v[2:3], s[4:5], v128, v3, v[2:3]
	v_cvt_f32_i32_e32 v131, v2
	v_add_u32_e32 v2, 0x6250, v117
	v_add_u32_e32 v128, 0x6248, v117
	;; [unrolled: 1-line block ×3, first 2 shown]
	ds_read2_b32 v[2:3], v2 offset1:1
	ds_read2_b32 v[128:129], v128 offset1:1
	;; [unrolled: 1-line block ×4, first 2 shown]
	v_add_u32_e32 v135, 0x6270, v117
	ds_read2_b32 v[150:151], v135 offset1:1
	v_add_u32_e32 v135, 0x6268, v117
	v_add_u32_e32 v154, 0x6260, v117
	ds_read2_b32 v[152:153], v135 offset1:1
	ds_read2_b32 v[154:155], v154 offset1:1
	v_mov_b32_e32 v145, 0
	s_waitcnt lgkmcnt(2)
	v_dot4c_i32_i8_e32 v145, v150, v18
	v_mov_b32_e32 v18, 0
	v_dot4c_i32_i8_e32 v145, v151, v19
	s_waitcnt lgkmcnt(0)
	v_dot4c_i32_i8_e32 v18, v154, v14
	v_mov_b32_e32 v14, 0
	v_dot4c_i32_i8_e32 v14, v2, v10
	v_dot4c_i32_i8_e32 v14, v3, v11
	v_mov_b32_e32 v3, 0
	v_dot4c_i32_i8_e32 v3, v146, v6
	v_dot4c_i32_i8_e32 v14, v160, v12
	;; [unrolled: 1-line block ×4, first 2 shown]
	v_bfe_i32 v2, v133, 8, 8
	v_dot4c_i32_i8_e32 v3, v128, v8
	v_dot4c_i32_i8_e32 v3, v129, v9
	v_mul_lo_u32 v2, v14, v2
	v_bfe_i32 v6, v133, 0, 8
	v_dot4c_i32_i8_e32 v145, v148, v20
	v_dot4c_i32_i8_e32 v18, v155, v15
	v_mad_u64_u32 v[2:3], s[4:5], v3, v6, v[2:3]
	v_dot4c_i32_i8_e32 v145, v149, v21
	v_dot4c_i32_i8_e32 v18, v152, v16
	v_cvt_f32_i32_e32 v6, v2
	v_ashrrev_i32_e32 v2, 24, v133
	v_dot4c_i32_i8_e32 v18, v153, v17
	v_bfe_i32 v3, v133, 16, 8
	v_mul_lo_u32 v2, v145, v2
	v_fmac_f32_e32 v140, v134, v165
	v_mad_u64_u32 v[2:3], s[4:5], v18, v3, v[2:3]
	v_cvt_f32_i32_e32 v2, v2
	v_fma_f32 v3, v4, v6, 0
	v_fmac_f32_e32 v132, v5, v131
	v_fmac_f32_e32 v140, v134, v132
	;; [unrolled: 1-line block ×4, first 2 shown]
	s_barrier
.LBB196_5:                              ;   in Loop: Header=BB196_6 Depth=1
	v_add_co_u32_e32 v58, vcc, 0xd2, v58
	v_addc_co_u32_e32 v23, vcc, 0, v23, vcc
	v_add_co_u32_e32 v60, vcc, 0xd2, v60
	v_addc_co_u32_e32 v25, vcc, 0, v25, vcc
	;; [unrolled: 2-line block ×34, first 2 shown]
	s_add_i32 s20, s20, -1
	s_addk_i32 s10, 0x100
	v_add_co_u32_e32 v126, vcc, 0xd2, v126
	v_add_u32_e32 v99, 8, v99
	v_add_u32_e32 v121, 8, v121
	v_add_u32_e32 v109, 8, v109
	s_cmp_eq_u32 s20, 0
	v_addc_co_u32_e32 v95, vcc, 0, v95, vcc
	s_cbranch_scc1 .LBB196_19
.LBB196_6:                              ; =>This Inner Loop Header: Depth=1
	v_mov_b32_e32 v2, s21
	v_add_co_u32_e32 v4, vcc, s8, v62
	v_addc_co_u32_e32 v5, vcc, v27, v2, vcc
	global_load_dword v3, v[4:5], off offset:-2
	v_add_co_u32_e32 v4, vcc, s8, v58
	v_addc_co_u32_e32 v5, vcc, v23, v2, vcc
	global_load_dword v8, v[4:5], off
	v_add_co_u32_e32 v4, vcc, s8, v68
	v_addc_co_u32_e32 v5, vcc, v33, v2, vcc
	global_load_dword v9, v[4:5], off offset:-2
	v_add_co_u32_e32 v4, vcc, s8, v64
	v_addc_co_u32_e32 v5, vcc, v29, v2, vcc
	global_load_dword v10, v[4:5], off
	v_add_co_u32_e32 v4, vcc, s8, v74
	v_addc_co_u32_e32 v5, vcc, v39, v2, vcc
	v_add_co_u32_e32 v6, vcc, s8, v70
	v_addc_co_u32_e32 v7, vcc, v35, v2, vcc
	global_load_dword v11, v[4:5], off offset:-2
	global_load_dword v12, v[6:7], off
	v_add_co_u32_e32 v4, vcc, s8, v80
	v_addc_co_u32_e32 v5, vcc, v45, v2, vcc
	v_add_co_u32_e32 v6, vcc, s8, v76
	v_addc_co_u32_e32 v7, vcc, v41, v2, vcc
	global_load_dword v13, v[4:5], off offset:-2
	s_nop 0
	global_load_dword v6, v[6:7], off
	s_add_i32 s4, s10, 0xffffff80
	s_cmp_lt_i32 s4, s9
	s_waitcnt vmcnt(7)
	v_and_b32_e32 v4, 0xf0f0f0f, v3
	v_lshrrev_b32_e32 v3, 4, v3
	s_waitcnt vmcnt(6)
	v_ashrrev_i32_e32 v5, v101, v8
	s_waitcnt vmcnt(5)
	v_and_b32_e32 v7, 0xf0f0f0f, v9
	v_lshrrev_b32_e32 v8, 4, v9
	s_waitcnt vmcnt(4)
	v_ashrrev_i32_e32 v9, v101, v10
	v_lshlrev_b32_e32 v10, 4, v5
	v_and_b32_e32 v5, 0x30303030, v5
	v_lshlrev_b32_e32 v14, 4, v9
	v_and_b32_e32 v9, 0x30303030, v9
	v_and_or_b32 v4, v10, s23, v4
	v_and_or_b32 v3, v3, s22, v5
	;; [unrolled: 1-line block ×4, first 2 shown]
	v_and_b32_e32 v8, 0x3f00, v4
	v_lshlrev_b16_e32 v9, 8, v4
	v_and_b32_sdwa v10, v4, s24 dst_sel:DWORD dst_unused:UNUSED_PAD src0_sel:WORD_1 src1_sel:DWORD
	v_lshlrev_b16_sdwa v4, v144, v4 dst_sel:DWORD dst_unused:UNUSED_PAD src0_sel:DWORD src1_sel:WORD_1
	v_and_b32_e32 v14, 0x3f00, v3
	v_lshlrev_b16_e32 v15, 8, v3
	v_and_b32_sdwa v16, v3, s24 dst_sel:DWORD dst_unused:UNUSED_PAD src0_sel:WORD_1 src1_sel:DWORD
	v_lshlrev_b16_sdwa v3, v144, v3 dst_sel:DWORD dst_unused:UNUSED_PAD src0_sel:DWORD src1_sel:WORD_1
	v_add_u16_e32 v9, 0xe000, v9
	v_add_u16_e32 v4, 0xe000, v4
	v_add_u16_e32 v15, 0xe000, v15
	v_add_u16_e32 v3, 0xe000, v3
	v_and_b32_e32 v17, 0x3f00, v5
	v_lshlrev_b16_e32 v18, 8, v5
	v_and_b32_sdwa v19, v5, s24 dst_sel:DWORD dst_unused:UNUSED_PAD src0_sel:WORD_1 src1_sel:DWORD
	v_lshlrev_b16_sdwa v5, v144, v5 dst_sel:DWORD dst_unused:UNUSED_PAD src0_sel:DWORD src1_sel:WORD_1
	v_or_b32_sdwa v8, v8, v9 dst_sel:DWORD dst_unused:UNUSED_PAD src0_sel:DWORD src1_sel:BYTE_1
	v_or_b32_sdwa v4, v10, v4 dst_sel:DWORD dst_unused:UNUSED_PAD src0_sel:DWORD src1_sel:BYTE_1
	;; [unrolled: 1-line block ×4, first 2 shown]
	v_add_u16_e32 v18, 0xe000, v18
	v_add_u16_e32 v5, 0xe000, v5
	;; [unrolled: 1-line block ×3, first 2 shown]
	v_add_u16_sdwa v4, v4, s25 dst_sel:WORD_1 dst_unused:UNUSED_PAD src0_sel:DWORD src1_sel:DWORD
	v_add_u16_e32 v9, 0xe000, v9
	v_add_u16_sdwa v3, v3, s25 dst_sel:WORD_1 dst_unused:UNUSED_PAD src0_sel:DWORD src1_sel:DWORD
	v_or_b32_sdwa v10, v17, v18 dst_sel:DWORD dst_unused:UNUSED_PAD src0_sel:DWORD src1_sel:BYTE_1
	v_or_b32_sdwa v5, v19, v5 dst_sel:DWORD dst_unused:UNUSED_PAD src0_sel:DWORD src1_sel:BYTE_1
	v_or_b32_e32 v4, v8, v4
	v_or_b32_e32 v3, v9, v3
	v_add_u16_e32 v10, 0xe000, v10
	v_add_u16_sdwa v5, v5, s25 dst_sel:WORD_1 dst_unused:UNUSED_PAD src0_sel:DWORD src1_sel:DWORD
	ds_write2_b32 v22, v4, v3 offset1:16
	v_add_co_u32_e32 v4, vcc, s8, v86
	v_or_b32_e32 v8, v10, v5
	v_addc_co_u32_e32 v5, vcc, v51, v2, vcc
	global_load_dword v9, v[4:5], off offset:-2
	v_add_co_u32_e32 v4, vcc, s8, v82
	v_addc_co_u32_e32 v5, vcc, v47, v2, vcc
	v_lshlrev_b16_e32 v21, 8, v7
	global_load_dword v10, v[4:5], off
	v_lshlrev_b16_sdwa v5, v144, v7 dst_sel:DWORD dst_unused:UNUSED_PAD src0_sel:DWORD src1_sel:WORD_1
	v_and_b32_e32 v20, 0x3f00, v7
	v_add_u16_e32 v3, 0xe000, v21
	v_and_b32_sdwa v4, v7, s24 dst_sel:DWORD dst_unused:UNUSED_PAD src0_sel:WORD_1 src1_sel:DWORD
	v_add_u16_e32 v5, 0xe000, v5
	v_or_b32_sdwa v3, v20, v3 dst_sel:DWORD dst_unused:UNUSED_PAD src0_sel:DWORD src1_sel:BYTE_1
	v_or_b32_sdwa v4, v4, v5 dst_sel:DWORD dst_unused:UNUSED_PAD src0_sel:DWORD src1_sel:BYTE_1
	v_add_u16_e32 v3, 0xe000, v3
	v_add_u16_sdwa v4, v4, s25 dst_sel:WORD_1 dst_unused:UNUSED_PAD src0_sel:DWORD src1_sel:DWORD
	v_or_b32_e32 v3, v3, v4
	s_waitcnt vmcnt(4)
	v_ashrrev_i32_e32 v5, v101, v12
	ds_write2_b32 v24, v8, v3 offset1:16
	v_and_b32_e32 v3, 0xf0f0f0f, v11
	v_lshlrev_b32_e32 v7, 4, v5
	v_and_or_b32 v3, v7, s23, v3
	v_lshlrev_b16_e32 v8, 8, v3
	v_and_b32_e32 v7, 0x3f00, v3
	v_add_u16_e32 v8, 0xe000, v8
	v_or_b32_sdwa v7, v7, v8 dst_sel:DWORD dst_unused:UNUSED_PAD src0_sel:DWORD src1_sel:BYTE_1
	v_and_b32_sdwa v8, v3, s24 dst_sel:DWORD dst_unused:UNUSED_PAD src0_sel:WORD_1 src1_sel:DWORD
	v_lshlrev_b16_sdwa v3, v144, v3 dst_sel:DWORD dst_unused:UNUSED_PAD src0_sel:DWORD src1_sel:WORD_1
	v_add_u16_e32 v3, 0xe000, v3
	v_lshrrev_b32_e32 v4, 4, v11
	v_and_b32_e32 v5, 0x30303030, v5
	v_or_b32_sdwa v3, v8, v3 dst_sel:DWORD dst_unused:UNUSED_PAD src0_sel:DWORD src1_sel:BYTE_1
	v_add_u16_e32 v7, 0xe000, v7
	v_add_u16_sdwa v3, v3, s25 dst_sel:WORD_1 dst_unused:UNUSED_PAD src0_sel:DWORD src1_sel:DWORD
	v_and_or_b32 v4, v4, s22, v5
	v_or_b32_e32 v3, v7, v3
	v_lshlrev_b16_e32 v7, 8, v4
	v_and_b32_e32 v5, 0x3f00, v4
	v_add_u16_e32 v7, 0xe000, v7
	v_or_b32_sdwa v5, v5, v7 dst_sel:DWORD dst_unused:UNUSED_PAD src0_sel:DWORD src1_sel:BYTE_1
	v_and_b32_sdwa v7, v4, s24 dst_sel:DWORD dst_unused:UNUSED_PAD src0_sel:WORD_1 src1_sel:DWORD
	v_lshlrev_b16_sdwa v4, v144, v4 dst_sel:DWORD dst_unused:UNUSED_PAD src0_sel:DWORD src1_sel:WORD_1
	v_add_u16_e32 v4, 0xe000, v4
	v_or_b32_sdwa v4, v7, v4 dst_sel:DWORD dst_unused:UNUSED_PAD src0_sel:DWORD src1_sel:BYTE_1
	v_add_u16_e32 v5, 0xe000, v5
	v_add_u16_sdwa v4, v4, s25 dst_sel:WORD_1 dst_unused:UNUSED_PAD src0_sel:DWORD src1_sel:DWORD
	v_or_b32_e32 v4, v5, v4
	ds_write2_b32 v26, v3, v4 offset1:16
	v_add_co_u32_e32 v4, vcc, s8, v92
	v_addc_co_u32_e32 v5, vcc, v59, v2, vcc
	global_load_dword v8, v[4:5], off offset:-2
	v_add_co_u32_e32 v4, vcc, s8, v88
	v_addc_co_u32_e32 v5, vcc, v53, v2, vcc
	global_load_dword v11, v[4:5], off
	s_waitcnt vmcnt(4)
	v_ashrrev_i32_e32 v6, v101, v6
	v_and_b32_e32 v3, 0xf0f0f0f, v13
	v_lshlrev_b32_e32 v4, 4, v6
	v_and_or_b32 v3, v4, s23, v3
	v_and_b32_e32 v5, 0x30303030, v6
	v_lshlrev_b16_e32 v6, 8, v3
	v_and_b32_e32 v4, 0x3f00, v3
	v_add_u16_e32 v6, 0xe000, v6
	v_or_b32_sdwa v4, v4, v6 dst_sel:DWORD dst_unused:UNUSED_PAD src0_sel:DWORD src1_sel:BYTE_1
	v_and_b32_sdwa v6, v3, s24 dst_sel:DWORD dst_unused:UNUSED_PAD src0_sel:WORD_1 src1_sel:DWORD
	v_lshlrev_b16_sdwa v3, v144, v3 dst_sel:DWORD dst_unused:UNUSED_PAD src0_sel:DWORD src1_sel:WORD_1
	v_add_u16_e32 v3, 0xe000, v3
	v_or_b32_sdwa v3, v6, v3 dst_sel:DWORD dst_unused:UNUSED_PAD src0_sel:DWORD src1_sel:BYTE_1
	v_lshrrev_b32_e32 v7, 4, v13
	v_add_u16_e32 v4, 0xe000, v4
	v_add_u16_sdwa v3, v3, s25 dst_sel:WORD_1 dst_unused:UNUSED_PAD src0_sel:DWORD src1_sel:DWORD
	v_or_b32_e32 v3, v4, v3
	v_and_or_b32 v4, v7, s22, v5
	v_lshlrev_b16_e32 v6, 8, v4
	v_and_b32_e32 v5, 0x3f00, v4
	v_add_u16_e32 v6, 0xe000, v6
	v_or_b32_sdwa v5, v5, v6 dst_sel:DWORD dst_unused:UNUSED_PAD src0_sel:DWORD src1_sel:BYTE_1
	v_and_b32_sdwa v6, v4, s24 dst_sel:DWORD dst_unused:UNUSED_PAD src0_sel:WORD_1 src1_sel:DWORD
	v_lshlrev_b16_sdwa v4, v144, v4 dst_sel:DWORD dst_unused:UNUSED_PAD src0_sel:DWORD src1_sel:WORD_1
	v_add_u16_e32 v4, 0xe000, v4
	v_or_b32_sdwa v4, v6, v4 dst_sel:DWORD dst_unused:UNUSED_PAD src0_sel:DWORD src1_sel:BYTE_1
	v_add_u16_e32 v5, 0xe000, v5
	v_add_u16_sdwa v4, v4, s25 dst_sel:WORD_1 dst_unused:UNUSED_PAD src0_sel:DWORD src1_sel:DWORD
	v_or_b32_e32 v4, v5, v4
	ds_write2_b32 v28, v3, v4 offset1:16
	v_add_co_u32_e32 v4, vcc, s8, v98
	v_addc_co_u32_e32 v5, vcc, v65, v2, vcc
	s_waitcnt vmcnt(3)
	v_and_b32_e32 v3, 0xf0f0f0f, v9
	v_lshrrev_b32_e32 v6, 4, v9
	global_load_dword v9, v[4:5], off offset:-2
	v_add_co_u32_e32 v4, vcc, s8, v94
	v_addc_co_u32_e32 v5, vcc, v61, v2, vcc
	s_waitcnt vmcnt(3)
	v_ashrrev_i32_e32 v7, v101, v10
	global_load_dword v10, v[4:5], off
	v_lshlrev_b32_e32 v4, 4, v7
	v_and_or_b32 v3, v4, s23, v3
	v_and_b32_e32 v5, 0x30303030, v7
	v_lshlrev_b16_e32 v7, 8, v3
	v_and_b32_e32 v4, 0x3f00, v3
	v_add_u16_e32 v7, 0xe000, v7
	v_or_b32_sdwa v4, v4, v7 dst_sel:DWORD dst_unused:UNUSED_PAD src0_sel:DWORD src1_sel:BYTE_1
	v_and_b32_sdwa v7, v3, s24 dst_sel:DWORD dst_unused:UNUSED_PAD src0_sel:WORD_1 src1_sel:DWORD
	v_lshlrev_b16_sdwa v3, v144, v3 dst_sel:DWORD dst_unused:UNUSED_PAD src0_sel:DWORD src1_sel:WORD_1
	v_add_u16_e32 v3, 0xe000, v3
	v_or_b32_sdwa v3, v7, v3 dst_sel:DWORD dst_unused:UNUSED_PAD src0_sel:DWORD src1_sel:BYTE_1
	v_and_or_b32 v6, v6, s22, v5
	v_add_u16_e32 v4, 0xe000, v4
	v_add_u16_sdwa v3, v3, s25 dst_sel:WORD_1 dst_unused:UNUSED_PAD src0_sel:DWORD src1_sel:DWORD
	v_lshlrev_b16_e32 v5, 8, v6
	v_or_b32_e32 v3, v4, v3
	v_and_b32_e32 v4, 0x3f00, v6
	v_add_u16_e32 v5, 0xe000, v5
	v_or_b32_sdwa v4, v4, v5 dst_sel:DWORD dst_unused:UNUSED_PAD src0_sel:DWORD src1_sel:BYTE_1
	v_add_u16_e32 v7, 0xe000, v4
	v_add_co_u32_e32 v4, vcc, s8, v104
	v_addc_co_u32_e32 v5, vcc, v71, v2, vcc
	global_load_dword v12, v[4:5], off offset:-2
	v_add_co_u32_e32 v4, vcc, s8, v100
	v_addc_co_u32_e32 v5, vcc, v67, v2, vcc
	global_load_dword v13, v[4:5], off
	v_lshlrev_b16_sdwa v5, v144, v6 dst_sel:DWORD dst_unused:UNUSED_PAD src0_sel:DWORD src1_sel:WORD_1
	v_and_b32_sdwa v4, v6, s24 dst_sel:DWORD dst_unused:UNUSED_PAD src0_sel:WORD_1 src1_sel:DWORD
	v_add_u16_e32 v5, 0xe000, v5
	v_or_b32_sdwa v4, v4, v5 dst_sel:DWORD dst_unused:UNUSED_PAD src0_sel:DWORD src1_sel:BYTE_1
	v_add_u16_sdwa v4, v4, s25 dst_sel:WORD_1 dst_unused:UNUSED_PAD src0_sel:DWORD src1_sel:DWORD
	v_or_b32_e32 v4, v7, v4
	s_waitcnt vmcnt(4)
	v_ashrrev_i32_e32 v5, v101, v11
	ds_write2_b32 v30, v3, v4 offset1:16
	v_and_b32_e32 v3, 0xf0f0f0f, v8
	v_lshlrev_b32_e32 v6, 4, v5
	v_and_or_b32 v3, v6, s23, v3
	v_lshlrev_b16_e32 v7, 8, v3
	v_and_b32_e32 v6, 0x3f00, v3
	v_add_u16_e32 v7, 0xe000, v7
	v_or_b32_sdwa v6, v6, v7 dst_sel:DWORD dst_unused:UNUSED_PAD src0_sel:DWORD src1_sel:BYTE_1
	v_and_b32_sdwa v7, v3, s24 dst_sel:DWORD dst_unused:UNUSED_PAD src0_sel:WORD_1 src1_sel:DWORD
	v_lshlrev_b16_sdwa v3, v144, v3 dst_sel:DWORD dst_unused:UNUSED_PAD src0_sel:DWORD src1_sel:WORD_1
	v_add_u16_e32 v3, 0xe000, v3
	v_or_b32_sdwa v3, v7, v3 dst_sel:DWORD dst_unused:UNUSED_PAD src0_sel:DWORD src1_sel:BYTE_1
	v_lshrrev_b32_e32 v4, 4, v8
	v_and_b32_e32 v5, 0x30303030, v5
	v_add_u16_e32 v6, 0xe000, v6
	v_add_u16_sdwa v3, v3, s25 dst_sel:WORD_1 dst_unused:UNUSED_PAD src0_sel:DWORD src1_sel:DWORD
	v_or_b32_e32 v3, v6, v3
	v_and_or_b32 v6, v4, s22, v5
	v_lshlrev_b16_e32 v5, 8, v6
	v_and_b32_e32 v4, 0x3f00, v6
	v_add_u16_e32 v5, 0xe000, v5
	v_or_b32_sdwa v4, v4, v5 dst_sel:DWORD dst_unused:UNUSED_PAD src0_sel:DWORD src1_sel:BYTE_1
	v_add_u16_e32 v7, 0xe000, v4
	v_add_co_u32_e32 v4, vcc, s8, v110
	v_addc_co_u32_e32 v5, vcc, v79, v2, vcc
	global_load_dword v8, v[4:5], off offset:-2
	v_add_co_u32_e32 v4, vcc, s8, v106
	v_addc_co_u32_e32 v5, vcc, v73, v2, vcc
	global_load_dword v11, v[4:5], off
	v_lshlrev_b16_sdwa v5, v144, v6 dst_sel:DWORD dst_unused:UNUSED_PAD src0_sel:DWORD src1_sel:WORD_1
	v_and_b32_sdwa v4, v6, s24 dst_sel:DWORD dst_unused:UNUSED_PAD src0_sel:WORD_1 src1_sel:DWORD
	v_add_u16_e32 v5, 0xe000, v5
	v_or_b32_sdwa v4, v4, v5 dst_sel:DWORD dst_unused:UNUSED_PAD src0_sel:DWORD src1_sel:BYTE_1
	v_add_u16_sdwa v4, v4, s25 dst_sel:WORD_1 dst_unused:UNUSED_PAD src0_sel:DWORD src1_sel:DWORD
	v_or_b32_e32 v4, v7, v4
	ds_write2_b32 v32, v3, v4 offset1:16
	s_waitcnt vmcnt(5)
	v_and_b32_e32 v3, 0xf0f0f0f, v9
	v_lshrrev_b32_e32 v4, 4, v9
	s_waitcnt vmcnt(4)
	v_ashrrev_i32_e32 v5, v101, v10
	v_lshlrev_b32_e32 v6, 4, v5
	v_and_or_b32 v3, v6, s23, v3
	v_lshlrev_b16_e32 v7, 8, v3
	v_and_b32_e32 v6, 0x3f00, v3
	v_add_u16_e32 v7, 0xe000, v7
	v_or_b32_sdwa v6, v6, v7 dst_sel:DWORD dst_unused:UNUSED_PAD src0_sel:DWORD src1_sel:BYTE_1
	v_and_b32_sdwa v7, v3, s24 dst_sel:DWORD dst_unused:UNUSED_PAD src0_sel:WORD_1 src1_sel:DWORD
	v_lshlrev_b16_sdwa v3, v144, v3 dst_sel:DWORD dst_unused:UNUSED_PAD src0_sel:DWORD src1_sel:WORD_1
	v_add_u16_e32 v3, 0xe000, v3
	v_and_b32_e32 v5, 0x30303030, v5
	v_or_b32_sdwa v3, v7, v3 dst_sel:DWORD dst_unused:UNUSED_PAD src0_sel:DWORD src1_sel:BYTE_1
	v_add_u16_e32 v6, 0xe000, v6
	v_add_u16_sdwa v3, v3, s25 dst_sel:WORD_1 dst_unused:UNUSED_PAD src0_sel:DWORD src1_sel:DWORD
	v_and_or_b32 v4, v4, s22, v5
	v_or_b32_e32 v3, v6, v3
	v_lshlrev_b16_e32 v6, 8, v4
	v_and_b32_e32 v5, 0x3f00, v4
	v_add_u16_e32 v6, 0xe000, v6
	v_or_b32_sdwa v5, v5, v6 dst_sel:DWORD dst_unused:UNUSED_PAD src0_sel:DWORD src1_sel:BYTE_1
	v_and_b32_sdwa v6, v4, s24 dst_sel:DWORD dst_unused:UNUSED_PAD src0_sel:WORD_1 src1_sel:DWORD
	v_lshlrev_b16_sdwa v4, v144, v4 dst_sel:DWORD dst_unused:UNUSED_PAD src0_sel:DWORD src1_sel:WORD_1
	v_add_u16_e32 v4, 0xe000, v4
	v_or_b32_sdwa v4, v6, v4 dst_sel:DWORD dst_unused:UNUSED_PAD src0_sel:DWORD src1_sel:BYTE_1
	v_add_u16_e32 v5, 0xe000, v5
	v_add_u16_sdwa v4, v4, s25 dst_sel:WORD_1 dst_unused:UNUSED_PAD src0_sel:DWORD src1_sel:DWORD
	v_or_b32_e32 v4, v5, v4
	ds_write2_b32 v34, v3, v4 offset1:16
	v_add_co_u32_e32 v4, vcc, s8, v116
	v_addc_co_u32_e32 v5, vcc, v85, v2, vcc
	global_load_dword v9, v[4:5], off offset:-2
	v_add_co_u32_e32 v4, vcc, s8, v112
	v_addc_co_u32_e32 v5, vcc, v81, v2, vcc
	s_waitcnt vmcnt(3)
	v_ashrrev_i32_e32 v7, v101, v13
	global_load_dword v10, v[4:5], off
	v_and_b32_e32 v3, 0xf0f0f0f, v12
	v_lshlrev_b32_e32 v4, 4, v7
	v_and_or_b32 v3, v4, s23, v3
	v_and_b32_e32 v5, 0x30303030, v7
	v_lshlrev_b16_e32 v7, 8, v3
	v_and_b32_e32 v4, 0x3f00, v3
	v_add_u16_e32 v7, 0xe000, v7
	v_or_b32_sdwa v4, v4, v7 dst_sel:DWORD dst_unused:UNUSED_PAD src0_sel:DWORD src1_sel:BYTE_1
	v_and_b32_sdwa v7, v3, s24 dst_sel:DWORD dst_unused:UNUSED_PAD src0_sel:WORD_1 src1_sel:DWORD
	v_lshlrev_b16_sdwa v3, v144, v3 dst_sel:DWORD dst_unused:UNUSED_PAD src0_sel:DWORD src1_sel:WORD_1
	v_add_u16_e32 v3, 0xe000, v3
	v_or_b32_sdwa v3, v7, v3 dst_sel:DWORD dst_unused:UNUSED_PAD src0_sel:DWORD src1_sel:BYTE_1
	v_lshrrev_b32_e32 v6, 4, v12
	v_add_u16_e32 v4, 0xe000, v4
	v_add_u16_sdwa v3, v3, s25 dst_sel:WORD_1 dst_unused:UNUSED_PAD src0_sel:DWORD src1_sel:DWORD
	v_or_b32_e32 v3, v4, v3
	v_and_or_b32 v4, v6, s22, v5
	v_lshlrev_b16_e32 v6, 8, v4
	v_and_b32_e32 v5, 0x3f00, v4
	v_add_u16_e32 v6, 0xe000, v6
	v_or_b32_sdwa v5, v5, v6 dst_sel:DWORD dst_unused:UNUSED_PAD src0_sel:DWORD src1_sel:BYTE_1
	v_and_b32_sdwa v6, v4, s24 dst_sel:DWORD dst_unused:UNUSED_PAD src0_sel:WORD_1 src1_sel:DWORD
	v_lshlrev_b16_sdwa v4, v144, v4 dst_sel:DWORD dst_unused:UNUSED_PAD src0_sel:DWORD src1_sel:WORD_1
	v_add_u16_e32 v4, 0xe000, v4
	v_or_b32_sdwa v4, v6, v4 dst_sel:DWORD dst_unused:UNUSED_PAD src0_sel:DWORD src1_sel:BYTE_1
	v_add_u16_e32 v5, 0xe000, v5
	v_add_u16_sdwa v4, v4, s25 dst_sel:WORD_1 dst_unused:UNUSED_PAD src0_sel:DWORD src1_sel:DWORD
	v_or_b32_e32 v4, v5, v4
	ds_write2_b32 v36, v3, v4 offset1:16
	v_add_co_u32_e32 v4, vcc, s8, v122
	v_addc_co_u32_e32 v5, vcc, v91, v2, vcc
	s_waitcnt vmcnt(3)
	v_and_b32_e32 v3, 0xf0f0f0f, v8
	v_lshrrev_b32_e32 v6, 4, v8
	global_load_dword v8, v[4:5], off offset:-2
	v_add_co_u32_e32 v4, vcc, s8, v118
	v_addc_co_u32_e32 v5, vcc, v87, v2, vcc
	s_waitcnt vmcnt(3)
	v_ashrrev_i32_e32 v7, v101, v11
	global_load_dword v11, v[4:5], off
	v_lshlrev_b32_e32 v4, 4, v7
	v_and_or_b32 v3, v4, s23, v3
	v_and_b32_e32 v5, 0x30303030, v7
	v_lshlrev_b16_e32 v7, 8, v3
	v_and_b32_e32 v4, 0x3f00, v3
	v_add_u16_e32 v7, 0xe000, v7
	v_or_b32_sdwa v4, v4, v7 dst_sel:DWORD dst_unused:UNUSED_PAD src0_sel:DWORD src1_sel:BYTE_1
	v_and_b32_sdwa v7, v3, s24 dst_sel:DWORD dst_unused:UNUSED_PAD src0_sel:WORD_1 src1_sel:DWORD
	v_lshlrev_b16_sdwa v3, v144, v3 dst_sel:DWORD dst_unused:UNUSED_PAD src0_sel:DWORD src1_sel:WORD_1
	v_add_u16_e32 v3, 0xe000, v3
	v_or_b32_sdwa v3, v7, v3 dst_sel:DWORD dst_unused:UNUSED_PAD src0_sel:DWORD src1_sel:BYTE_1
	v_and_or_b32 v6, v6, s22, v5
	v_add_u16_e32 v4, 0xe000, v4
	v_add_u16_sdwa v3, v3, s25 dst_sel:WORD_1 dst_unused:UNUSED_PAD src0_sel:DWORD src1_sel:DWORD
	v_lshlrev_b16_e32 v5, 8, v6
	v_or_b32_e32 v3, v4, v3
	v_and_b32_e32 v4, 0x3f00, v6
	v_add_u16_e32 v5, 0xe000, v5
	v_or_b32_sdwa v4, v4, v5 dst_sel:DWORD dst_unused:UNUSED_PAD src0_sel:DWORD src1_sel:BYTE_1
	v_add_u16_e32 v7, 0xe000, v4
	v_add_co_u32_e32 v4, vcc, s8, v126
	v_addc_co_u32_e32 v5, vcc, v95, v2, vcc
	global_load_dword v12, v[4:5], off offset:-2
	v_add_co_u32_e32 v4, vcc, s8, v124
	v_addc_co_u32_e32 v5, vcc, v93, v2, vcc
	global_load_dword v13, v[4:5], off
	v_lshlrev_b16_sdwa v5, v144, v6 dst_sel:DWORD dst_unused:UNUSED_PAD src0_sel:DWORD src1_sel:WORD_1
	v_and_b32_sdwa v4, v6, s24 dst_sel:DWORD dst_unused:UNUSED_PAD src0_sel:WORD_1 src1_sel:DWORD
	v_add_u16_e32 v5, 0xe000, v5
	v_or_b32_sdwa v4, v4, v5 dst_sel:DWORD dst_unused:UNUSED_PAD src0_sel:DWORD src1_sel:BYTE_1
	v_add_u16_sdwa v4, v4, s25 dst_sel:WORD_1 dst_unused:UNUSED_PAD src0_sel:DWORD src1_sel:DWORD
	v_or_b32_e32 v4, v7, v4
	ds_write2_b32 v38, v3, v4 offset1:16
	s_waitcnt vmcnt(4)
	v_ashrrev_i32_e32 v5, v101, v10
	v_and_b32_e32 v3, 0xf0f0f0f, v9
	v_lshlrev_b32_e32 v6, 4, v5
	v_and_or_b32 v3, v6, s23, v3
	v_lshlrev_b16_e32 v7, 8, v3
	v_and_b32_e32 v6, 0x3f00, v3
	v_add_u16_e32 v7, 0xe000, v7
	v_or_b32_sdwa v6, v6, v7 dst_sel:DWORD dst_unused:UNUSED_PAD src0_sel:DWORD src1_sel:BYTE_1
	v_and_b32_sdwa v7, v3, s24 dst_sel:DWORD dst_unused:UNUSED_PAD src0_sel:WORD_1 src1_sel:DWORD
	v_lshlrev_b16_sdwa v3, v144, v3 dst_sel:DWORD dst_unused:UNUSED_PAD src0_sel:DWORD src1_sel:WORD_1
	v_add_u16_e32 v3, 0xe000, v3
	v_or_b32_sdwa v3, v7, v3 dst_sel:DWORD dst_unused:UNUSED_PAD src0_sel:DWORD src1_sel:BYTE_1
	v_lshrrev_b32_e32 v4, 4, v9
	v_and_b32_e32 v5, 0x30303030, v5
	v_add_u16_e32 v6, 0xe000, v6
	v_add_u16_sdwa v3, v3, s25 dst_sel:WORD_1 dst_unused:UNUSED_PAD src0_sel:DWORD src1_sel:DWORD
	v_or_b32_e32 v3, v6, v3
	v_and_or_b32 v6, v4, s22, v5
	v_lshlrev_b16_e32 v5, 8, v6
	v_and_b32_e32 v4, 0x3f00, v6
	v_add_u16_e32 v5, 0xe000, v5
	v_or_b32_sdwa v4, v4, v5 dst_sel:DWORD dst_unused:UNUSED_PAD src0_sel:DWORD src1_sel:BYTE_1
	v_add_u16_e32 v7, 0xe000, v4
	v_add_co_u32_e32 v4, vcc, s8, v114
	v_addc_co_u32_e32 v5, vcc, v83, v2, vcc
	global_load_dword v9, v[4:5], off
	v_add_co_u32_e32 v4, vcc, s8, v120
	v_addc_co_u32_e32 v5, vcc, v89, v2, vcc
	global_load_dword v10, v[4:5], off
	v_lshlrev_b16_sdwa v5, v144, v6 dst_sel:DWORD dst_unused:UNUSED_PAD src0_sel:DWORD src1_sel:WORD_1
	v_and_b32_sdwa v4, v6, s24 dst_sel:DWORD dst_unused:UNUSED_PAD src0_sel:WORD_1 src1_sel:DWORD
	v_add_u16_e32 v5, 0xe000, v5
	v_or_b32_sdwa v4, v4, v5 dst_sel:DWORD dst_unused:UNUSED_PAD src0_sel:DWORD src1_sel:BYTE_1
	v_add_u16_sdwa v4, v4, s25 dst_sel:WORD_1 dst_unused:UNUSED_PAD src0_sel:DWORD src1_sel:DWORD
	v_or_b32_e32 v4, v7, v4
	ds_write2_b32 v40, v3, v4 offset1:16
	s_waitcnt vmcnt(5)
	v_and_b32_e32 v3, 0xf0f0f0f, v8
	v_lshrrev_b32_e32 v4, 4, v8
	s_waitcnt vmcnt(4)
	v_ashrrev_i32_e32 v5, v101, v11
	v_lshlrev_b32_e32 v6, 4, v5
	v_and_or_b32 v3, v6, s23, v3
	v_lshlrev_b16_e32 v7, 8, v3
	v_and_b32_e32 v6, 0x3f00, v3
	v_add_u16_e32 v7, 0xe000, v7
	v_or_b32_sdwa v6, v6, v7 dst_sel:DWORD dst_unused:UNUSED_PAD src0_sel:DWORD src1_sel:BYTE_1
	v_and_b32_sdwa v7, v3, s24 dst_sel:DWORD dst_unused:UNUSED_PAD src0_sel:WORD_1 src1_sel:DWORD
	v_lshlrev_b16_sdwa v3, v144, v3 dst_sel:DWORD dst_unused:UNUSED_PAD src0_sel:DWORD src1_sel:WORD_1
	v_add_u16_e32 v3, 0xe000, v3
	v_and_b32_e32 v5, 0x30303030, v5
	v_or_b32_sdwa v3, v7, v3 dst_sel:DWORD dst_unused:UNUSED_PAD src0_sel:DWORD src1_sel:BYTE_1
	v_add_u16_e32 v6, 0xe000, v6
	v_add_u16_sdwa v3, v3, s25 dst_sel:WORD_1 dst_unused:UNUSED_PAD src0_sel:DWORD src1_sel:DWORD
	v_and_or_b32 v4, v4, s22, v5
	v_or_b32_e32 v3, v6, v3
	v_lshlrev_b16_e32 v6, 8, v4
	v_and_b32_e32 v5, 0x3f00, v4
	v_add_u16_e32 v6, 0xe000, v6
	v_or_b32_sdwa v5, v5, v6 dst_sel:DWORD dst_unused:UNUSED_PAD src0_sel:DWORD src1_sel:BYTE_1
	v_and_b32_sdwa v6, v4, s24 dst_sel:DWORD dst_unused:UNUSED_PAD src0_sel:WORD_1 src1_sel:DWORD
	v_lshlrev_b16_sdwa v4, v144, v4 dst_sel:DWORD dst_unused:UNUSED_PAD src0_sel:DWORD src1_sel:WORD_1
	v_add_u16_e32 v4, 0xe000, v4
	v_or_b32_sdwa v4, v6, v4 dst_sel:DWORD dst_unused:UNUSED_PAD src0_sel:DWORD src1_sel:BYTE_1
	v_add_u16_e32 v5, 0xe000, v5
	v_add_u16_sdwa v4, v4, s25 dst_sel:WORD_1 dst_unused:UNUSED_PAD src0_sel:DWORD src1_sel:DWORD
	v_or_b32_e32 v4, v5, v4
	ds_write2_b32 v42, v3, v4 offset1:16
	v_add_co_u32_e32 v4, vcc, s8, v102
	v_addc_co_u32_e32 v5, vcc, v69, v2, vcc
	global_load_dword v8, v[4:5], off
	v_add_co_u32_e32 v4, vcc, s8, v108
	v_addc_co_u32_e32 v5, vcc, v77, v2, vcc
	global_load_dword v11, v[4:5], off
	s_waitcnt vmcnt(4)
	v_ashrrev_i32_e32 v7, v101, v13
	v_and_b32_e32 v3, 0xf0f0f0f, v12
	v_lshlrev_b32_e32 v4, 4, v7
	v_and_or_b32 v3, v4, s23, v3
	v_and_b32_e32 v5, 0x30303030, v7
	v_lshlrev_b16_e32 v7, 8, v3
	v_and_b32_e32 v4, 0x3f00, v3
	v_add_u16_e32 v7, 0xe000, v7
	v_or_b32_sdwa v4, v4, v7 dst_sel:DWORD dst_unused:UNUSED_PAD src0_sel:DWORD src1_sel:BYTE_1
	v_and_b32_sdwa v7, v3, s24 dst_sel:DWORD dst_unused:UNUSED_PAD src0_sel:WORD_1 src1_sel:DWORD
	v_lshlrev_b16_sdwa v3, v144, v3 dst_sel:DWORD dst_unused:UNUSED_PAD src0_sel:DWORD src1_sel:WORD_1
	v_add_u16_e32 v3, 0xe000, v3
	v_or_b32_sdwa v3, v7, v3 dst_sel:DWORD dst_unused:UNUSED_PAD src0_sel:DWORD src1_sel:BYTE_1
	v_lshrrev_b32_e32 v6, 4, v12
	v_add_u16_e32 v4, 0xe000, v4
	v_add_u16_sdwa v3, v3, s25 dst_sel:WORD_1 dst_unused:UNUSED_PAD src0_sel:DWORD src1_sel:DWORD
	v_or_b32_e32 v3, v4, v3
	v_and_or_b32 v4, v6, s22, v5
	v_lshlrev_b16_e32 v6, 8, v4
	v_and_b32_e32 v5, 0x3f00, v4
	v_add_u16_e32 v6, 0xe000, v6
	v_or_b32_sdwa v5, v5, v6 dst_sel:DWORD dst_unused:UNUSED_PAD src0_sel:DWORD src1_sel:BYTE_1
	v_and_b32_sdwa v6, v4, s24 dst_sel:DWORD dst_unused:UNUSED_PAD src0_sel:WORD_1 src1_sel:DWORD
	v_lshlrev_b16_sdwa v4, v144, v4 dst_sel:DWORD dst_unused:UNUSED_PAD src0_sel:DWORD src1_sel:WORD_1
	v_add_u16_e32 v4, 0xe000, v4
	v_or_b32_sdwa v4, v6, v4 dst_sel:DWORD dst_unused:UNUSED_PAD src0_sel:DWORD src1_sel:BYTE_1
	v_add_u16_e32 v5, 0xe000, v5
	v_add_u16_sdwa v4, v4, s25 dst_sel:WORD_1 dst_unused:UNUSED_PAD src0_sel:DWORD src1_sel:DWORD
	v_or_b32_e32 v4, v5, v4
	ds_write2_b32 v44, v3, v4 offset1:16
	s_waitcnt vmcnt(3)
	v_and_b32_e32 v3, 0xf0f0f0f, v9
	v_lshrrev_b32_e32 v6, 4, v9
	s_waitcnt vmcnt(2)
	v_ashrrev_i32_e32 v4, v101, v10
	v_lshlrev_b32_e32 v5, 4, v4
	v_and_b32_e32 v7, 0x30303030, v4
	v_add_co_u32_e32 v4, vcc, s8, v90
	v_and_or_b32 v3, v5, s23, v3
	v_addc_co_u32_e32 v5, vcc, v57, v2, vcc
	global_load_dword v12, v[4:5], off
	v_add_co_u32_e32 v4, vcc, s8, v96
	v_addc_co_u32_e32 v5, vcc, v63, v2, vcc
	v_and_b32_e32 v9, 0x3f00, v3
	v_lshlrev_b16_e32 v10, 8, v3
	global_load_dword v13, v[4:5], off
	v_and_b32_sdwa v5, v3, s24 dst_sel:DWORD dst_unused:UNUSED_PAD src0_sel:WORD_1 src1_sel:DWORD
	v_lshlrev_b16_sdwa v3, v144, v3 dst_sel:DWORD dst_unused:UNUSED_PAD src0_sel:DWORD src1_sel:WORD_1
	v_add_u16_e32 v4, 0xe000, v10
	v_add_u16_e32 v3, 0xe000, v3
	v_or_b32_sdwa v4, v9, v4 dst_sel:DWORD dst_unused:UNUSED_PAD src0_sel:DWORD src1_sel:BYTE_1
	v_or_b32_sdwa v3, v5, v3 dst_sel:DWORD dst_unused:UNUSED_PAD src0_sel:DWORD src1_sel:BYTE_1
	v_add_u16_e32 v4, 0xe000, v4
	v_add_u16_sdwa v3, v3, s25 dst_sel:WORD_1 dst_unused:UNUSED_PAD src0_sel:DWORD src1_sel:DWORD
	v_or_b32_e32 v3, v4, v3
	v_and_or_b32 v4, v6, s22, v7
	v_lshlrev_b16_e32 v6, 8, v4
	v_and_b32_e32 v5, 0x3f00, v4
	v_add_u16_e32 v6, 0xe000, v6
	v_or_b32_sdwa v5, v5, v6 dst_sel:DWORD dst_unused:UNUSED_PAD src0_sel:DWORD src1_sel:BYTE_1
	v_add_u16_e32 v6, 0xe000, v5
	v_and_b32_sdwa v5, v4, s24 dst_sel:DWORD dst_unused:UNUSED_PAD src0_sel:WORD_1 src1_sel:DWORD
	v_lshlrev_b16_sdwa v4, v144, v4 dst_sel:DWORD dst_unused:UNUSED_PAD src0_sel:DWORD src1_sel:WORD_1
	v_add_u16_e32 v4, 0xe000, v4
	v_or_b32_sdwa v4, v5, v4 dst_sel:DWORD dst_unused:UNUSED_PAD src0_sel:DWORD src1_sel:BYTE_1
	v_add_u16_sdwa v7, v4, s25 dst_sel:WORD_1 dst_unused:UNUSED_PAD src0_sel:DWORD src1_sel:DWORD
	v_add_co_u32_e32 v4, vcc, s8, v78
	v_addc_co_u32_e32 v5, vcc, v43, v2, vcc
	global_load_dword v9, v[4:5], off
	v_add_co_u32_e32 v4, vcc, s8, v84
	v_addc_co_u32_e32 v5, vcc, v49, v2, vcc
	global_load_dword v10, v[4:5], off
	v_or_b32_e32 v4, v6, v7
	ds_write2_b32 v46, v3, v4 offset1:16
	s_waitcnt vmcnt(4)
	v_ashrrev_i32_e32 v4, v101, v11
	v_and_b32_e32 v3, 0xf0f0f0f, v8
	v_lshlrev_b32_e32 v5, 4, v4
	v_and_or_b32 v3, v5, s23, v3
	v_lshlrev_b16_e32 v5, 8, v3
	v_and_b32_e32 v7, 0x30303030, v4
	v_and_b32_e32 v4, 0x3f00, v3
	v_add_u16_e32 v5, 0xe000, v5
	v_or_b32_sdwa v4, v4, v5 dst_sel:DWORD dst_unused:UNUSED_PAD src0_sel:DWORD src1_sel:BYTE_1
	v_lshrrev_b32_e32 v6, 4, v8
	v_add_u16_e32 v8, 0xe000, v4
	v_and_b32_sdwa v4, v3, s24 dst_sel:DWORD dst_unused:UNUSED_PAD src0_sel:WORD_1 src1_sel:DWORD
	v_lshlrev_b16_sdwa v3, v144, v3 dst_sel:DWORD dst_unused:UNUSED_PAD src0_sel:DWORD src1_sel:WORD_1
	v_add_u16_e32 v3, 0xe000, v3
	v_or_b32_sdwa v3, v4, v3 dst_sel:DWORD dst_unused:UNUSED_PAD src0_sel:DWORD src1_sel:BYTE_1
	v_add_co_u32_e32 v4, vcc, s8, v72
	v_addc_co_u32_e32 v5, vcc, v37, v2, vcc
	global_load_ushort v11, v[4:5], off
	v_add_co_u32_e32 v4, vcc, s8, v66
	v_addc_co_u32_e32 v5, vcc, v31, v2, vcc
	global_load_dword v14, v[4:5], off
	v_add_co_u32_e32 v4, vcc, s8, v60
	v_addc_co_u32_e32 v5, vcc, v25, v2, vcc
	global_load_dword v2, v[4:5], off
	v_and_or_b32 v4, v6, s22, v7
	v_lshlrev_b16_e32 v6, 8, v4
	v_and_b32_e32 v5, 0x3f00, v4
	v_add_u16_e32 v6, 0xe000, v6
	v_or_b32_sdwa v5, v5, v6 dst_sel:DWORD dst_unused:UNUSED_PAD src0_sel:DWORD src1_sel:BYTE_1
	v_and_b32_sdwa v6, v4, s24 dst_sel:DWORD dst_unused:UNUSED_PAD src0_sel:WORD_1 src1_sel:DWORD
	v_lshlrev_b16_sdwa v4, v144, v4 dst_sel:DWORD dst_unused:UNUSED_PAD src0_sel:DWORD src1_sel:WORD_1
	v_add_u16_e32 v4, 0xe000, v4
	v_or_b32_sdwa v4, v6, v4 dst_sel:DWORD dst_unused:UNUSED_PAD src0_sel:DWORD src1_sel:BYTE_1
	v_add_u16_sdwa v3, v3, s25 dst_sel:WORD_1 dst_unused:UNUSED_PAD src0_sel:DWORD src1_sel:DWORD
	v_add_u16_e32 v5, 0xe000, v5
	v_add_u16_sdwa v4, v4, s25 dst_sel:WORD_1 dst_unused:UNUSED_PAD src0_sel:DWORD src1_sel:DWORD
	v_or_b32_e32 v3, v8, v3
	v_or_b32_e32 v4, v5, v4
	ds_write2_b32 v48, v3, v4 offset1:16
	s_waitcnt vmcnt(6)
	v_and_b32_e32 v3, 0xf0f0f0f, v12
	v_lshrrev_b32_e32 v4, 4, v12
	s_waitcnt vmcnt(5)
	v_ashrrev_i32_e32 v5, v101, v13
	v_lshlrev_b32_e32 v6, 4, v5
	v_and_or_b32 v3, v6, s23, v3
	v_lshlrev_b16_e32 v7, 8, v3
	v_and_b32_e32 v6, 0x3f00, v3
	v_add_u16_e32 v7, 0xe000, v7
	v_or_b32_sdwa v6, v6, v7 dst_sel:DWORD dst_unused:UNUSED_PAD src0_sel:DWORD src1_sel:BYTE_1
	v_and_b32_sdwa v7, v3, s24 dst_sel:DWORD dst_unused:UNUSED_PAD src0_sel:WORD_1 src1_sel:DWORD
	v_lshlrev_b16_sdwa v3, v144, v3 dst_sel:DWORD dst_unused:UNUSED_PAD src0_sel:DWORD src1_sel:WORD_1
	v_add_u16_e32 v3, 0xe000, v3
	v_and_b32_e32 v5, 0x30303030, v5
	v_or_b32_sdwa v3, v7, v3 dst_sel:DWORD dst_unused:UNUSED_PAD src0_sel:DWORD src1_sel:BYTE_1
	v_add_u16_e32 v6, 0xe000, v6
	v_add_u16_sdwa v3, v3, s25 dst_sel:WORD_1 dst_unused:UNUSED_PAD src0_sel:DWORD src1_sel:DWORD
	v_and_or_b32 v4, v4, s22, v5
	v_or_b32_e32 v3, v6, v3
	v_lshlrev_b16_e32 v6, 8, v4
	v_and_b32_e32 v5, 0x3f00, v4
	v_add_u16_e32 v6, 0xe000, v6
	v_or_b32_sdwa v5, v5, v6 dst_sel:DWORD dst_unused:UNUSED_PAD src0_sel:DWORD src1_sel:BYTE_1
	v_and_b32_sdwa v6, v4, s24 dst_sel:DWORD dst_unused:UNUSED_PAD src0_sel:WORD_1 src1_sel:DWORD
	v_lshlrev_b16_sdwa v4, v144, v4 dst_sel:DWORD dst_unused:UNUSED_PAD src0_sel:DWORD src1_sel:WORD_1
	v_add_u16_e32 v4, 0xe000, v4
	v_or_b32_sdwa v4, v6, v4 dst_sel:DWORD dst_unused:UNUSED_PAD src0_sel:DWORD src1_sel:BYTE_1
	v_add_u16_e32 v5, 0xe000, v5
	v_add_u16_sdwa v4, v4, s25 dst_sel:WORD_1 dst_unused:UNUSED_PAD src0_sel:DWORD src1_sel:DWORD
	v_or_b32_e32 v4, v5, v4
	ds_write2_b32 v50, v3, v4 offset1:16
	s_waitcnt vmcnt(4)
	v_and_b32_e32 v3, 0xf0f0f0f, v9
	v_lshrrev_b32_e32 v4, 4, v9
	s_waitcnt vmcnt(3)
	v_ashrrev_i32_e32 v5, v101, v10
	v_lshlrev_b32_e32 v6, 4, v5
	v_and_or_b32 v3, v6, s23, v3
	v_lshlrev_b16_e32 v7, 8, v3
	v_and_b32_e32 v6, 0x3f00, v3
	v_add_u16_e32 v7, 0xe000, v7
	v_or_b32_sdwa v6, v6, v7 dst_sel:DWORD dst_unused:UNUSED_PAD src0_sel:DWORD src1_sel:BYTE_1
	v_and_b32_sdwa v7, v3, s24 dst_sel:DWORD dst_unused:UNUSED_PAD src0_sel:WORD_1 src1_sel:DWORD
	v_lshlrev_b16_sdwa v3, v144, v3 dst_sel:DWORD dst_unused:UNUSED_PAD src0_sel:DWORD src1_sel:WORD_1
	v_add_u16_e32 v3, 0xe000, v3
	v_and_b32_e32 v5, 0x30303030, v5
	v_or_b32_sdwa v3, v7, v3 dst_sel:DWORD dst_unused:UNUSED_PAD src0_sel:DWORD src1_sel:BYTE_1
	v_add_u16_e32 v6, 0xe000, v6
	v_add_u16_sdwa v3, v3, s25 dst_sel:WORD_1 dst_unused:UNUSED_PAD src0_sel:DWORD src1_sel:DWORD
	v_and_or_b32 v4, v4, s22, v5
	v_or_b32_e32 v3, v6, v3
	v_lshlrev_b16_e32 v6, 8, v4
	v_and_b32_e32 v5, 0x3f00, v4
	v_add_u16_e32 v6, 0xe000, v6
	v_or_b32_sdwa v5, v5, v6 dst_sel:DWORD dst_unused:UNUSED_PAD src0_sel:DWORD src1_sel:BYTE_1
	v_and_b32_sdwa v6, v4, s24 dst_sel:DWORD dst_unused:UNUSED_PAD src0_sel:WORD_1 src1_sel:DWORD
	v_lshlrev_b16_sdwa v4, v144, v4 dst_sel:DWORD dst_unused:UNUSED_PAD src0_sel:DWORD src1_sel:WORD_1
	v_add_u16_e32 v4, 0xe000, v4
	v_or_b32_sdwa v4, v6, v4 dst_sel:DWORD dst_unused:UNUSED_PAD src0_sel:DWORD src1_sel:BYTE_1
	s_waitcnt vmcnt(2)
	v_cvt_f32_f16_e32 v6, v11
	v_add_u16_e32 v5, 0xe000, v5
	v_add_u16_sdwa v4, v4, s25 dst_sel:WORD_1 dst_unused:UNUSED_PAD src0_sel:DWORD src1_sel:DWORD
	v_or_b32_e32 v4, v5, v4
	ds_write2_b32 v52, v3, v4 offset1:16
	ds_write_b32 v103, v6
	s_waitcnt vmcnt(1)
	ds_write_b32 v142, v14
	s_waitcnt vmcnt(0)
	ds_write_b32 v143, v2
	s_cbranch_scc0 .LBB196_5
; %bb.7:                                ;   in Loop: Header=BB196_6 Depth=1
	v_cmp_gt_i32_e32 vcc, s12, v109
	s_and_b64 s[26:27], s[2:3], vcc
	s_and_saveexec_b64 s[4:5], s[26:27]
	s_cbranch_execz .LBB196_9
; %bb.8:                                ;   in Loop: Header=BB196_6 Depth=1
	v_add_u32_e32 v2, v56, v109
	v_mad_i64_i32 v[2:3], s[26:27], v2, 36, v[54:55]
	global_load_dword v2, v[2:3], off offset:4
	s_waitcnt vmcnt(0)
	ds_write_b32 v105, v2
.LBB196_9:                              ;   in Loop: Header=BB196_6 Depth=1
	s_or_b64 exec, exec, s[4:5]
	s_and_saveexec_b64 s[4:5], s[0:1]
	s_cbranch_execz .LBB196_12
; %bb.10:                               ;   in Loop: Header=BB196_6 Depth=1
	v_cmp_gt_i32_e32 vcc, s12, v99
	s_and_b64 s[26:27], s[2:3], vcc
	s_and_b64 exec, exec, s[26:27]
	s_cbranch_execz .LBB196_12
; %bb.11:                               ;   in Loop: Header=BB196_6 Depth=1
	v_add_u32_e32 v2, v56, v99
	v_mad_i64_i32 v[2:3], s[26:27], v2, 36, s[6:7]
	global_load_dword v2, v[2:3], off
	s_waitcnt vmcnt(0)
	v_cvt_f32_f16_e32 v2, v2
	ds_write_b32 v107, v2
.LBB196_12:                             ;   in Loop: Header=BB196_6 Depth=1
	s_or_b64 exec, exec, s[4:5]
	s_waitcnt lgkmcnt(0)
	s_barrier
	ds_read_b128 v[6:9], v111
	ds_read_b128 v[10:13], v111 offset:16
	ds_read_b128 v[14:17], v111 offset:32
	;; [unrolled: 1-line block ×3, first 2 shown]
	ds_read_b32 v145, v119
	ds_read2_b32 v[128:129], v117 offset0:6 offset1:7
	ds_read2_b32 v[132:133], v117 offset0:4 offset1:5
	;; [unrolled: 1-line block ×3, first 2 shown]
	ds_read2_b32 v[146:147], v117 offset1:1
	ds_read2_b32 v[148:149], v117 offset0:14 offset1:15
	ds_read2_b32 v[150:151], v117 offset0:12 offset1:13
	ds_read_b128 v[2:5], v113 offset:36944
	ds_read2_b32 v[130:131], v115 offset1:1
	v_mov_b32_e32 v156, 0
	ds_read2_b32 v[152:153], v117 offset0:10 offset1:11
	ds_read2_b32 v[154:155], v117 offset0:8 offset1:9
	s_waitcnt lgkmcnt(4)
	v_dot4c_i32_i8_e32 v156, v150, v18
	v_dot4c_i32_i8_e32 v156, v151, v19
	;; [unrolled: 1-line block ×4, first 2 shown]
	v_mov_b32_e32 v149, 0
	v_dot4c_i32_i8_e32 v149, v132, v10
	v_dot4c_i32_i8_e32 v149, v133, v11
	;; [unrolled: 1-line block ×4, first 2 shown]
	v_mov_b32_e32 v129, 0
	v_dot4c_i32_i8_e32 v129, v146, v6
	v_dot4c_i32_i8_e32 v129, v147, v7
	s_waitcnt lgkmcnt(2)
	v_bfe_i32 v128, v130, 8, 8
	v_dot4c_i32_i8_e32 v129, v134, v8
	v_mul_lo_u32 v128, v149, v128
	v_dot4c_i32_i8_e32 v129, v135, v9
	v_bfe_i32 v132, v130, 0, 8
	v_mov_b32_e32 v148, 0
	s_waitcnt lgkmcnt(0)
	v_dot4c_i32_i8_e32 v148, v154, v14
	v_mad_u64_u32 v[128:129], s[4:5], v129, v132, v[128:129]
	v_cvt_f32_i32_e32 v128, v128
	v_dot4c_i32_i8_e32 v148, v155, v15
	v_dot4c_i32_i8_e32 v148, v152, v16
	;; [unrolled: 1-line block ×3, first 2 shown]
	v_fma_f32 v160, v2, v128, 0
	v_ashrrev_i32_e32 v128, 24, v130
	v_bfe_i32 v129, v130, 16, 8
	v_mul_lo_u32 v128, v156, v128
	v_mad_u64_u32 v[128:129], s[4:5], v148, v129, v[128:129]
	v_add_u32_e32 v132, 0x2090, v117
	v_add_u32_e32 v146, 0x2088, v117
	;; [unrolled: 1-line block ×5, first 2 shown]
	v_cvt_f32_i32_e32 v161, v128
	ds_read2_b32 v[128:129], v127 offset1:1
	ds_read_b32 v164, v125 offset:128
	ds_read2_b32 v[134:135], v123 offset1:1
	ds_read2_b32 v[132:133], v132 offset1:1
	;; [unrolled: 1-line block ×6, first 2 shown]
	v_mov_b32_e32 v162, 0
	v_add_u32_e32 v130, 0x2098, v117
	v_add_u32_e32 v154, 0x20a8, v117
	v_add_u32_e32 v156, 0x20a0, v117
	s_waitcnt lgkmcnt(0)
	v_dot4c_i32_i8_e32 v162, v152, v18
	v_dot4c_i32_i8_e32 v162, v153, v19
	v_add_u32_e32 v158, 0x4118, v117
	v_dot4c_i32_i8_e32 v162, v150, v20
	ds_read2_b32 v[154:155], v154 offset1:1
	ds_read2_b32 v[156:157], v156 offset1:1
	;; [unrolled: 1-line block ×3, first 2 shown]
	v_dot4c_i32_i8_e32 v162, v151, v21
	ds_read2_b32 v[150:151], v130 offset1:1
	v_mov_b32_e32 v153, 0
	v_dot4c_i32_i8_e32 v153, v132, v10
	v_dot4c_i32_i8_e32 v153, v133, v11
	v_mov_b32_e32 v133, 0
	v_dot4c_i32_i8_e32 v133, v148, v6
	s_waitcnt lgkmcnt(0)
	v_dot4c_i32_i8_e32 v153, v150, v12
	v_dot4c_i32_i8_e32 v133, v149, v7
	v_mov_b32_e32 v152, 0
	v_dot4c_i32_i8_e32 v153, v151, v13
	v_bfe_i32 v132, v134, 8, 8
	v_dot4c_i32_i8_e32 v133, v146, v8
	v_dot4c_i32_i8_e32 v152, v156, v14
	v_mul_lo_u32 v132, v153, v132
	v_dot4c_i32_i8_e32 v133, v147, v9
	v_bfe_i32 v146, v134, 0, 8
	v_dot4c_i32_i8_e32 v152, v157, v15
	v_dot4c_i32_i8_e32 v152, v154, v16
	v_mad_u64_u32 v[132:133], s[4:5], v133, v146, v[132:133]
	v_cvt_f32_i32_e32 v146, v132
	v_ashrrev_i32_e32 v132, 24, v134
	v_dot4c_i32_i8_e32 v152, v155, v17
	v_bfe_i32 v133, v134, 16, 8
	v_mul_lo_u32 v132, v162, v132
	v_add_u32_e32 v148, 0x4100, v117
	v_mad_u64_u32 v[132:133], s[4:5], v152, v133, v[132:133]
	v_cvt_f32_i32_e32 v132, v132
	v_fma_f32 v133, v2, v146, 0
	v_add_u32_e32 v146, 0x4108, v117
	v_add_u32_e32 v150, 0x4138, v117
	v_fmac_f32_e32 v133, v3, v132
	v_add_u32_e32 v132, 0x4110, v117
	v_add_u32_e32 v152, 0x4130, v117
	ds_read_b32 v130, v138 offset:384
	ds_read_b32 v134, v136 offset:256
	v_fmac_f32_e32 v141, v164, v133
	ds_read2_b32 v[132:133], v132 offset1:1
	ds_read2_b32 v[146:147], v146 offset1:1
	;; [unrolled: 1-line block ×5, first 2 shown]
	v_mov_b32_e32 v162, 0
	v_fmac_f32_e32 v160, v3, v161
	v_fmac_f32_e32 v139, v145, v160
	v_add_u32_e32 v154, 0x4128, v117
	s_waitcnt lgkmcnt(0)
	v_dot4c_i32_i8_e32 v162, v152, v18
	v_dot4c_i32_i8_e32 v162, v153, v19
	;; [unrolled: 1-line block ×4, first 2 shown]
	v_mov_b32_e32 v151, 0
	v_dot4c_i32_i8_e32 v151, v132, v10
	v_dot4c_i32_i8_e32 v151, v133, v11
	v_mov_b32_e32 v133, 0
	v_dot4c_i32_i8_e32 v133, v148, v6
	v_dot4c_i32_i8_e32 v151, v158, v12
	;; [unrolled: 1-line block ×3, first 2 shown]
	v_add_u32_e32 v156, 0x4120, v117
	v_add_u32_e32 v160, 0x6198, v117
	v_dot4c_i32_i8_e32 v151, v159, v13
	v_bfe_i32 v132, v128, 8, 8
	v_dot4c_i32_i8_e32 v133, v146, v8
	ds_read2_b32 v[154:155], v154 offset1:1
	ds_read2_b32 v[156:157], v156 offset1:1
	;; [unrolled: 1-line block ×3, first 2 shown]
	v_mul_lo_u32 v132, v151, v132
	v_dot4c_i32_i8_e32 v133, v147, v9
	v_bfe_i32 v146, v128, 0, 8
	v_mov_b32_e32 v150, 0
	s_waitcnt lgkmcnt(1)
	v_dot4c_i32_i8_e32 v150, v156, v14
	v_mad_u64_u32 v[132:133], s[4:5], v133, v146, v[132:133]
	v_cvt_f32_i32_e32 v132, v132
	v_dot4c_i32_i8_e32 v150, v157, v15
	v_dot4c_i32_i8_e32 v150, v154, v16
	;; [unrolled: 1-line block ×3, first 2 shown]
	v_fma_f32 v165, v2, v132, 0
	v_bfe_i32 v132, v128, 16, 8
	v_ashrrev_i32_e32 v128, 24, v128
	v_mul_lo_u32 v128, v162, v128
	v_mad_u64_u32 v[132:133], s[4:5], v150, v132, v[128:129]
	v_add_u32_e32 v146, 0x6190, v117
	v_add_u32_e32 v148, 0x6188, v117
	;; [unrolled: 1-line block ×5, first 2 shown]
	v_cvt_f32_i32_e32 v128, v132
	ds_read2_b32 v[132:133], v137 offset1:1
	ds_read2_b32 v[146:147], v146 offset1:1
	;; [unrolled: 1-line block ×6, first 2 shown]
	v_add_u32_e32 v156, 0x61a8, v117
	v_add_u32_e32 v158, 0x61a0, v117
	;; [unrolled: 1-line block ×3, first 2 shown]
	ds_read2_b32 v[156:157], v156 offset1:1
	ds_read2_b32 v[158:159], v158 offset1:1
	;; [unrolled: 1-line block ×3, first 2 shown]
	v_mov_b32_e32 v166, 0
	s_waitcnt lgkmcnt(3)
	v_dot4c_i32_i8_e32 v166, v154, v18
	v_mov_b32_e32 v18, 0
	s_waitcnt lgkmcnt(1)
	v_dot4c_i32_i8_e32 v18, v158, v14
	v_mov_b32_e32 v14, 0
	v_dot4c_i32_i8_e32 v14, v146, v10
	v_dot4c_i32_i8_e32 v14, v147, v11
	v_mov_b32_e32 v11, 0
	v_dot4c_i32_i8_e32 v11, v150, v6
	v_dot4c_i32_i8_e32 v14, v160, v12
	;; [unrolled: 1-line block ×4, first 2 shown]
	v_bfe_i32 v10, v132, 8, 8
	v_dot4c_i32_i8_e32 v11, v148, v8
	v_dot4c_i32_i8_e32 v166, v155, v19
	v_mul_lo_u32 v10, v14, v10
	v_dot4c_i32_i8_e32 v11, v149, v9
	v_bfe_i32 v6, v132, 0, 8
	v_dot4c_i32_i8_e32 v166, v152, v20
	v_dot4c_i32_i8_e32 v18, v159, v15
	v_mad_u64_u32 v[6:7], s[4:5], v11, v6, v[10:11]
	v_dot4c_i32_i8_e32 v166, v153, v21
	v_dot4c_i32_i8_e32 v18, v156, v16
	v_cvt_f32_i32_e32 v8, v6
	v_ashrrev_i32_e32 v6, 24, v132
	v_dot4c_i32_i8_e32 v18, v157, v17
	v_bfe_i32 v7, v132, 16, 8
	v_mul_lo_u32 v6, v166, v6
	v_fma_f32 v2, v2, v8, 0
	v_mad_u64_u32 v[6:7], s[4:5], v18, v7, v[6:7]
	v_cvt_f32_i32_e32 v6, v6
	v_fmac_f32_e32 v165, v3, v128
	v_mov_b32_e32 v128, 0
	v_mov_b32_e32 v132, 0
	v_fmac_f32_e32 v2, v3, v6
	v_fmac_f32_e32 v75, v130, v2
	ds_read_b128 v[10:13], v111 offset:80
	ds_read_b128 v[6:9], v111 offset:64
	;; [unrolled: 1-line block ×4, first 2 shown]
	ds_read2_b32 v[2:3], v117 offset0:30 offset1:31
	ds_read2_b32 v[146:147], v117 offset0:28 offset1:29
	;; [unrolled: 1-line block ×6, first 2 shown]
	s_waitcnt lgkmcnt(4)
	v_dot4c_i32_i8_e32 v128, v146, v18
	v_dot4c_i32_i8_e32 v128, v147, v19
	;; [unrolled: 1-line block ×3, first 2 shown]
	v_mov_b32_e32 v2, 0
	s_waitcnt lgkmcnt(2)
	v_dot4c_i32_i8_e32 v2, v150, v10
	v_dot4c_i32_i8_e32 v2, v151, v11
	;; [unrolled: 1-line block ×5, first 2 shown]
	v_bfe_i32 v3, v131, 8, 8
	ds_read2_b32 v[156:157], v117 offset0:26 offset1:27
	ds_read2_b32 v[158:159], v117 offset0:24 offset1:25
	v_mul_lo_u32 v2, v2, v3
	v_mov_b32_e32 v3, 0
	s_waitcnt lgkmcnt(2)
	v_dot4c_i32_i8_e32 v3, v154, v6
	v_dot4c_i32_i8_e32 v3, v155, v7
	;; [unrolled: 1-line block ×4, first 2 shown]
	v_bfe_i32 v146, v131, 0, 8
	s_waitcnt lgkmcnt(0)
	v_dot4c_i32_i8_e32 v132, v158, v14
	v_dot4c_i32_i8_e32 v132, v159, v15
	v_mad_u64_u32 v[2:3], s[4:5], v3, v146, v[2:3]
	v_cvt_f32_i32_e32 v2, v2
	v_dot4c_i32_i8_e32 v132, v156, v16
	v_dot4c_i32_i8_e32 v132, v157, v17
	v_bfe_i32 v3, v131, 16, 8
	v_fma_f32 v160, v4, v2, 0
	v_ashrrev_i32_e32 v2, 24, v131
	v_mul_lo_u32 v2, v128, v2
	v_mad_u64_u32 v[2:3], s[4:5], v132, v3, v[2:3]
	v_cvt_f32_i32_e32 v128, v2
	v_add_u32_e32 v2, 0x20d0, v117
	v_add_u32_e32 v131, 0x20c8, v117
	;; [unrolled: 1-line block ×4, first 2 shown]
	ds_read2_b32 v[2:3], v2 offset1:1
	ds_read2_b32 v[146:147], v131 offset1:1
	;; [unrolled: 1-line block ×4, first 2 shown]
	v_add_u32_e32 v131, 0x20f0, v117
	ds_read2_b32 v[152:153], v131 offset1:1
	v_mov_b32_e32 v132, 0
	v_add_u32_e32 v154, 0x20e8, v117
	v_add_u32_e32 v156, 0x20e0, v117
	;; [unrolled: 1-line block ×3, first 2 shown]
	s_waitcnt lgkmcnt(0)
	v_dot4c_i32_i8_e32 v132, v152, v18
	v_dot4c_i32_i8_e32 v132, v153, v19
	;; [unrolled: 1-line block ×3, first 2 shown]
	v_mov_b32_e32 v150, 0
	v_dot4c_i32_i8_e32 v150, v2, v10
	ds_read2_b32 v[154:155], v154 offset1:1
	ds_read2_b32 v[156:157], v156 offset1:1
	;; [unrolled: 1-line block ×3, first 2 shown]
	v_dot4c_i32_i8_e32 v150, v3, v11
	v_mov_b32_e32 v3, 0
	v_dot4c_i32_i8_e32 v3, v148, v6
	v_dot4c_i32_i8_e32 v150, v162, v12
	;; [unrolled: 1-line block ×3, first 2 shown]
	v_mov_b32_e32 v131, 0
	v_dot4c_i32_i8_e32 v150, v163, v13
	v_bfe_i32 v2, v135, 8, 8
	v_dot4c_i32_i8_e32 v3, v146, v8
	s_waitcnt lgkmcnt(1)
	v_dot4c_i32_i8_e32 v131, v156, v14
	v_mul_lo_u32 v2, v150, v2
	v_dot4c_i32_i8_e32 v3, v147, v9
	v_bfe_i32 v146, v135, 0, 8
	v_dot4c_i32_i8_e32 v131, v157, v15
	v_dot4c_i32_i8_e32 v132, v151, v21
	v_mad_u64_u32 v[2:3], s[4:5], v3, v146, v[2:3]
	v_dot4c_i32_i8_e32 v131, v154, v16
	v_cvt_f32_i32_e32 v146, v2
	v_ashrrev_i32_e32 v2, 24, v135
	v_dot4c_i32_i8_e32 v131, v155, v17
	v_bfe_i32 v3, v135, 16, 8
	v_mul_lo_u32 v2, v132, v2
	v_fmac_f32_e32 v160, v5, v128
	v_mad_u64_u32 v[2:3], s[4:5], v131, v3, v[2:3]
	v_cvt_f32_i32_e32 v2, v2
	v_fma_f32 v3, v4, v146, 0
	v_add_u32_e32 v128, 0x4148, v117
	v_add_u32_e32 v132, 0x4178, v117
	v_fmac_f32_e32 v3, v5, v2
	v_add_u32_e32 v2, 0x4150, v117
	v_fmac_f32_e32 v141, v164, v3
	v_add_u32_e32 v131, 0x4140, v117
	ds_read2_b32 v[2:3], v2 offset1:1
	ds_read2_b32 v[146:147], v128 offset1:1
	;; [unrolled: 1-line block ×4, first 2 shown]
	v_add_u32_e32 v128, 0x4170, v117
	v_add_u32_e32 v132, 0x4168, v117
	v_fmac_f32_e32 v139, v145, v160
	v_add_u32_e32 v135, 0x4160, v117
	ds_read2_b32 v[152:153], v128 offset1:1
	v_add_u32_e32 v128, 0x61d8, v117
	ds_read2_b32 v[154:155], v132 offset1:1
	ds_read2_b32 v[156:157], v135 offset1:1
	;; [unrolled: 1-line block ×3, first 2 shown]
	v_mov_b32_e32 v132, 0
	s_waitcnt lgkmcnt(7)
	v_dot4c_i32_i8_e32 v132, v2, v10
	v_dot4c_i32_i8_e32 v132, v3, v11
	v_mov_b32_e32 v3, 0
	s_waitcnt lgkmcnt(5)
	v_dot4c_i32_i8_e32 v3, v148, v6
	v_dot4c_i32_i8_e32 v132, v158, v12
	;; [unrolled: 1-line block ×4, first 2 shown]
	v_bfe_i32 v2, v129, 8, 8
	v_dot4c_i32_i8_e32 v3, v146, v8
	v_dot4c_i32_i8_e32 v3, v147, v9
	v_mul_lo_u32 v2, v132, v2
	v_bfe_i32 v132, v129, 0, 8
	v_mov_b32_e32 v131, 0
	v_mad_u64_u32 v[2:3], s[4:5], v3, v132, v[2:3]
	v_cvt_f32_i32_e32 v2, v2
	s_waitcnt lgkmcnt(3)
	v_dot4c_i32_i8_e32 v131, v152, v18
	v_mov_b32_e32 v128, 0
	v_dot4c_i32_i8_e32 v131, v153, v19
	s_waitcnt lgkmcnt(1)
	v_dot4c_i32_i8_e32 v128, v156, v14
	v_dot4c_i32_i8_e32 v131, v150, v20
	;; [unrolled: 1-line block ×5, first 2 shown]
	v_fma_f32 v132, v4, v2, 0
	v_ashrrev_i32_e32 v2, 24, v129
	v_dot4c_i32_i8_e32 v128, v155, v17
	v_bfe_i32 v3, v129, 16, 8
	v_mul_lo_u32 v2, v131, v2
	v_add_u32_e32 v135, 0x61c0, v117
	v_mad_u64_u32 v[2:3], s[4:5], v128, v3, v[2:3]
	v_cvt_f32_i32_e32 v131, v2
	v_add_u32_e32 v2, 0x61d0, v117
	v_add_u32_e32 v128, 0x61c8, v117
	;; [unrolled: 1-line block ×3, first 2 shown]
	ds_read2_b32 v[2:3], v2 offset1:1
	ds_read2_b32 v[128:129], v128 offset1:1
	;; [unrolled: 1-line block ×4, first 2 shown]
	v_add_u32_e32 v135, 0x61f0, v117
	ds_read2_b32 v[150:151], v135 offset1:1
	v_add_u32_e32 v135, 0x61e8, v117
	v_add_u32_e32 v154, 0x61e0, v117
	ds_read2_b32 v[152:153], v135 offset1:1
	ds_read2_b32 v[154:155], v154 offset1:1
	v_mov_b32_e32 v145, 0
	s_waitcnt lgkmcnt(2)
	v_dot4c_i32_i8_e32 v145, v150, v18
	v_mov_b32_e32 v18, 0
	v_dot4c_i32_i8_e32 v145, v151, v19
	s_waitcnt lgkmcnt(0)
	v_dot4c_i32_i8_e32 v18, v154, v14
	v_mov_b32_e32 v14, 0
	v_dot4c_i32_i8_e32 v14, v2, v10
	v_dot4c_i32_i8_e32 v14, v3, v11
	v_mov_b32_e32 v3, 0
	v_dot4c_i32_i8_e32 v3, v146, v6
	v_dot4c_i32_i8_e32 v14, v160, v12
	;; [unrolled: 1-line block ×4, first 2 shown]
	v_bfe_i32 v2, v133, 8, 8
	v_dot4c_i32_i8_e32 v3, v128, v8
	v_dot4c_i32_i8_e32 v3, v129, v9
	v_mul_lo_u32 v2, v14, v2
	v_bfe_i32 v6, v133, 0, 8
	v_dot4c_i32_i8_e32 v145, v148, v20
	v_dot4c_i32_i8_e32 v18, v155, v15
	v_mad_u64_u32 v[2:3], s[4:5], v3, v6, v[2:3]
	v_dot4c_i32_i8_e32 v145, v149, v21
	v_dot4c_i32_i8_e32 v18, v152, v16
	v_cvt_f32_i32_e32 v6, v2
	v_ashrrev_i32_e32 v2, 24, v133
	v_dot4c_i32_i8_e32 v18, v153, v17
	v_bfe_i32 v3, v133, 16, 8
	v_mul_lo_u32 v2, v145, v2
	v_fmac_f32_e32 v140, v134, v165
	v_mad_u64_u32 v[2:3], s[4:5], v18, v3, v[2:3]
	v_cvt_f32_i32_e32 v2, v2
	v_fma_f32 v3, v4, v6, 0
	v_fmac_f32_e32 v132, v5, v131
	v_fmac_f32_e32 v140, v134, v132
	;; [unrolled: 1-line block ×4, first 2 shown]
	s_cmp_ge_i32 s10, s9
	s_barrier
	s_cbranch_scc1 .LBB196_5
; %bb.13:                               ;   in Loop: Header=BB196_6 Depth=1
	v_cmp_gt_i32_e32 vcc, s12, v121
	s_and_b64 s[26:27], s[2:3], vcc
	s_and_saveexec_b64 s[4:5], s[26:27]
	s_cbranch_execz .LBB196_15
; %bb.14:                               ;   in Loop: Header=BB196_6 Depth=1
	v_add_u32_e32 v2, v56, v121
	v_mad_i64_i32 v[2:3], s[26:27], v2, 36, v[54:55]
	global_load_dword v2, v[2:3], off offset:4
	s_waitcnt vmcnt(0)
	ds_write_b32 v105, v2
.LBB196_15:                             ;   in Loop: Header=BB196_6 Depth=1
	s_or_b64 exec, exec, s[4:5]
	s_and_saveexec_b64 s[4:5], s[0:1]
	s_cbranch_execz .LBB196_4
; %bb.16:                               ;   in Loop: Header=BB196_6 Depth=1
	v_add_u32_e32 v2, 4, v99
	v_cmp_gt_i32_e32 vcc, s12, v2
	s_and_b64 s[26:27], s[2:3], vcc
	s_and_b64 exec, exec, s[26:27]
	s_cbranch_execz .LBB196_4
; %bb.17:                               ;   in Loop: Header=BB196_6 Depth=1
	v_ashrrev_i32_e32 v2, 31, v99
	v_add_co_u32_e32 v3, vcc, v56, v99
	v_addc_co_u32_e32 v4, vcc, v1, v2, vcc
	v_mad_u64_u32 v[2:3], s[26:27], v3, 36, s[18:19]
	v_mad_i32_i24 v3, v4, 36, v3
	global_load_dword v2, v[2:3], off
	s_waitcnt vmcnt(0)
	v_cvt_f32_f16_e32 v2, v2
	ds_write_b32 v107, v2
	s_branch .LBB196_4
.LBB196_18:
	v_mov_b32_e32 v140, 0
	v_mov_b32_e32 v141, 0
	;; [unrolled: 1-line block ×3, first 2 shown]
.LBB196_19:
	s_mul_i32 s0, s14, s11
	s_waitcnt vmcnt(0)
	v_cmp_gt_i32_e32 vcc, s0, v97
	s_and_saveexec_b64 s[0:1], vcc
	s_cbranch_execz .LBB196_28
; %bb.20:
	v_and_b32_e32 v0, 0x3ff, v0
	v_add_u32_e32 v1, s15, v0
	v_mul_lo_u32 v0, v97, s13
	v_cmp_gt_u32_e32 vcc, s13, v1
	s_and_saveexec_b64 s[0:1], vcc
	s_cbranch_execz .LBB196_22
; %bb.21:
	v_add_u32_e32 v2, v0, v1
	v_mov_b32_e32 v3, 0
	v_lshlrev_b64 v[2:3], 2, v[2:3]
	v_mov_b32_e32 v4, s17
	v_add_co_u32_e32 v2, vcc, s16, v2
	v_addc_co_u32_e32 v3, vcc, v4, v3, vcc
	global_store_dword v[2:3], v139, off
.LBB196_22:
	s_or_b64 exec, exec, s[0:1]
	v_add_u32_e32 v2, 32, v1
	v_cmp_gt_u32_e32 vcc, s13, v2
	s_and_saveexec_b64 s[0:1], vcc
	s_cbranch_execz .LBB196_24
; %bb.23:
	v_add_u32_e32 v2, v0, v2
	v_mov_b32_e32 v3, 0
	v_lshlrev_b64 v[2:3], 2, v[2:3]
	v_mov_b32_e32 v4, s17
	v_add_co_u32_e32 v2, vcc, s16, v2
	v_addc_co_u32_e32 v3, vcc, v4, v3, vcc
	global_store_dword v[2:3], v141, off
.LBB196_24:
	s_or_b64 exec, exec, s[0:1]
	v_add_u32_e32 v2, 64, v1
	;; [unrolled: 14-line block ×3, first 2 shown]
	v_cmp_gt_u32_e32 vcc, s13, v1
	s_and_b64 exec, exec, vcc
	s_cbranch_execz .LBB196_28
; %bb.27:
	v_add_u32_e32 v0, v0, v1
	v_mov_b32_e32 v1, 0
	v_lshlrev_b64 v[0:1], 2, v[0:1]
	v_mov_b32_e32 v2, s17
	v_add_co_u32_e32 v0, vcc, s16, v0
	v_addc_co_u32_e32 v1, vcc, v2, v1, vcc
	global_store_dword v[0:1], v75, off
.LBB196_28:
	s_endpgm
	.section	.rodata,"a",@progbits
	.p2align	6, 0x0
	.amdhsa_kernel _ZL8moe_q6_KIfLb1EEvPKvS1_PT_PKiS5_S5_iiiiiii
		.amdhsa_group_segment_fixed_size 37072
		.amdhsa_private_segment_fixed_size 0
		.amdhsa_kernarg_size 76
		.amdhsa_user_sgpr_count 6
		.amdhsa_user_sgpr_private_segment_buffer 1
		.amdhsa_user_sgpr_dispatch_ptr 0
		.amdhsa_user_sgpr_queue_ptr 0
		.amdhsa_user_sgpr_kernarg_segment_ptr 1
		.amdhsa_user_sgpr_dispatch_id 0
		.amdhsa_user_sgpr_flat_scratch_init 0
		.amdhsa_user_sgpr_kernarg_preload_length 0
		.amdhsa_user_sgpr_kernarg_preload_offset 0
		.amdhsa_user_sgpr_private_segment_size 0
		.amdhsa_uses_dynamic_stack 0
		.amdhsa_system_sgpr_private_segment_wavefront_offset 0
		.amdhsa_system_sgpr_workgroup_id_x 1
		.amdhsa_system_sgpr_workgroup_id_y 1
		.amdhsa_system_sgpr_workgroup_id_z 0
		.amdhsa_system_sgpr_workgroup_info 0
		.amdhsa_system_vgpr_workitem_id 1
		.amdhsa_next_free_vgpr 167
		.amdhsa_next_free_sgpr 29
		.amdhsa_accum_offset 168
		.amdhsa_reserve_vcc 1
		.amdhsa_reserve_flat_scratch 0
		.amdhsa_float_round_mode_32 0
		.amdhsa_float_round_mode_16_64 0
		.amdhsa_float_denorm_mode_32 3
		.amdhsa_float_denorm_mode_16_64 3
		.amdhsa_dx10_clamp 1
		.amdhsa_ieee_mode 1
		.amdhsa_fp16_overflow 0
		.amdhsa_tg_split 0
		.amdhsa_exception_fp_ieee_invalid_op 0
		.amdhsa_exception_fp_denorm_src 0
		.amdhsa_exception_fp_ieee_div_zero 0
		.amdhsa_exception_fp_ieee_overflow 0
		.amdhsa_exception_fp_ieee_underflow 0
		.amdhsa_exception_fp_ieee_inexact 0
		.amdhsa_exception_int_div_zero 0
	.end_amdhsa_kernel
	.section	.text._ZL8moe_q6_KIfLb1EEvPKvS1_PT_PKiS5_S5_iiiiiii,"axG",@progbits,_ZL8moe_q6_KIfLb1EEvPKvS1_PT_PKiS5_S5_iiiiiii,comdat
.Lfunc_end196:
	.size	_ZL8moe_q6_KIfLb1EEvPKvS1_PT_PKiS5_S5_iiiiiii, .Lfunc_end196-_ZL8moe_q6_KIfLb1EEvPKvS1_PT_PKiS5_S5_iiiiiii
                                        ; -- End function
	.section	.AMDGPU.csdata,"",@progbits
; Kernel info:
; codeLenInByte = 12404
; NumSgprs: 33
; NumVgprs: 167
; NumAgprs: 0
; TotalNumVgprs: 167
; ScratchSize: 0
; MemoryBound: 0
; FloatMode: 240
; IeeeMode: 1
; LDSByteSize: 37072 bytes/workgroup (compile time only)
; SGPRBlocks: 4
; VGPRBlocks: 20
; NumSGPRsForWavesPerEU: 33
; NumVGPRsForWavesPerEU: 167
; AccumOffset: 168
; Occupancy: 1
; WaveLimiterHint : 1
; COMPUTE_PGM_RSRC2:SCRATCH_EN: 0
; COMPUTE_PGM_RSRC2:USER_SGPR: 6
; COMPUTE_PGM_RSRC2:TRAP_HANDLER: 0
; COMPUTE_PGM_RSRC2:TGID_X_EN: 1
; COMPUTE_PGM_RSRC2:TGID_Y_EN: 1
; COMPUTE_PGM_RSRC2:TGID_Z_EN: 0
; COMPUTE_PGM_RSRC2:TIDIG_COMP_CNT: 1
; COMPUTE_PGM_RSRC3_GFX90A:ACCUM_OFFSET: 41
; COMPUTE_PGM_RSRC3_GFX90A:TG_SPLIT: 0
	.section	.text._ZL8moe_q4_0IN3c104HalfELb0EEvPKvS3_PT_PKiS7_S7_iiiiiii,"axG",@progbits,_ZL8moe_q4_0IN3c104HalfELb0EEvPKvS3_PT_PKiS7_S7_iiiiiii,comdat
	.globl	_ZL8moe_q4_0IN3c104HalfELb0EEvPKvS3_PT_PKiS7_S7_iiiiiii ; -- Begin function _ZL8moe_q4_0IN3c104HalfELb0EEvPKvS3_PT_PKiS7_S7_iiiiiii
	.p2align	8
	.type	_ZL8moe_q4_0IN3c104HalfELb0EEvPKvS3_PT_PKiS7_S7_iiiiiii,@function
_ZL8moe_q4_0IN3c104HalfELb0EEvPKvS3_PT_PKiS7_S7_iiiiiii: ; @_ZL8moe_q4_0IN3c104HalfELb0EEvPKvS3_PT_PKiS7_S7_iiiiiii
; %bb.0:
	s_load_dwordx4 s[0:3], s[4:5], 0x18
	s_mov_b32 s8, s7
	s_mov_b32 s9, 0
	s_lshl_b64 s[10:11], s[8:9], 2
	s_waitcnt lgkmcnt(0)
	s_add_u32 s2, s2, s10
	s_addc_u32 s3, s3, s11
	s_load_dword s2, s[2:3], 0x0
	s_waitcnt lgkmcnt(0)
	s_cmpk_gt_u32 s2, 0xff
	s_cbranch_scc1 .LBB197_19
; %bb.1:
	s_load_dwordx2 s[10:11], s[4:5], 0x28
	s_lshl_b32 s3, s8, 3
	s_waitcnt lgkmcnt(0)
	s_load_dword s7, s[10:11], 0x0
	s_waitcnt lgkmcnt(0)
	s_cmp_gt_u32 s3, s7
	s_cbranch_scc1 .LBB197_19
; %bb.2:
	v_bfe_u32 v1, v0, 10, 10
	v_add_u32_e32 v2, s3, v1
	v_mov_b32_e32 v3, 0
	v_lshlrev_b64 v[4:5], 2, v[2:3]
	v_mov_b32_e32 v2, s1
	v_add_co_u32_e32 v4, vcc, s0, v4
	v_addc_co_u32_e32 v5, vcc, v2, v5, vcc
	global_load_dword v65, v[4:5], off
	s_load_dwordx2 s[14:15], s[4:5], 0x30
	s_load_dwordx2 s[12:13], s[4:5], 0x10
	s_load_dwordx4 s[8:11], s[4:5], 0x3c
	s_lshl_b32 s18, s6, 7
	s_waitcnt lgkmcnt(0)
	s_cmp_lt_i32 s15, 32
	s_cbranch_scc1 .LBB197_18
; %bb.3:
	v_and_b32_e32 v80, 0x3ff, v0
	s_ashr_i32 s0, s15, 31
	v_lshlrev_b32_e32 v3, 2, v1
	v_lshrrev_b32_e32 v97, 3, v80
	s_load_dwordx4 s[4:7], s[4:5], 0x0
	s_lshr_b32 s0, s0, 27
	s_ashr_i32 s1, s9, 31
	v_and_b32_e32 v63, 7, v80
	v_add_u32_e32 v22, v97, v3
	s_add_i32 s0, s15, s0
	s_lshr_b32 s1, s1, 27
	s_mul_i32 s14, s2, s14
	v_and_b32_e32 v23, 0x1ffc, v22
	v_lshlrev_b32_e32 v24, 2, v63
	s_movk_i32 s2, 0x4200
	s_ashr_i32 s19, s0, 5
	s_add_i32 s1, s9, s1
	v_add3_u32 v68, v23, v24, s2
	v_add_u32_e32 v23, 32, v22
	s_ashr_i32 s9, s1, 5
	v_lshlrev_b32_e32 v2, 2, v80
	s_movk_i32 s1, 0x84
	v_mul_lo_u32 v57, s19, v22
	v_lshlrev_b32_e32 v69, 5, v22
	v_and_b32_e32 v25, 0x3ffc, v23
	v_lshlrev_b32_e32 v71, 5, v23
	v_add_u32_e32 v23, 64, v22
	v_add_u32_e32 v22, 0x60, v22
	v_and_b32_e32 v6, 12, v2
	v_mad_u32_u24 v81, v1, s1, v2
	v_add3_u32 v70, v25, v24, s2
	v_and_b32_e32 v25, 0x3ffc, v23
	v_lshlrev_b32_e32 v73, 5, v23
	v_and_b32_e32 v23, 0x3ffc, v22
	v_and_b32_e32 v2, 28, v2
	v_add3_u32 v72, v25, v24, s2
	v_add3_u32 v74, v23, v24, s2
	v_lshlrev_b32_e32 v75, 5, v22
	v_and_b32_e32 v24, 31, v80
	s_waitcnt lgkmcnt(0)
	v_add_co_u32_e32 v22, vcc, s6, v2
	v_lshlrev_b32_e32 v2, 7, v1
	v_lshl_or_b32 v24, v24, 2, v2
	v_add_u32_e32 v98, 0x5280, v24
	v_mov_b32_e32 v24, 0x5680
	v_mul_lo_u32 v5, s19, v1
	v_add_u32_e32 v100, 0x5280, v2
	v_lshl_add_u32 v101, v1, 4, v24
	v_and_b32_e32 v1, 0xfc, v80
	v_lshlrev_b32_e32 v2, 5, v80
	v_or_b32_e32 v3, v3, v80
	v_add3_u32 v103, v2, v1, s2
	v_add_u32_e32 v1, 32, v80
	v_lshl_add_u32 v99, v3, 2, v24
	v_and_b32_e32 v2, 0x1fc, v1
	v_lshlrev_b32_e32 v3, 5, v1
	v_add3_u32 v104, v3, v2, s2
	v_add_u32_e32 v2, 64, v80
	v_and_b32_e32 v3, 0x1fc, v2
	v_lshlrev_b32_e32 v2, 5, v2
	s_abs_i32 s3, s11
	v_add3_u32 v105, v2, v3, s2
	v_cvt_f32_u32_e32 v3, s3
	v_add_u32_e32 v2, 0x60, v80
	v_and_b32_e32 v24, 0x1fc, v2
	v_lshlrev_b32_e32 v2, 5, v2
	v_add3_u32 v106, v2, v24, s2
	v_rcp_iflag_f32_e32 v2, v3
	s_sub_i32 s2, 0, s3
	s_waitcnt vmcnt(0)
	v_sub_u32_e32 v3, 0, v65
	v_max_i32_e32 v3, v65, v3
	v_mul_f32_e32 v2, 0x4f7ffffe, v2
	v_cvt_u32_f32_e32 v2, v2
	v_mov_b32_e32 v23, s7
	v_addc_co_u32_e32 v23, vcc, 0, v23, vcc
	v_mul_lo_u32 v24, s2, v2
	v_mul_hi_u32 v24, v2, v24
	v_add_u32_e32 v2, v2, v24
	v_mul_hi_u32 v2, v3, v2
	v_mul_lo_u32 v24, v2, s3
	v_sub_u32_e32 v3, v3, v24
	v_add_u32_e32 v24, 1, v2
	v_cmp_le_u32_e32 vcc, s3, v3
	v_cndmask_b32_e32 v2, v2, v24, vcc
	v_subrev_u32_e32 v24, s3, v3
	v_cndmask_b32_e32 v3, v3, v24, vcc
	v_lshrrev_b32_e32 v107, 3, v1
	v_xor_b32_e32 v1, s11, v65
	v_add_u32_e32 v24, 1, v2
	v_cmp_le_u32_e32 vcc, s3, v3
	v_ashrrev_i32_e32 v1, 31, v1
	v_cndmask_b32_e32 v2, v2, v24, vcc
	v_xor_b32_e32 v2, v2, v1
	v_sub_u32_e32 v1, v2, v1
	v_cmp_gt_i32_e64 s[2:3], s8, v1
	v_mul_lo_u32 v1, v1, s9
	v_ashrrev_i32_e32 v2, 31, v1
	v_add_co_u32_e32 v3, vcc, v1, v80
	s_mul_i32 s17, s19, s18
	v_addc_co_u32_e32 v24, vcc, 0, v2, vcc
	v_mad_u64_u32 v[2:3], s[22:23], v3, 36, s[6:7]
	s_movk_i32 s20, 0x90
	v_mad_i32_i24 v3, v24, 36, v3
	v_add_co_u32_e32 v24, vcc, s20, v2
	s_mul_hi_i32 s20, s17, 18
	s_mul_i32 s22, s17, 18
	v_lshrrev_b32_e32 v4, 2, v80
	v_addc_co_u32_e32 v25, vcc, 0, v3, vcc
	v_mov_b32_e32 v2, s22
	v_mov_b32_e32 v3, s20
	s_lshl_b32 s1, s19, 3
	v_mad_u64_u32 v[2:3], s[22:23], v4, 18, v[2:3]
	v_add_u32_e32 v7, s1, v5
	v_mad_u64_u32 v[4:5], s[22:23], v5, 18, v[2:3]
	v_add_u32_e32 v108, v80, v1
	v_add_u32_e32 v109, v107, v1
	;; [unrolled: 1-line block ×3, first 2 shown]
	v_add_co_u32_e32 v1, vcc, v4, v6
	v_addc_co_u32_e32 v4, vcc, 0, v5, vcc
	v_mov_b32_e32 v55, s5
	v_add_co_u32_e32 v1, vcc, s4, v1
	v_addc_co_u32_e32 v4, vcc, v4, v55, vcc
	v_add_co_u32_e32 v26, vcc, 2, v1
	v_addc_co_u32_e32 v1, vcc, 0, v4, vcc
	v_mad_u64_u32 v[4:5], s[22:23], v7, 18, v[2:3]
	v_add_co_u32_e32 v4, vcc, v4, v6
	v_addc_co_u32_e32 v5, vcc, 0, v5, vcc
	v_add_co_u32_e32 v4, vcc, s4, v4
	v_addc_co_u32_e32 v5, vcc, v5, v55, vcc
	v_add_u32_e32 v8, s1, v7
	v_add_co_u32_e32 v28, vcc, 2, v4
	v_addc_co_u32_e32 v27, vcc, 0, v5, vcc
	v_mad_u64_u32 v[4:5], s[22:23], v8, 18, v[2:3]
	v_add_co_u32_e32 v4, vcc, v4, v6
	v_addc_co_u32_e32 v5, vcc, 0, v5, vcc
	v_add_co_u32_e32 v4, vcc, s4, v4
	v_addc_co_u32_e32 v5, vcc, v5, v55, vcc
	v_add_u32_e32 v9, s1, v8
	v_add_co_u32_e32 v30, vcc, 2, v4
	v_addc_co_u32_e32 v29, vcc, 0, v5, vcc
	v_mad_u64_u32 v[4:5], s[22:23], v9, 18, v[2:3]
	v_add_co_u32_e32 v4, vcc, v4, v6
	v_addc_co_u32_e32 v5, vcc, 0, v5, vcc
	v_add_co_u32_e32 v4, vcc, s4, v4
	v_addc_co_u32_e32 v5, vcc, v5, v55, vcc
	v_add_u32_e32 v10, s1, v9
	v_add_co_u32_e32 v32, vcc, 2, v4
	v_addc_co_u32_e32 v31, vcc, 0, v5, vcc
	v_mad_u64_u32 v[4:5], s[22:23], v10, 18, v[2:3]
	v_add_co_u32_e32 v4, vcc, v4, v6
	v_addc_co_u32_e32 v5, vcc, 0, v5, vcc
	v_add_co_u32_e32 v4, vcc, s4, v4
	v_addc_co_u32_e32 v5, vcc, v5, v55, vcc
	v_add_u32_e32 v11, s1, v10
	v_add_co_u32_e32 v34, vcc, 2, v4
	v_addc_co_u32_e32 v33, vcc, 0, v5, vcc
	v_mad_u64_u32 v[4:5], s[22:23], v11, 18, v[2:3]
	v_add_co_u32_e32 v4, vcc, v4, v6
	v_addc_co_u32_e32 v5, vcc, 0, v5, vcc
	v_add_co_u32_e32 v4, vcc, s4, v4
	v_addc_co_u32_e32 v5, vcc, v5, v55, vcc
	v_add_u32_e32 v12, s1, v11
	v_add_co_u32_e32 v36, vcc, 2, v4
	v_addc_co_u32_e32 v35, vcc, 0, v5, vcc
	v_mad_u64_u32 v[4:5], s[22:23], v12, 18, v[2:3]
	v_add_co_u32_e32 v4, vcc, v4, v6
	v_addc_co_u32_e32 v5, vcc, 0, v5, vcc
	v_add_co_u32_e32 v4, vcc, s4, v4
	v_addc_co_u32_e32 v5, vcc, v5, v55, vcc
	v_add_u32_e32 v13, s1, v12
	v_add_co_u32_e32 v38, vcc, 2, v4
	v_addc_co_u32_e32 v37, vcc, 0, v5, vcc
	v_mad_u64_u32 v[4:5], s[22:23], v13, 18, v[2:3]
	v_add_co_u32_e32 v4, vcc, v4, v6
	v_addc_co_u32_e32 v5, vcc, 0, v5, vcc
	v_add_co_u32_e32 v4, vcc, s4, v4
	v_addc_co_u32_e32 v5, vcc, v5, v55, vcc
	v_add_u32_e32 v14, s1, v13
	v_add_co_u32_e32 v40, vcc, 2, v4
	v_addc_co_u32_e32 v39, vcc, 0, v5, vcc
	v_mad_u64_u32 v[4:5], s[22:23], v14, 18, v[2:3]
	v_add_co_u32_e32 v4, vcc, v4, v6
	v_addc_co_u32_e32 v5, vcc, 0, v5, vcc
	v_add_co_u32_e32 v4, vcc, s4, v4
	v_addc_co_u32_e32 v5, vcc, v5, v55, vcc
	v_add_u32_e32 v15, s1, v14
	v_add_co_u32_e32 v42, vcc, 2, v4
	v_addc_co_u32_e32 v41, vcc, 0, v5, vcc
	v_mad_u64_u32 v[4:5], s[22:23], v15, 18, v[2:3]
	v_add_co_u32_e32 v4, vcc, v4, v6
	v_addc_co_u32_e32 v5, vcc, 0, v5, vcc
	v_add_co_u32_e32 v4, vcc, s4, v4
	v_addc_co_u32_e32 v5, vcc, v5, v55, vcc
	v_add_u32_e32 v16, s1, v15
	v_add_co_u32_e32 v44, vcc, 2, v4
	v_addc_co_u32_e32 v43, vcc, 0, v5, vcc
	v_mad_u64_u32 v[4:5], s[22:23], v16, 18, v[2:3]
	v_add_co_u32_e32 v4, vcc, v4, v6
	v_addc_co_u32_e32 v5, vcc, 0, v5, vcc
	v_add_co_u32_e32 v4, vcc, s4, v4
	v_addc_co_u32_e32 v5, vcc, v5, v55, vcc
	v_add_u32_e32 v17, s1, v16
	v_add_co_u32_e32 v46, vcc, 2, v4
	v_addc_co_u32_e32 v45, vcc, 0, v5, vcc
	v_mad_u64_u32 v[4:5], s[22:23], v17, 18, v[2:3]
	v_add_co_u32_e32 v4, vcc, v4, v6
	v_addc_co_u32_e32 v5, vcc, 0, v5, vcc
	v_add_co_u32_e32 v4, vcc, s4, v4
	v_addc_co_u32_e32 v5, vcc, v5, v55, vcc
	v_add_u32_e32 v18, s1, v17
	v_add_co_u32_e32 v48, vcc, 2, v4
	v_addc_co_u32_e32 v47, vcc, 0, v5, vcc
	v_mad_u64_u32 v[4:5], s[22:23], v18, 18, v[2:3]
	v_add_co_u32_e32 v4, vcc, v4, v6
	v_addc_co_u32_e32 v5, vcc, 0, v5, vcc
	v_add_co_u32_e32 v4, vcc, s4, v4
	v_addc_co_u32_e32 v5, vcc, v5, v55, vcc
	v_add_u32_e32 v19, s1, v18
	v_add_co_u32_e32 v50, vcc, 2, v4
	v_addc_co_u32_e32 v49, vcc, 0, v5, vcc
	v_mad_u64_u32 v[4:5], s[22:23], v19, 18, v[2:3]
	v_add_co_u32_e32 v4, vcc, v4, v6
	v_addc_co_u32_e32 v5, vcc, 0, v5, vcc
	v_add_co_u32_e32 v4, vcc, s4, v4
	v_addc_co_u32_e32 v5, vcc, v5, v55, vcc
	v_add_u32_e32 v20, s1, v19
	v_add_co_u32_e32 v52, vcc, 2, v4
	v_addc_co_u32_e32 v51, vcc, 0, v5, vcc
	v_mad_u64_u32 v[4:5], s[22:23], v20, 18, v[2:3]
	v_add_co_u32_e32 v4, vcc, v4, v6
	v_addc_co_u32_e32 v5, vcc, 0, v5, vcc
	v_add_co_u32_e32 v4, vcc, s4, v4
	v_addc_co_u32_e32 v5, vcc, v5, v55, vcc
	v_add_u32_e32 v21, s1, v20
	v_add_co_u32_e32 v54, vcc, 2, v4
	v_addc_co_u32_e32 v53, vcc, 0, v5, vcc
	v_mad_u64_u32 v[2:3], s[22:23], v21, 18, v[2:3]
	v_add_co_u32_e32 v2, vcc, v2, v6
	v_addc_co_u32_e32 v3, vcc, 0, v3, vcc
	v_add_co_u32_e32 v2, vcc, s4, v2
	v_addc_co_u32_e32 v3, vcc, v3, v55, vcc
	;; [unrolled: 2-line block ×3, first 2 shown]
	v_mad_u64_u32 v[2:3], s[22:23], v57, 18, 0
	v_mad_i64_i32 v[2:3], s[22:23], s17, 18, v[2:3]
	s_andn2_b32 s0, s0, 31
	v_mad_u64_u32 v[2:3], s[22:23], v63, 18, v[2:3]
	v_add_u32_e32 v59, s0, v57
	v_mov_b32_e32 v4, s5
	v_add_co_u32_e32 v58, vcc, s4, v2
	v_addc_co_u32_e32 v57, vcc, v4, v3, vcc
	v_mad_u64_u32 v[2:3], s[22:23], v59, 18, 0
	v_mad_i64_i32 v[2:3], s[22:23], s17, 18, v[2:3]
	v_mad_u64_u32 v[2:3], s[22:23], v63, 18, v[2:3]
	v_add_u32_e32 v61, s0, v59
	v_add_co_u32_e32 v60, vcc, s4, v2
	v_addc_co_u32_e32 v59, vcc, v4, v3, vcc
	v_mad_u64_u32 v[2:3], s[22:23], v61, 18, 0
	v_mad_i64_i32 v[2:3], s[22:23], s17, 18, v[2:3]
	v_mad_u64_u32 v[2:3], s[22:23], v63, 18, v[2:3]
	v_add_u32_e32 v64, s0, v61
	v_add_co_u32_e32 v62, vcc, s4, v2
	v_addc_co_u32_e32 v61, vcc, v4, v3, vcc
	v_mad_u64_u32 v[2:3], s[22:23], v64, 18, 0
	v_mad_i64_i32 v[2:3], s[22:23], s17, 18, v[2:3]
	s_mov_b32 s16, 0
	v_mad_u64_u32 v[2:3], s[22:23], v63, 18, v[2:3]
	s_ashr_i32 s21, s14, 31
	v_mul_u32_u24_e32 v102, 0x84, v80
	v_add_co_u32_e32 v64, vcc, s4, v2
	s_mov_b32 s17, s16
	v_add_u32_e32 v82, 0x420, v81
	v_add_u32_e32 v83, 0x840, v81
	;; [unrolled: 1-line block ×15, first 2 shown]
	v_cmp_gt_u32_e64 s[0:1], 4, v80
	v_addc_co_u32_e32 v63, vcc, v4, v3, vcc
	s_movk_i32 s20, 0x80
	v_pk_mov_b32 v[66:67], s[16:17], s[16:17] op_sel:[0,1]
	v_add_u32_e32 v111, v68, v69
	v_add_u32_e32 v112, v70, v71
	;; [unrolled: 1-line block ×4, first 2 shown]
	v_mov_b32_e32 v115, s21
	v_add_u32_e32 v116, 0x1080, v102
	v_pk_mov_b32 v[68:69], s[16:17], s[16:17] op_sel:[0,1]
	s_branch .LBB197_6
.LBB197_4:                              ;   in Loop: Header=BB197_6 Depth=1
	s_or_b64 exec, exec, s[4:5]
	s_waitcnt lgkmcnt(0)
	s_barrier
	ds_read_b128 v[2:5], v101
	ds_read_b128 v[14:17], v100
	ds_read_b128 v[18:21], v100 offset:16
	ds_read2_b32 v[72:73], v102 offset0:16 offset1:17
	ds_read_b128 v[6:9], v100 offset:32
	ds_read_b128 v[10:13], v100 offset:48
	v_mov_b32_e32 v139, 0
	v_add_u32_e32 v120, 0x2140, v102
	v_add_u32_e32 v122, 0x2148, v102
	s_waitcnt lgkmcnt(2)
	v_lshrrev_b32_e32 v71, 4, v72
	v_and_b32_e32 v74, 0xf0f0f0f, v72
	v_and_b32_e32 v72, 0xf0f0f0f, v71
	v_mov_b32_e32 v71, 0
	v_dot4c_i32_i8_e32 v71, v74, v14
	v_dot4c_i32_i8_e32 v71, v72, v18
	v_and_b32_e32 v72, 0xf0f0f0f, v73
	v_lshrrev_b32_e32 v73, 4, v73
	v_and_b32_e32 v74, 0xf0f0f0f, v73
	v_dot4c_i32_i8_e32 v71, v72, v15
	ds_read2_b32 v[72:73], v102 offset0:18 offset1:19
	v_dot4c_i32_i8_e32 v71, v74, v19
	ds_read2_b32 v[74:75], v102 offset0:20 offset1:21
	ds_read2_b32 v[76:77], v102 offset0:22 offset1:23
	;; [unrolled: 1-line block ×3, first 2 shown]
	v_mov_b32_e32 v140, 0
	v_mov_b32_e32 v141, 0
	s_waitcnt lgkmcnt(3)
	v_and_b32_e32 v117, 0xf0f0f0f, v72
	v_dot4c_i32_i8_e32 v71, v117, v16
	v_add_u32_e32 v117, 0x10c0, v102
	ds_read2_b32 v[118:119], v117 offset1:1
	v_lshrrev_b32_e32 v72, 4, v72
	v_and_b32_e32 v72, 0xf0f0f0f, v72
	v_dot4c_i32_i8_e32 v71, v72, v20
	v_and_b32_e32 v72, 0xf0f0f0f, v73
	v_lshrrev_b32_e32 v73, 4, v73
	v_and_b32_e32 v73, 0xf0f0f0f, v73
	v_dot4c_i32_i8_e32 v71, v72, v17
	v_dot4c_i32_i8_e32 v71, v73, v21
	ds_read2_b32 v[72:73], v106 offset0:6 offset1:7
	s_waitcnt lgkmcnt(1)
	v_and_b32_e32 v117, 0xf0f0f0f, v118
	v_lshrrev_b32_e32 v118, 4, v118
	v_and_b32_e32 v118, 0xf0f0f0f, v118
	v_dot4c_i32_i8_e32 v139, v117, v14
	v_dot4c_i32_i8_e32 v139, v118, v18
	v_and_b32_e32 v117, 0xf0f0f0f, v119
	v_lshrrev_b32_e32 v118, 4, v119
	v_and_b32_e32 v118, 0xf0f0f0f, v118
	v_dot4c_i32_i8_e32 v139, v117, v15
	v_add_u32_e32 v117, 0x10c8, v102
	v_dot4c_i32_i8_e32 v139, v118, v19
	ds_read2_b32 v[118:119], v117 offset1:1
	v_add_u32_e32 v117, 0x31c0, v102
	ds_read2_b32 v[120:121], v120 offset1:1
	ds_read2_b32 v[122:123], v122 offset1:1
	;; [unrolled: 1-line block ×3, first 2 shown]
	v_mov_b32_e32 v142, 0
	v_mov_b32_e32 v143, 0
	s_waitcnt lgkmcnt(3)
	v_and_b32_e32 v117, 0xf0f0f0f, v118
	v_lshrrev_b32_e32 v118, 4, v118
	v_and_b32_e32 v118, 0xf0f0f0f, v118
	v_dot4c_i32_i8_e32 v139, v117, v16
	v_dot4c_i32_i8_e32 v139, v118, v20
	v_and_b32_e32 v117, 0xf0f0f0f, v119
	v_lshrrev_b32_e32 v118, 4, v119
	v_and_b32_e32 v118, 0xf0f0f0f, v118
	v_dot4c_i32_i8_e32 v139, v117, v17
	s_waitcnt lgkmcnt(2)
	v_lshrrev_b32_e32 v117, 4, v120
	v_dot4c_i32_i8_e32 v139, v118, v21
	v_and_b32_e32 v118, 0xf0f0f0f, v120
	v_and_b32_e32 v119, 0xf0f0f0f, v117
	v_mov_b32_e32 v117, 0
	v_dot4c_i32_i8_e32 v117, v118, v14
	v_dot4c_i32_i8_e32 v117, v119, v18
	v_and_b32_e32 v118, 0xf0f0f0f, v121
	v_lshrrev_b32_e32 v119, 4, v121
	v_and_b32_e32 v119, 0xf0f0f0f, v119
	v_dot4c_i32_i8_e32 v117, v118, v15
	v_dot4c_i32_i8_e32 v117, v119, v19
	s_waitcnt lgkmcnt(1)
	v_and_b32_e32 v118, 0xf0f0f0f, v122
	v_lshrrev_b32_e32 v119, 4, v122
	v_and_b32_e32 v119, 0xf0f0f0f, v119
	v_dot4c_i32_i8_e32 v117, v118, v16
	v_dot4c_i32_i8_e32 v117, v119, v20
	v_and_b32_e32 v118, 0xf0f0f0f, v123
	v_lshrrev_b32_e32 v119, 4, v123
	v_and_b32_e32 v119, 0xf0f0f0f, v119
	v_dot4c_i32_i8_e32 v117, v118, v17
	s_waitcnt lgkmcnt(0)
	v_lshrrev_b32_e32 v118, 4, v124
	v_dot4c_i32_i8_e32 v117, v119, v21
	v_and_b32_e32 v119, 0xf0f0f0f, v124
	v_and_b32_e32 v120, 0xf0f0f0f, v118
	v_mov_b32_e32 v118, 0
	v_dot4c_i32_i8_e32 v118, v119, v14
	v_dot4c_i32_i8_e32 v118, v120, v18
	v_and_b32_e32 v14, 0xf0f0f0f, v125
	v_dot4c_i32_i8_e32 v118, v14, v15
	v_add_u32_e32 v14, 0x31c8, v102
	ds_read2_b32 v[14:15], v14 offset1:1
	v_lshrrev_b32_e32 v18, 4, v125
	v_and_b32_e32 v18, 0xf0f0f0f, v18
	v_dot4c_i32_i8_e32 v118, v18, v19
	v_add_u32_e32 v18, 0x10d0, v102
	v_add_u32_e32 v119, 0x10d8, v102
	;; [unrolled: 1-line block ×3, first 2 shown]
	ds_read2_b32 v[18:19], v18 offset1:1
	ds_read2_b32 v[120:121], v119 offset1:1
	;; [unrolled: 1-line block ×3, first 2 shown]
	s_waitcnt lgkmcnt(3)
	v_and_b32_e32 v119, 0xf0f0f0f, v14
	v_lshrrev_b32_e32 v14, 4, v14
	v_and_b32_e32 v14, 0xf0f0f0f, v14
	v_dot4c_i32_i8_e32 v118, v119, v16
	v_dot4c_i32_i8_e32 v118, v14, v20
	v_and_b32_e32 v14, 0xf0f0f0f, v15
	v_lshrrev_b32_e32 v15, 4, v15
	v_and_b32_e32 v15, 0xf0f0f0f, v15
	v_dot4c_i32_i8_e32 v118, v14, v17
	v_cvt_f32_f16_sdwa v16, v3 dst_sel:DWORD dst_unused:UNUSED_PAD src0_sel:WORD_1
	v_dot4c_i32_i8_e32 v118, v15, v21
	v_cvt_f32_f16_e32 v14, v3
	v_and_b32_e32 v3, 0xf0f0f0f, v74
	v_lshrrev_b32_e32 v15, 4, v74
	v_mov_b32_e32 v17, 0
	v_and_b32_e32 v15, 0xf0f0f0f, v15
	v_dot4c_i32_i8_e32 v17, v3, v6
	v_dot4c_i32_i8_e32 v17, v15, v10
	v_and_b32_e32 v3, 0xf0f0f0f, v75
	v_lshrrev_b32_e32 v15, 4, v75
	v_and_b32_e32 v15, 0xf0f0f0f, v15
	v_dot4c_i32_i8_e32 v17, v3, v7
	v_dot4c_i32_i8_e32 v17, v15, v11
	v_and_b32_e32 v3, 0xf0f0f0f, v76
	v_lshrrev_b32_e32 v15, 4, v76
	;; [unrolled: 5-line block ×3, first 2 shown]
	v_and_b32_e32 v15, 0xf0f0f0f, v15
	v_dot4c_i32_i8_e32 v17, v3, v9
	v_dot4c_i32_i8_e32 v17, v15, v13
	s_waitcnt lgkmcnt(2)
	v_and_b32_e32 v3, 0xf0f0f0f, v18
	v_lshrrev_b32_e32 v15, 4, v18
	v_mov_b32_e32 v119, 0
	v_and_b32_e32 v15, 0xf0f0f0f, v15
	v_dot4c_i32_i8_e32 v119, v3, v6
	v_dot4c_i32_i8_e32 v119, v15, v10
	v_and_b32_e32 v3, 0xf0f0f0f, v19
	v_lshrrev_b32_e32 v15, 4, v19
	v_and_b32_e32 v15, 0xf0f0f0f, v15
	v_dot4c_i32_i8_e32 v119, v3, v7
	v_dot4c_i32_i8_e32 v119, v15, v11
	s_waitcnt lgkmcnt(1)
	v_and_b32_e32 v3, 0xf0f0f0f, v120
	v_lshrrev_b32_e32 v15, 4, v120
	v_and_b32_e32 v15, 0xf0f0f0f, v15
	v_dot4c_i32_i8_e32 v119, v3, v8
	v_dot4c_i32_i8_e32 v119, v15, v12
	v_and_b32_e32 v3, 0xf0f0f0f, v121
	v_lshrrev_b32_e32 v15, 4, v121
	v_and_b32_e32 v15, 0xf0f0f0f, v15
	v_dot4c_i32_i8_e32 v119, v3, v9
	v_dot4c_i32_i8_e32 v119, v15, v13
	s_waitcnt lgkmcnt(0)
	v_and_b32_e32 v3, 0xf0f0f0f, v122
	v_lshrrev_b32_e32 v15, 4, v122
	v_and_b32_e32 v15, 0xf0f0f0f, v15
	v_dot4c_i32_i8_e32 v140, v3, v6
	v_dot4c_i32_i8_e32 v140, v15, v10
	v_and_b32_e32 v3, 0xf0f0f0f, v123
	v_dot4c_i32_i8_e32 v140, v3, v7
	v_add_u32_e32 v3, 0x2158, v102
	ds_read2_b32 v[18:19], v3 offset1:1
	v_lshrrev_b32_e32 v15, 4, v123
	v_and_b32_e32 v15, 0xf0f0f0f, v15
	v_dot4c_i32_i8_e32 v140, v15, v11
	v_add_u32_e32 v15, 0x31d0, v102
	v_add_u32_e32 v74, 0x31d8, v102
	;; [unrolled: 1-line block ×3, first 2 shown]
	ds_read2_b32 v[20:21], v15 offset1:1
	ds_read2_b32 v[74:75], v74 offset1:1
	;; [unrolled: 1-line block ×3, first 2 shown]
	s_waitcnt lgkmcnt(3)
	v_and_b32_e32 v3, 0xf0f0f0f, v18
	v_lshrrev_b32_e32 v15, 4, v18
	v_and_b32_e32 v15, 0xf0f0f0f, v15
	v_dot4c_i32_i8_e32 v140, v3, v8
	v_dot4c_i32_i8_e32 v140, v15, v12
	v_and_b32_e32 v3, 0xf0f0f0f, v19
	v_lshrrev_b32_e32 v15, 4, v19
	v_and_b32_e32 v15, 0xf0f0f0f, v15
	v_dot4c_i32_i8_e32 v140, v3, v9
	v_dot4c_i32_i8_e32 v140, v15, v13
	s_waitcnt lgkmcnt(2)
	v_and_b32_e32 v3, 0xf0f0f0f, v20
	v_lshrrev_b32_e32 v15, 4, v20
	v_and_b32_e32 v15, 0xf0f0f0f, v15
	v_dot4c_i32_i8_e32 v141, v3, v6
	v_dot4c_i32_i8_e32 v141, v15, v10
	v_and_b32_e32 v3, 0xf0f0f0f, v21
	v_lshrrev_b32_e32 v6, 4, v21
	v_and_b32_e32 v6, 0xf0f0f0f, v6
	v_dot4c_i32_i8_e32 v141, v3, v7
	v_dot4c_i32_i8_e32 v141, v6, v11
	s_waitcnt lgkmcnt(1)
	v_and_b32_e32 v3, 0xf0f0f0f, v74
	v_lshrrev_b32_e32 v6, 4, v74
	v_and_b32_e32 v6, 0xf0f0f0f, v6
	v_dot4c_i32_i8_e32 v141, v3, v8
	v_dot4c_i32_i8_e32 v141, v6, v12
	v_and_b32_e32 v3, 0xf0f0f0f, v75
	v_dot4c_i32_i8_e32 v141, v3, v9
	v_cvt_f32_f16_sdwa v3, v4 dst_sel:DWORD dst_unused:UNUSED_PAD src0_sel:WORD_1
	ds_read_b128 v[120:123], v100 offset:64
	ds_read_b128 v[124:127], v100 offset:80
	v_lshrrev_b32_e32 v6, 4, v75
	v_and_b32_e32 v6, 0xf0f0f0f, v6
	ds_read2_b32 v[8:9], v105 offset0:4 offset1:5
	ds_read2_b32 v[18:19], v104 offset0:6 offset1:7
	;; [unrolled: 1-line block ×5, first 2 shown]
	v_dot4c_i32_i8_e32 v141, v6, v13
	v_mul_f32_e32 v6, 0x41000000, v3
	v_and_b32_e32 v3, 0xf0f0f0f, v78
	v_lshrrev_b32_e32 v7, 4, v78
	v_mov_b32_e32 v15, 0
	v_and_b32_e32 v7, 0xf0f0f0f, v7
	s_waitcnt lgkmcnt(6)
	v_dot4c_i32_i8_e32 v15, v3, v120
	s_waitcnt lgkmcnt(5)
	v_dot4c_i32_i8_e32 v15, v7, v124
	v_and_b32_e32 v3, 0xf0f0f0f, v79
	v_lshrrev_b32_e32 v7, 4, v79
	v_and_b32_e32 v7, 0xf0f0f0f, v7
	v_dot4c_i32_i8_e32 v15, v3, v121
	v_dot4c_i32_i8_e32 v15, v7, v125
	s_waitcnt lgkmcnt(0)
	v_and_b32_e32 v3, 0xf0f0f0f, v10
	v_lshrrev_b32_e32 v7, 4, v10
	v_and_b32_e32 v7, 0xf0f0f0f, v7
	v_dot4c_i32_i8_e32 v15, v3, v122
	v_dot4c_i32_i8_e32 v15, v7, v126
	v_and_b32_e32 v3, 0xf0f0f0f, v11
	v_lshrrev_b32_e32 v7, 4, v11
	v_and_b32_e32 v7, 0xf0f0f0f, v7
	v_dot4c_i32_i8_e32 v15, v3, v123
	v_dot4c_i32_i8_e32 v15, v7, v127
	;; [unrolled: 5-line block ×3, first 2 shown]
	v_and_b32_e32 v3, 0xf0f0f0f, v77
	v_dot4c_i32_i8_e32 v142, v3, v121
	v_add_u32_e32 v3, 0x10e8, v102
	ds_read2_b32 v[128:129], v102 offset0:28 offset1:29
	ds_read2_b32 v[130:131], v103 offset0:4 offset1:5
	;; [unrolled: 1-line block ×3, first 2 shown]
	ds_read2_b32 v[10:11], v3 offset1:1
	v_lshrrev_b32_e32 v7, 4, v77
	v_and_b32_e32 v7, 0xf0f0f0f, v7
	v_dot4c_i32_i8_e32 v142, v7, v125
	v_add_u32_e32 v7, 0x2160, v102
	v_add_u32_e32 v3, 0x31e0, v102
	v_add_u32_e32 v12, 0x2168, v102
	ds_read2_b32 v[76:77], v7 offset1:1
	ds_read2_b32 v[78:79], v12 offset1:1
	;; [unrolled: 1-line block ×3, first 2 shown]
	s_waitcnt lgkmcnt(3)
	v_and_b32_e32 v3, 0xf0f0f0f, v10
	v_lshrrev_b32_e32 v7, 4, v10
	v_and_b32_e32 v7, 0xf0f0f0f, v7
	v_dot4c_i32_i8_e32 v142, v3, v122
	v_dot4c_i32_i8_e32 v142, v7, v126
	v_and_b32_e32 v3, 0xf0f0f0f, v11
	v_lshrrev_b32_e32 v7, 4, v11
	v_and_b32_e32 v7, 0xf0f0f0f, v7
	v_dot4c_i32_i8_e32 v142, v3, v123
	v_dot4c_i32_i8_e32 v142, v7, v127
	s_waitcnt lgkmcnt(2)
	v_and_b32_e32 v3, 0xf0f0f0f, v76
	v_lshrrev_b32_e32 v7, 4, v76
	v_and_b32_e32 v7, 0xf0f0f0f, v7
	v_dot4c_i32_i8_e32 v143, v3, v120
	v_dot4c_i32_i8_e32 v143, v7, v124
	v_and_b32_e32 v3, 0xf0f0f0f, v77
	v_lshrrev_b32_e32 v7, 4, v77
	v_and_b32_e32 v7, 0xf0f0f0f, v7
	v_dot4c_i32_i8_e32 v143, v3, v121
	v_dot4c_i32_i8_e32 v143, v7, v125
	;; [unrolled: 11-line block ×3, first 2 shown]
	s_waitcnt lgkmcnt(0)
	v_and_b32_e32 v3, 0xf0f0f0f, v134
	v_lshrrev_b32_e32 v7, 4, v134
	v_mov_b32_e32 v144, 0
	v_and_b32_e32 v7, 0xf0f0f0f, v7
	v_dot4c_i32_i8_e32 v144, v3, v120
	v_dot4c_i32_i8_e32 v144, v7, v124
	v_and_b32_e32 v3, 0xf0f0f0f, v135
	v_dot4c_i32_i8_e32 v144, v3, v121
	v_add_u32_e32 v3, 0x31e8, v102
	ds_read2_b32 v[12:13], v106 offset0:4 offset1:5
	ds_read2_b32 v[10:11], v105 offset0:6 offset1:7
	ds_read2_b32 v[76:77], v3 offset1:1
	v_lshrrev_b32_e32 v7, 4, v135
	v_and_b32_e32 v7, 0xf0f0f0f, v7
	v_dot4c_i32_i8_e32 v144, v7, v125
	v_add_u32_e32 v7, 0x10f0, v102
	v_add_u32_e32 v3, 0x2170, v102
	;; [unrolled: 1-line block ×3, first 2 shown]
	ds_read2_b32 v[124:125], v7 offset1:1
	ds_read2_b32 v[134:135], v78 offset1:1
	;; [unrolled: 1-line block ×3, first 2 shown]
	s_waitcnt lgkmcnt(3)
	v_and_b32_e32 v3, 0xf0f0f0f, v76
	v_lshrrev_b32_e32 v7, 4, v76
	v_and_b32_e32 v7, 0xf0f0f0f, v7
	v_dot4c_i32_i8_e32 v144, v3, v122
	v_dot4c_i32_i8_e32 v144, v7, v126
	v_and_b32_e32 v3, 0xf0f0f0f, v77
	v_dot4c_i32_i8_e32 v144, v3, v123
	v_cvt_f32_f16_sdwa v3, v5 dst_sel:DWORD dst_unused:UNUSED_PAD src0_sel:WORD_1
	v_lshrrev_b32_e32 v7, 4, v77
	ds_read_b128 v[76:79], v100 offset:96
	ds_read_b128 v[120:123], v100 offset:112
	v_and_b32_e32 v7, 0xf0f0f0f, v7
	v_dot4c_i32_i8_e32 v144, v7, v127
	v_cvt_f32_f16_e32 v126, v5
	v_mul_f32_e32 v138, 0x41000000, v3
	v_and_b32_e32 v3, 0xf0f0f0f, v128
	v_lshrrev_b32_e32 v5, 4, v128
	v_mov_b32_e32 v7, 0
	v_and_b32_e32 v5, 0xf0f0f0f, v5
	s_waitcnt lgkmcnt(1)
	v_dot4c_i32_i8_e32 v7, v3, v76
	s_waitcnt lgkmcnt(0)
	v_dot4c_i32_i8_e32 v7, v5, v120
	v_and_b32_e32 v3, 0xf0f0f0f, v129
	v_lshrrev_b32_e32 v5, 4, v129
	v_and_b32_e32 v5, 0xf0f0f0f, v5
	v_dot4c_i32_i8_e32 v7, v3, v77
	v_dot4c_i32_i8_e32 v7, v5, v121
	v_and_b32_e32 v3, 0xf0f0f0f, v132
	v_lshrrev_b32_e32 v5, 4, v132
	v_and_b32_e32 v5, 0xf0f0f0f, v5
	v_dot4c_i32_i8_e32 v7, v3, v78
	;; [unrolled: 5-line block ×3, first 2 shown]
	v_dot4c_i32_i8_e32 v7, v5, v123
	v_and_b32_e32 v3, 0xf0f0f0f, v124
	v_lshrrev_b32_e32 v5, 4, v124
	v_mov_b32_e32 v127, 0
	v_cvt_f32_f16_sdwa v70, v2 dst_sel:DWORD dst_unused:UNUSED_PAD src0_sel:WORD_1
	v_and_b32_e32 v5, 0xf0f0f0f, v5
	v_dot4c_i32_i8_e32 v127, v3, v76
	v_cvt_f32_f16_e32 v2, v2
	v_dot4c_i32_i8_e32 v127, v5, v120
	v_and_b32_e32 v3, 0xf0f0f0f, v125
	v_lshrrev_b32_e32 v5, 4, v125
	v_cvt_f32_i32_e32 v125, v139
	v_cvt_f32_i32_e32 v124, v71
	v_and_b32_e32 v5, 0xf0f0f0f, v5
	v_dot4c_i32_i8_e32 v127, v3, v77
	v_dot4c_i32_i8_e32 v127, v5, v121
	v_and_b32_e32 v3, 0xf0f0f0f, v134
	v_mul_f32_e32 v70, 0x41000000, v70
	v_dot4c_i32_i8_e32 v127, v3, v78
	v_and_b32_e32 v3, 0xf0f0f0f, v135
	v_lshrrev_b32_e32 v5, 4, v134
	v_pk_fma_f32 v[124:125], v[2:3], v[124:125], v[70:71] op_sel_hi:[0,1,0] neg_lo:[0,0,1] neg_hi:[0,0,1]
	v_mov_b32_e32 v128, v130
	v_mov_b32_e32 v129, v74
	v_cvt_f32_i32_e32 v133, v119
	v_cvt_f32_i32_e32 v132, v17
	v_cvt_f32_f16_e32 v4, v4
	v_and_b32_e32 v5, 0xf0f0f0f, v5
	v_pk_fma_f32 v[66:67], v[128:129], v[124:125], v[66:67]
	v_cvt_f32_i32_e32 v125, v142
	v_cvt_f32_i32_e32 v124, v15
	v_dot4c_i32_i8_e32 v127, v5, v122
	v_lshrrev_b32_e32 v5, 4, v135
	v_mul_f32_e32 v16, 0x41000000, v16
	v_and_b32_e32 v5, 0xf0f0f0f, v5
	v_dot4c_i32_i8_e32 v127, v3, v79
	v_dot4c_i32_i8_e32 v127, v5, v123
	v_pk_fma_f32 v[128:129], v[14:15], v[132:133], v[16:17] op_sel_hi:[0,1,0] neg_lo:[0,0,1] neg_hi:[0,0,1]
	v_mov_b32_e32 v74, v131
	v_pk_fma_f32 v[66:67], v[74:75], v[128:129], v[66:67]
	v_pk_fma_f32 v[74:75], v[4:5], v[124:125], v[6:7] op_sel_hi:[0,1,0] neg_lo:[0,0,1] neg_hi:[0,0,1]
	v_cvt_f32_i32_e32 v125, v127
	v_cvt_f32_i32_e32 v124, v7
	v_and_b32_e32 v3, 0xf0f0f0f, v136
	v_lshrrev_b32_e32 v5, 4, v136
	v_mov_b32_e32 v17, 0
	v_and_b32_e32 v5, 0xf0f0f0f, v5
	v_dot4c_i32_i8_e32 v17, v3, v76
	v_mov_b32_e32 v128, v20
	v_mov_b32_e32 v129, v18
	v_dot4c_i32_i8_e32 v17, v5, v120
	v_and_b32_e32 v3, 0xf0f0f0f, v137
	v_pk_fma_f32 v[66:67], v[128:129], v[74:75], v[66:67]
	v_pk_fma_f32 v[74:75], v[126:127], v[124:125], v[138:139] op_sel_hi:[0,1,0] neg_lo:[0,0,1] neg_hi:[0,0,1]
	v_mov_b32_e32 v18, v21
	v_dot4c_i32_i8_e32 v17, v3, v77
	v_add_u32_e32 v3, 0x2178, v102
	v_pk_fma_f32 v[66:67], v[18:19], v[74:75], v[66:67]
	ds_read2_b32 v[18:19], v3 offset1:1
	v_lshrrev_b32_e32 v5, 4, v137
	v_and_b32_e32 v5, 0xf0f0f0f, v5
	v_dot4c_i32_i8_e32 v17, v5, v121
	v_add_u32_e32 v3, 0x31f0, v102
	v_add_u32_e32 v5, 0x31f8, v102
	ds_read2_b32 v[20:21], v3 offset1:1
	ds_read2_b32 v[74:75], v5 offset1:1
	s_waitcnt lgkmcnt(2)
	v_and_b32_e32 v3, 0xf0f0f0f, v18
	v_lshrrev_b32_e32 v5, 4, v18
	v_and_b32_e32 v5, 0xf0f0f0f, v5
	v_dot4c_i32_i8_e32 v17, v3, v78
	v_dot4c_i32_i8_e32 v17, v5, v122
	v_and_b32_e32 v3, 0xf0f0f0f, v19
	v_lshrrev_b32_e32 v5, 4, v19
	v_and_b32_e32 v5, 0xf0f0f0f, v5
	v_dot4c_i32_i8_e32 v17, v3, v79
	v_dot4c_i32_i8_e32 v17, v5, v123
	s_waitcnt lgkmcnt(1)
	v_and_b32_e32 v3, 0xf0f0f0f, v20
	v_lshrrev_b32_e32 v5, 4, v20
	v_mov_b32_e32 v7, 0
	v_and_b32_e32 v5, 0xf0f0f0f, v5
	v_dot4c_i32_i8_e32 v7, v3, v76
	v_dot4c_i32_i8_e32 v7, v5, v120
	v_and_b32_e32 v3, 0xf0f0f0f, v21
	v_lshrrev_b32_e32 v5, 4, v21
	v_and_b32_e32 v5, 0xf0f0f0f, v5
	v_dot4c_i32_i8_e32 v7, v3, v77
	v_cvt_f32_i32_e32 v19, v118
	v_cvt_f32_i32_e32 v18, v117
	v_dot4c_i32_i8_e32 v7, v5, v121
	s_waitcnt lgkmcnt(0)
	v_and_b32_e32 v3, 0xf0f0f0f, v74
	v_lshrrev_b32_e32 v5, 4, v74
	v_and_b32_e32 v5, 0xf0f0f0f, v5
	v_dot4c_i32_i8_e32 v7, v3, v78
	v_dot4c_i32_i8_e32 v7, v5, v122
	v_and_b32_e32 v3, 0xf0f0f0f, v75
	v_dot4c_i32_i8_e32 v7, v3, v79
	v_pk_fma_f32 v[2:3], v[2:3], v[18:19], v[70:71] op_sel_hi:[0,1,0] neg_lo:[0,0,1] neg_hi:[0,0,1]
	v_mov_b32_e32 v18, v8
	v_mov_b32_e32 v19, v12
	v_pk_fma_f32 v[2:3], v[18:19], v[2:3], v[68:69]
	v_cvt_f32_i32_e32 v19, v144
	v_cvt_f32_i32_e32 v18, v143
	v_lshrrev_b32_e32 v5, 4, v75
	v_and_b32_e32 v5, 0xf0f0f0f, v5
	v_cvt_f32_i32_e32 v21, v141
	v_cvt_f32_i32_e32 v20, v140
	v_dot4c_i32_i8_e32 v7, v5, v123
	v_mov_b32_e32 v12, v9
	v_mov_b32_e32 v8, v10
	v_pk_fma_f32 v[14:15], v[14:15], v[20:21], v[16:17] op_sel_hi:[0,1,0] neg_lo:[0,0,1] neg_hi:[0,0,1]
	v_pk_fma_f32 v[4:5], v[4:5], v[18:19], v[6:7] op_sel_hi:[0,1,0] neg_lo:[0,0,1] neg_hi:[0,0,1]
	v_cvt_f32_i32_e32 v7, v7
	v_cvt_f32_i32_e32 v6, v17
	v_pk_fma_f32 v[2:3], v[12:13], v[14:15], v[2:3]
	v_mov_b32_e32 v9, v72
	v_pk_fma_f32 v[2:3], v[8:9], v[4:5], v[2:3]
	v_pk_fma_f32 v[4:5], v[126:127], v[6:7], v[138:139] op_sel_hi:[0,1,0] neg_lo:[0,0,1] neg_hi:[0,0,1]
	v_mov_b32_e32 v72, v11
	v_pk_fma_f32 v[68:69], v[72:73], v[4:5], v[2:3]
	s_barrier
.LBB197_5:                              ;   in Loop: Header=BB197_6 Depth=1
	v_add_co_u32_e32 v24, vcc, 0x120, v24
	v_addc_co_u32_e32 v25, vcc, 0, v25, vcc
	v_add_co_u32_e32 v26, vcc, 0x90, v26
	v_addc_co_u32_e32 v1, vcc, 0, v1, vcc
	;; [unrolled: 2-line block ×20, first 2 shown]
	s_add_i32 s16, s16, 8
	s_addk_i32 s20, 0x100
	v_add_co_u32_e32 v64, vcc, 0x90, v64
	s_cmp_ge_i32 s16, s19
	v_addc_co_u32_e32 v63, vcc, 0, v63, vcc
	s_cbranch_scc1 .LBB197_20
.LBB197_6:                              ; =>This Inner Loop Header: Depth=1
	v_add_co_u32_e32 v2, vcc, s14, v26
	v_addc_co_u32_e32 v3, vcc, v1, v115, vcc
	global_load_dword v4, v[2:3], off
	v_add_co_u32_e32 v2, vcc, s14, v28
	v_addc_co_u32_e32 v3, vcc, v27, v115, vcc
	global_load_dword v5, v[2:3], off
	;; [unrolled: 3-line block ×16, first 2 shown]
	v_add_co_u32_e32 v2, vcc, s14, v58
	v_addc_co_u32_e32 v3, vcc, v57, v115, vcc
	global_load_ushort v20, v[2:3], off
	v_add_co_u32_e32 v2, vcc, s14, v60
	v_addc_co_u32_e32 v3, vcc, v59, v115, vcc
	global_load_ushort v21, v[2:3], off
	;; [unrolled: 3-line block ×4, first 2 shown]
	s_waitcnt vmcnt(19)
	ds_write_b32 v81, v4
	s_waitcnt vmcnt(18)
	ds_write_b32 v82, v5
	;; [unrolled: 2-line block ×15, first 2 shown]
	s_add_i32 s4, s20, 0xffffff80
	s_cmp_lt_i32 s4, s15
	s_waitcnt vmcnt(4)
	ds_write_b32 v96, v19
	s_waitcnt vmcnt(3)
	v_cvt_f32_f16_e32 v3, v20
	s_waitcnt vmcnt(2)
	v_cvt_f32_f16_e32 v4, v21
	ds_write_b32 v111, v3
	ds_write_b32 v112, v4
	s_waitcnt vmcnt(1)
	v_cvt_f32_f16_e32 v5, v70
	ds_write_b32 v113, v5
	s_waitcnt vmcnt(0)
	v_cvt_f32_f16_e32 v2, v2
	ds_write_b32 v114, v2
	s_cbranch_scc0 .LBB197_5
; %bb.7:                                ;   in Loop: Header=BB197_6 Depth=1
	v_add_u32_e32 v2, s16, v97
	v_cmp_gt_i32_e32 vcc, s9, v2
	s_and_b64 s[22:23], s[2:3], vcc
	s_and_saveexec_b64 s[4:5], s[22:23]
	s_cbranch_execz .LBB197_9
; %bb.8:                                ;   in Loop: Header=BB197_6 Depth=1
	v_add_u32_e32 v2, s16, v110
	v_mad_i64_i32 v[2:3], s[22:23], v2, 36, v[22:23]
	global_load_dword v2, v[2:3], off offset:4
	s_waitcnt vmcnt(0)
	ds_write_b32 v98, v2
.LBB197_9:                              ;   in Loop: Header=BB197_6 Depth=1
	s_or_b64 exec, exec, s[4:5]
	s_and_saveexec_b64 s[4:5], s[0:1]
	s_cbranch_execz .LBB197_12
; %bb.10:                               ;   in Loop: Header=BB197_6 Depth=1
	v_add_u32_e32 v2, s16, v80
	v_cmp_gt_i32_e32 vcc, s9, v2
	s_and_b64 s[22:23], s[2:3], vcc
	s_and_b64 exec, exec, s[22:23]
	s_cbranch_execz .LBB197_12
; %bb.11:                               ;   in Loop: Header=BB197_6 Depth=1
	v_add_u32_e32 v2, s16, v108
	v_mad_i64_i32 v[2:3], s[22:23], v2, 36, s[6:7]
	global_load_dword v2, v[2:3], off
	s_waitcnt vmcnt(0)
	ds_write_b32 v99, v2
.LBB197_12:                             ;   in Loop: Header=BB197_6 Depth=1
	s_or_b64 exec, exec, s[4:5]
	s_waitcnt lgkmcnt(0)
	s_barrier
	ds_read_b128 v[2:5], v101
	ds_read_b128 v[14:17], v100
	ds_read_b128 v[18:21], v100 offset:16
	ds_read2_b32 v[70:71], v102 offset1:1
	ds_read_b128 v[6:9], v100 offset:32
	ds_read_b128 v[10:13], v100 offset:48
	v_mov_b32_e32 v117, 0
	v_mov_b32_e32 v126, 0
	s_waitcnt lgkmcnt(2)
	v_and_b32_e32 v73, 0xf0f0f0f, v70
	v_lshrrev_b32_e32 v70, 4, v70
	v_and_b32_e32 v70, 0xf0f0f0f, v70
	v_dot4c_i32_i8_e32 v117, v73, v14
	v_dot4c_i32_i8_e32 v117, v70, v18
	v_and_b32_e32 v70, 0xf0f0f0f, v71
	v_lshrrev_b32_e32 v71, 4, v71
	v_and_b32_e32 v73, 0xf0f0f0f, v71
	v_dot4c_i32_i8_e32 v117, v70, v15
	ds_read2_b32 v[70:71], v102 offset0:2 offset1:3
	ds_read2_b32 v[74:75], v102 offset0:4 offset1:5
	;; [unrolled: 1-line block ×4, first 2 shown]
	ds_read2_b32 v[118:119], v116 offset1:1
	v_dot4c_i32_i8_e32 v117, v73, v19
	v_add_u32_e32 v120, 0x2100, v102
	s_waitcnt lgkmcnt(4)
	v_and_b32_e32 v73, 0xf0f0f0f, v70
	v_lshrrev_b32_e32 v70, 4, v70
	v_and_b32_e32 v70, 0xf0f0f0f, v70
	v_dot4c_i32_i8_e32 v117, v73, v16
	v_dot4c_i32_i8_e32 v117, v70, v20
	v_and_b32_e32 v70, 0xf0f0f0f, v71
	v_lshrrev_b32_e32 v71, 4, v71
	v_and_b32_e32 v71, 0xf0f0f0f, v71
	v_dot4c_i32_i8_e32 v117, v70, v17
	v_dot4c_i32_i8_e32 v117, v71, v21
	ds_read2_b32 v[70:71], v106 offset0:2 offset1:3
	s_waitcnt lgkmcnt(1)
	v_and_b32_e32 v73, 0xf0f0f0f, v118
	v_lshrrev_b32_e32 v118, 4, v118
	v_and_b32_e32 v118, 0xf0f0f0f, v118
	v_dot4c_i32_i8_e32 v126, v73, v14
	v_dot4c_i32_i8_e32 v126, v118, v18
	v_and_b32_e32 v73, 0xf0f0f0f, v119
	v_lshrrev_b32_e32 v118, 4, v119
	v_and_b32_e32 v118, 0xf0f0f0f, v118
	v_dot4c_i32_i8_e32 v126, v73, v15
	v_add_u32_e32 v73, 0x1088, v102
	v_dot4c_i32_i8_e32 v126, v118, v19
	ds_read2_b32 v[118:119], v73 offset1:1
	v_add_u32_e32 v122, 0x2108, v102
	v_add_u32_e32 v73, 0x3180, v102
	ds_read2_b32 v[120:121], v120 offset1:1
	ds_read2_b32 v[122:123], v122 offset1:1
	;; [unrolled: 1-line block ×3, first 2 shown]
	v_mov_b32_e32 v127, 0
	s_waitcnt lgkmcnt(3)
	v_and_b32_e32 v73, 0xf0f0f0f, v118
	v_lshrrev_b32_e32 v118, 4, v118
	v_and_b32_e32 v118, 0xf0f0f0f, v118
	v_dot4c_i32_i8_e32 v126, v73, v16
	v_dot4c_i32_i8_e32 v126, v118, v20
	v_and_b32_e32 v73, 0xf0f0f0f, v119
	v_lshrrev_b32_e32 v118, 4, v119
	v_and_b32_e32 v118, 0xf0f0f0f, v118
	v_dot4c_i32_i8_e32 v126, v73, v17
	v_dot4c_i32_i8_e32 v126, v118, v21
	v_cvt_f32_i32_e32 v118, v117
	s_waitcnt lgkmcnt(2)
	v_and_b32_e32 v73, 0xf0f0f0f, v120
	v_lshrrev_b32_e32 v117, 4, v120
	v_cvt_f32_i32_e32 v119, v126
	v_mov_b32_e32 v126, 0
	v_and_b32_e32 v117, 0xf0f0f0f, v117
	v_dot4c_i32_i8_e32 v126, v73, v14
	v_dot4c_i32_i8_e32 v126, v117, v18
	v_and_b32_e32 v73, 0xf0f0f0f, v121
	v_lshrrev_b32_e32 v117, 4, v121
	v_and_b32_e32 v117, 0xf0f0f0f, v117
	v_dot4c_i32_i8_e32 v126, v73, v15
	v_dot4c_i32_i8_e32 v126, v117, v19
	s_waitcnt lgkmcnt(1)
	v_and_b32_e32 v73, 0xf0f0f0f, v122
	v_lshrrev_b32_e32 v117, 4, v122
	v_and_b32_e32 v117, 0xf0f0f0f, v117
	v_dot4c_i32_i8_e32 v126, v73, v16
	v_dot4c_i32_i8_e32 v126, v117, v20
	v_and_b32_e32 v73, 0xf0f0f0f, v123
	v_lshrrev_b32_e32 v117, 4, v123
	v_and_b32_e32 v117, 0xf0f0f0f, v117
	v_dot4c_i32_i8_e32 v126, v73, v17
	v_dot4c_i32_i8_e32 v126, v117, v21
	s_waitcnt lgkmcnt(0)
	v_and_b32_e32 v73, 0xf0f0f0f, v124
	v_lshrrev_b32_e32 v117, 4, v124
	v_and_b32_e32 v117, 0xf0f0f0f, v117
	v_dot4c_i32_i8_e32 v127, v73, v14
	v_dot4c_i32_i8_e32 v127, v117, v18
	v_and_b32_e32 v14, 0xf0f0f0f, v125
	v_dot4c_i32_i8_e32 v127, v14, v15
	v_add_u32_e32 v14, 0x3188, v102
	ds_read2_b32 v[14:15], v14 offset1:1
	v_lshrrev_b32_e32 v18, 4, v125
	v_and_b32_e32 v18, 0xf0f0f0f, v18
	v_dot4c_i32_i8_e32 v127, v18, v19
	v_add_u32_e32 v18, 0x1090, v102
	v_add_u32_e32 v19, 0x1098, v102
	;; [unrolled: 1-line block ×3, first 2 shown]
	ds_read2_b32 v[120:121], v18 offset1:1
	ds_read2_b32 v[122:123], v19 offset1:1
	;; [unrolled: 1-line block ×3, first 2 shown]
	s_waitcnt lgkmcnt(3)
	v_and_b32_e32 v18, 0xf0f0f0f, v14
	v_lshrrev_b32_e32 v14, 4, v14
	v_and_b32_e32 v14, 0xf0f0f0f, v14
	v_dot4c_i32_i8_e32 v127, v18, v16
	v_dot4c_i32_i8_e32 v127, v14, v20
	v_and_b32_e32 v14, 0xf0f0f0f, v15
	v_lshrrev_b32_e32 v15, 4, v15
	v_and_b32_e32 v15, 0xf0f0f0f, v15
	v_dot4c_i32_i8_e32 v127, v14, v17
	v_cvt_f32_f16_e32 v72, v2
	v_cvt_f32_f16_sdwa v2, v2 dst_sel:DWORD dst_unused:UNUSED_PAD src0_sel:WORD_1
	v_dot4c_i32_i8_e32 v127, v15, v21
	v_cvt_f32_i32_e32 v14, v126
	v_cvt_f32_f16_sdwa v16, v3 dst_sel:DWORD dst_unused:UNUSED_PAD src0_sel:WORD_1
	v_mul_f32_e32 v2, 0x41000000, v2
	v_cvt_f32_i32_e32 v15, v127
	v_pk_fma_f32 v[18:19], v[72:73], v[118:119], v[2:3] op_sel_hi:[0,1,0] neg_lo:[0,0,1] neg_hi:[0,0,1]
	v_lshrrev_b32_e32 v17, 4, v74
	v_mov_b32_e32 v20, 0
	v_pk_fma_f32 v[14:15], v[72:73], v[14:15], v[2:3] op_sel_hi:[0,1,0] neg_lo:[0,0,1] neg_hi:[0,0,1]
	v_cvt_f32_f16_e32 v2, v3
	v_and_b32_e32 v3, 0xf0f0f0f, v74
	v_and_b32_e32 v17, 0xf0f0f0f, v17
	v_dot4c_i32_i8_e32 v20, v3, v6
	v_dot4c_i32_i8_e32 v20, v17, v10
	v_and_b32_e32 v3, 0xf0f0f0f, v75
	v_lshrrev_b32_e32 v17, 4, v75
	v_and_b32_e32 v17, 0xf0f0f0f, v17
	v_dot4c_i32_i8_e32 v20, v3, v7
	v_dot4c_i32_i8_e32 v20, v17, v11
	v_and_b32_e32 v3, 0xf0f0f0f, v76
	v_lshrrev_b32_e32 v17, 4, v76
	;; [unrolled: 5-line block ×3, first 2 shown]
	v_and_b32_e32 v17, 0xf0f0f0f, v17
	v_dot4c_i32_i8_e32 v20, v3, v9
	v_dot4c_i32_i8_e32 v20, v17, v13
	s_waitcnt lgkmcnt(2)
	v_and_b32_e32 v3, 0xf0f0f0f, v120
	v_lshrrev_b32_e32 v17, 4, v120
	v_mov_b32_e32 v21, 0
	v_and_b32_e32 v17, 0xf0f0f0f, v17
	v_dot4c_i32_i8_e32 v21, v3, v6
	v_dot4c_i32_i8_e32 v21, v17, v10
	v_and_b32_e32 v3, 0xf0f0f0f, v121
	v_lshrrev_b32_e32 v17, 4, v121
	v_and_b32_e32 v17, 0xf0f0f0f, v17
	v_dot4c_i32_i8_e32 v21, v3, v7
	v_dot4c_i32_i8_e32 v21, v17, v11
	s_waitcnt lgkmcnt(1)
	v_and_b32_e32 v3, 0xf0f0f0f, v122
	v_lshrrev_b32_e32 v17, 4, v122
	v_and_b32_e32 v17, 0xf0f0f0f, v17
	v_dot4c_i32_i8_e32 v21, v3, v8
	v_dot4c_i32_i8_e32 v21, v17, v12
	v_and_b32_e32 v3, 0xf0f0f0f, v123
	v_lshrrev_b32_e32 v17, 4, v123
	v_and_b32_e32 v17, 0xf0f0f0f, v17
	v_dot4c_i32_i8_e32 v21, v3, v9
	v_dot4c_i32_i8_e32 v21, v17, v13
	s_waitcnt lgkmcnt(0)
	v_and_b32_e32 v3, 0xf0f0f0f, v124
	v_lshrrev_b32_e32 v17, 4, v124
	v_mov_b32_e32 v117, 0
	v_and_b32_e32 v17, 0xf0f0f0f, v17
	v_dot4c_i32_i8_e32 v117, v3, v6
	v_dot4c_i32_i8_e32 v117, v17, v10
	v_and_b32_e32 v3, 0xf0f0f0f, v125
	v_dot4c_i32_i8_e32 v117, v3, v7
	v_add_u32_e32 v3, 0x2118, v102
	ds_read2_b32 v[72:73], v3 offset1:1
	v_lshrrev_b32_e32 v17, 4, v125
	v_and_b32_e32 v17, 0xf0f0f0f, v17
	v_dot4c_i32_i8_e32 v117, v17, v11
	v_add_u32_e32 v17, 0x3190, v102
	v_add_u32_e32 v76, 0x3198, v102
	;; [unrolled: 1-line block ×3, first 2 shown]
	ds_read2_b32 v[74:75], v17 offset1:1
	ds_read2_b32 v[76:77], v76 offset1:1
	ds_read2_b32 v[126:127], v3 offset1:1
	s_waitcnt lgkmcnt(3)
	v_and_b32_e32 v3, 0xf0f0f0f, v72
	v_lshrrev_b32_e32 v17, 4, v72
	v_and_b32_e32 v17, 0xf0f0f0f, v17
	v_dot4c_i32_i8_e32 v117, v3, v8
	v_dot4c_i32_i8_e32 v117, v17, v12
	v_and_b32_e32 v3, 0xf0f0f0f, v73
	v_lshrrev_b32_e32 v17, 4, v73
	v_and_b32_e32 v17, 0xf0f0f0f, v17
	v_dot4c_i32_i8_e32 v117, v3, v9
	v_dot4c_i32_i8_e32 v117, v17, v13
	s_waitcnt lgkmcnt(2)
	v_and_b32_e32 v3, 0xf0f0f0f, v74
	v_lshrrev_b32_e32 v17, 4, v74
	v_mov_b32_e32 v72, 0
	v_and_b32_e32 v17, 0xf0f0f0f, v17
	v_dot4c_i32_i8_e32 v72, v3, v6
	v_dot4c_i32_i8_e32 v72, v17, v10
	v_and_b32_e32 v3, 0xf0f0f0f, v75
	v_lshrrev_b32_e32 v6, 4, v75
	v_and_b32_e32 v6, 0xf0f0f0f, v6
	v_dot4c_i32_i8_e32 v72, v3, v7
	v_dot4c_i32_i8_e32 v72, v6, v11
	s_waitcnt lgkmcnt(1)
	v_and_b32_e32 v3, 0xf0f0f0f, v76
	v_lshrrev_b32_e32 v6, 4, v76
	v_and_b32_e32 v6, 0xf0f0f0f, v6
	v_dot4c_i32_i8_e32 v72, v3, v8
	v_dot4c_i32_i8_e32 v72, v6, v12
	v_and_b32_e32 v3, 0xf0f0f0f, v77
	v_lshrrev_b32_e32 v6, 4, v77
	v_dot4c_i32_i8_e32 v72, v3, v9
	v_cvt_f32_f16_sdwa v3, v4 dst_sel:DWORD dst_unused:UNUSED_PAD src0_sel:WORD_1
	v_and_b32_e32 v6, 0xf0f0f0f, v6
	ds_read_b128 v[118:121], v100 offset:64
	ds_read_b128 v[122:125], v100 offset:80
	v_dot4c_i32_i8_e32 v72, v6, v13
	v_mul_f32_e32 v8, 0x41000000, v3
	v_and_b32_e32 v3, 0xf0f0f0f, v78
	v_lshrrev_b32_e32 v9, 4, v78
	v_cvt_f32_i32_e32 v7, v72
	ds_read2_b32 v[10:11], v105 offset1:1
	ds_read2_b32 v[12:13], v104 offset0:2 offset1:3
	ds_read2_b32 v[74:75], v104 offset1:1
	ds_read2_b32 v[72:73], v103 offset0:2 offset1:3
	ds_read2_b32 v[76:77], v102 offset0:10 offset1:11
	v_mov_b32_e32 v17, 0
	v_and_b32_e32 v9, 0xf0f0f0f, v9
	s_waitcnt lgkmcnt(6)
	v_dot4c_i32_i8_e32 v17, v3, v118
	s_waitcnt lgkmcnt(5)
	v_dot4c_i32_i8_e32 v17, v9, v122
	v_and_b32_e32 v3, 0xf0f0f0f, v79
	v_lshrrev_b32_e32 v9, 4, v79
	v_and_b32_e32 v9, 0xf0f0f0f, v9
	v_dot4c_i32_i8_e32 v17, v3, v119
	v_dot4c_i32_i8_e32 v17, v9, v123
	s_waitcnt lgkmcnt(0)
	v_and_b32_e32 v3, 0xf0f0f0f, v76
	v_lshrrev_b32_e32 v9, 4, v76
	v_and_b32_e32 v9, 0xf0f0f0f, v9
	v_dot4c_i32_i8_e32 v17, v3, v120
	v_dot4c_i32_i8_e32 v17, v9, v124
	v_and_b32_e32 v3, 0xf0f0f0f, v77
	v_lshrrev_b32_e32 v9, 4, v77
	v_and_b32_e32 v9, 0xf0f0f0f, v9
	v_dot4c_i32_i8_e32 v17, v3, v121
	v_dot4c_i32_i8_e32 v17, v9, v125
	v_and_b32_e32 v3, 0xf0f0f0f, v126
	v_lshrrev_b32_e32 v9, 4, v126
	v_mov_b32_e32 v78, 0
	v_and_b32_e32 v9, 0xf0f0f0f, v9
	v_dot4c_i32_i8_e32 v78, v3, v118
	v_dot4c_i32_i8_e32 v78, v9, v122
	v_and_b32_e32 v3, 0xf0f0f0f, v127
	v_dot4c_i32_i8_e32 v78, v3, v119
	v_add_u32_e32 v3, 0x10a8, v102
	ds_read2_b32 v[128:129], v102 offset0:12 offset1:13
	ds_read2_b32 v[130:131], v103 offset1:1
	ds_read2_b32 v[132:133], v102 offset0:14 offset1:15
	ds_read2_b32 v[76:77], v3 offset1:1
	v_lshrrev_b32_e32 v9, 4, v127
	v_and_b32_e32 v9, 0xf0f0f0f, v9
	v_dot4c_i32_i8_e32 v78, v9, v123
	v_add_u32_e32 v9, 0x2120, v102
	v_add_u32_e32 v3, 0x31a0, v102
	;; [unrolled: 1-line block ×3, first 2 shown]
	ds_read2_b32 v[126:127], v9 offset1:1
	ds_read2_b32 v[134:135], v79 offset1:1
	;; [unrolled: 1-line block ×3, first 2 shown]
	s_waitcnt lgkmcnt(3)
	v_and_b32_e32 v3, 0xf0f0f0f, v76
	v_lshrrev_b32_e32 v9, 4, v76
	v_and_b32_e32 v9, 0xf0f0f0f, v9
	v_dot4c_i32_i8_e32 v78, v3, v120
	v_dot4c_i32_i8_e32 v78, v9, v124
	v_and_b32_e32 v3, 0xf0f0f0f, v77
	v_lshrrev_b32_e32 v9, 4, v77
	v_and_b32_e32 v9, 0xf0f0f0f, v9
	v_dot4c_i32_i8_e32 v78, v3, v121
	v_dot4c_i32_i8_e32 v78, v9, v125
	v_cvt_f32_i32_e32 v138, v17
	s_waitcnt lgkmcnt(2)
	v_and_b32_e32 v3, 0xf0f0f0f, v126
	v_lshrrev_b32_e32 v9, 4, v126
	v_mov_b32_e32 v17, 0
	v_and_b32_e32 v9, 0xf0f0f0f, v9
	v_dot4c_i32_i8_e32 v17, v3, v118
	v_dot4c_i32_i8_e32 v17, v9, v122
	v_and_b32_e32 v3, 0xf0f0f0f, v127
	v_lshrrev_b32_e32 v9, 4, v127
	v_and_b32_e32 v9, 0xf0f0f0f, v9
	v_dot4c_i32_i8_e32 v17, v3, v119
	v_dot4c_i32_i8_e32 v17, v9, v123
	s_waitcnt lgkmcnt(1)
	v_and_b32_e32 v3, 0xf0f0f0f, v134
	v_lshrrev_b32_e32 v9, 4, v134
	v_and_b32_e32 v9, 0xf0f0f0f, v9
	v_dot4c_i32_i8_e32 v17, v3, v120
	v_dot4c_i32_i8_e32 v17, v9, v124
	v_and_b32_e32 v3, 0xf0f0f0f, v135
	v_lshrrev_b32_e32 v9, 4, v135
	v_and_b32_e32 v9, 0xf0f0f0f, v9
	v_dot4c_i32_i8_e32 v17, v3, v121
	v_cvt_f32_i32_e32 v6, v117
	v_dot4c_i32_i8_e32 v17, v9, v125
	s_waitcnt lgkmcnt(0)
	v_and_b32_e32 v3, 0xf0f0f0f, v136
	v_lshrrev_b32_e32 v9, 4, v136
	v_mov_b32_e32 v117, 0
	v_and_b32_e32 v9, 0xf0f0f0f, v9
	v_dot4c_i32_i8_e32 v117, v3, v118
	v_dot4c_i32_i8_e32 v117, v9, v122
	v_and_b32_e32 v3, 0xf0f0f0f, v137
	v_dot4c_i32_i8_e32 v117, v3, v119
	v_add_u32_e32 v3, 0x31a8, v102
	v_cvt_f32_i32_e32 v139, v78
	ds_read2_b32 v[78:79], v106 offset1:1
	ds_read2_b32 v[76:77], v105 offset0:2 offset1:3
	ds_read2_b32 v[118:119], v3 offset1:1
	v_lshrrev_b32_e32 v9, 4, v137
	v_and_b32_e32 v9, 0xf0f0f0f, v9
	v_dot4c_i32_i8_e32 v117, v9, v123
	v_add_u32_e32 v9, 0x10b0, v102
	v_add_u32_e32 v3, 0x2130, v102
	;; [unrolled: 1-line block ×3, first 2 shown]
	ds_read2_b32 v[126:127], v9 offset1:1
	ds_read2_b32 v[134:135], v122 offset1:1
	;; [unrolled: 1-line block ×3, first 2 shown]
	s_waitcnt lgkmcnt(3)
	v_and_b32_e32 v3, 0xf0f0f0f, v118
	v_lshrrev_b32_e32 v9, 4, v118
	v_and_b32_e32 v9, 0xf0f0f0f, v9
	v_dot4c_i32_i8_e32 v117, v3, v120
	v_dot4c_i32_i8_e32 v117, v9, v124
	v_and_b32_e32 v3, 0xf0f0f0f, v119
	v_lshrrev_b32_e32 v9, 4, v119
	v_and_b32_e32 v9, 0xf0f0f0f, v9
	v_dot4c_i32_i8_e32 v117, v3, v121
	v_cvt_f32_f16_sdwa v3, v5 dst_sel:DWORD dst_unused:UNUSED_PAD src0_sel:WORD_1
	v_dot4c_i32_i8_e32 v117, v9, v125
	ds_read_b128 v[118:121], v100 offset:96
	ds_read_b128 v[122:125], v100 offset:112
	v_cvt_f32_f16_e32 v142, v5
	v_mul_f32_e32 v144, 0x41000000, v3
	v_and_b32_e32 v3, 0xf0f0f0f, v128
	v_lshrrev_b32_e32 v5, 4, v128
	v_mov_b32_e32 v9, 0
	v_and_b32_e32 v5, 0xf0f0f0f, v5
	s_waitcnt lgkmcnt(1)
	v_dot4c_i32_i8_e32 v9, v3, v118
	s_waitcnt lgkmcnt(0)
	v_dot4c_i32_i8_e32 v9, v5, v122
	v_and_b32_e32 v3, 0xf0f0f0f, v129
	v_lshrrev_b32_e32 v5, 4, v129
	v_and_b32_e32 v5, 0xf0f0f0f, v5
	v_dot4c_i32_i8_e32 v9, v3, v119
	v_dot4c_i32_i8_e32 v9, v5, v123
	v_and_b32_e32 v3, 0xf0f0f0f, v132
	v_lshrrev_b32_e32 v5, 4, v132
	v_and_b32_e32 v5, 0xf0f0f0f, v5
	v_dot4c_i32_i8_e32 v9, v3, v120
	v_dot4c_i32_i8_e32 v9, v5, v124
	v_and_b32_e32 v3, 0xf0f0f0f, v133
	v_lshrrev_b32_e32 v5, 4, v133
	v_and_b32_e32 v5, 0xf0f0f0f, v5
	v_dot4c_i32_i8_e32 v9, v3, v121
	v_cvt_f32_i32_e32 v140, v17
	v_dot4c_i32_i8_e32 v9, v5, v125
	v_and_b32_e32 v3, 0xf0f0f0f, v126
	v_lshrrev_b32_e32 v5, 4, v126
	v_mov_b32_e32 v17, 0
	v_and_b32_e32 v5, 0xf0f0f0f, v5
	v_dot4c_i32_i8_e32 v17, v3, v118
	v_dot4c_i32_i8_e32 v17, v5, v122
	v_and_b32_e32 v3, 0xf0f0f0f, v127
	v_lshrrev_b32_e32 v5, 4, v127
	v_and_b32_e32 v5, 0xf0f0f0f, v5
	v_dot4c_i32_i8_e32 v17, v3, v119
	v_dot4c_i32_i8_e32 v17, v5, v123
	v_and_b32_e32 v3, 0xf0f0f0f, v134
	v_lshrrev_b32_e32 v5, 4, v134
	v_cvt_f32_i32_e32 v21, v21
	v_cvt_f32_i32_e32 v20, v20
	v_and_b32_e32 v5, 0xf0f0f0f, v5
	v_dot4c_i32_i8_e32 v17, v3, v120
	v_cvt_f32_f16_e32 v4, v4
	v_dot4c_i32_i8_e32 v17, v5, v124
	v_and_b32_e32 v3, 0xf0f0f0f, v135
	v_lshrrev_b32_e32 v5, 4, v135
	v_and_b32_e32 v5, 0xf0f0f0f, v5
	v_dot4c_i32_i8_e32 v17, v3, v121
	v_mul_f32_e32 v16, 0x41000000, v16
	v_dot4c_i32_i8_e32 v17, v5, v125
	v_mov_b32_e32 v126, v130
	v_mov_b32_e32 v127, v74
	v_pk_fma_f32 v[18:19], v[126:127], v[18:19], v[66:67]
	v_pk_fma_f32 v[20:21], v[2:3], v[20:21], v[16:17] op_sel_hi:[0,1,0] neg_lo:[0,0,1] neg_hi:[0,0,1]
	v_mov_b32_e32 v74, v131
	v_cvt_f32_i32_e32 v67, v17
	v_cvt_f32_i32_e32 v66, v9
	v_pk_fma_f32 v[18:19], v[74:75], v[20:21], v[18:19]
	v_pk_fma_f32 v[20:21], v[4:5], v[138:139], v[8:9] op_sel_hi:[0,1,0] neg_lo:[0,0,1] neg_hi:[0,0,1]
	v_and_b32_e32 v3, 0xf0f0f0f, v136
	v_lshrrev_b32_e32 v5, 4, v136
	v_mov_b32_e32 v9, 0
	v_and_b32_e32 v5, 0xf0f0f0f, v5
	v_dot4c_i32_i8_e32 v9, v3, v118
	v_mov_b32_e32 v74, v72
	v_mov_b32_e32 v75, v12
	v_dot4c_i32_i8_e32 v9, v5, v122
	v_and_b32_e32 v3, 0xf0f0f0f, v137
	v_pk_fma_f32 v[18:19], v[74:75], v[20:21], v[18:19]
	v_pk_fma_f32 v[20:21], v[142:143], v[66:67], v[144:145] op_sel_hi:[0,1,0] neg_lo:[0,0,1] neg_hi:[0,0,1]
	v_mov_b32_e32 v12, v73
	v_dot4c_i32_i8_e32 v9, v3, v119
	v_add_u32_e32 v3, 0x2138, v102
	v_pk_fma_f32 v[66:67], v[12:13], v[20:21], v[18:19]
	ds_read2_b32 v[12:13], v3 offset1:1
	v_lshrrev_b32_e32 v5, 4, v137
	v_and_b32_e32 v5, 0xf0f0f0f, v5
	v_dot4c_i32_i8_e32 v9, v5, v123
	v_add_u32_e32 v3, 0x31b0, v102
	v_add_u32_e32 v5, 0x31b8, v102
	ds_read2_b32 v[18:19], v3 offset1:1
	ds_read2_b32 v[20:21], v5 offset1:1
	s_waitcnt lgkmcnt(2)
	v_and_b32_e32 v3, 0xf0f0f0f, v12
	v_lshrrev_b32_e32 v5, 4, v12
	v_and_b32_e32 v5, 0xf0f0f0f, v5
	v_dot4c_i32_i8_e32 v9, v3, v120
	v_dot4c_i32_i8_e32 v9, v5, v124
	v_and_b32_e32 v3, 0xf0f0f0f, v13
	v_lshrrev_b32_e32 v5, 4, v13
	v_and_b32_e32 v5, 0xf0f0f0f, v5
	v_dot4c_i32_i8_e32 v9, v3, v121
	v_dot4c_i32_i8_e32 v9, v5, v125
	s_waitcnt lgkmcnt(1)
	v_and_b32_e32 v3, 0xf0f0f0f, v18
	v_lshrrev_b32_e32 v5, 4, v18
	v_mov_b32_e32 v17, 0
	v_and_b32_e32 v5, 0xf0f0f0f, v5
	v_dot4c_i32_i8_e32 v17, v3, v118
	v_dot4c_i32_i8_e32 v17, v5, v122
	v_and_b32_e32 v3, 0xf0f0f0f, v19
	v_lshrrev_b32_e32 v5, 4, v19
	v_and_b32_e32 v5, 0xf0f0f0f, v5
	v_dot4c_i32_i8_e32 v17, v3, v119
	v_dot4c_i32_i8_e32 v17, v5, v123
	s_waitcnt lgkmcnt(0)
	v_and_b32_e32 v3, 0xf0f0f0f, v20
	v_lshrrev_b32_e32 v5, 4, v20
	v_and_b32_e32 v5, 0xf0f0f0f, v5
	v_dot4c_i32_i8_e32 v17, v3, v120
	v_dot4c_i32_i8_e32 v17, v5, v124
	v_and_b32_e32 v3, 0xf0f0f0f, v21
	v_lshrrev_b32_e32 v5, 4, v21
	v_and_b32_e32 v5, 0xf0f0f0f, v5
	v_dot4c_i32_i8_e32 v17, v3, v121
	v_cvt_f32_i32_e32 v141, v117
	v_dot4c_i32_i8_e32 v17, v5, v125
	v_mov_b32_e32 v12, v10
	v_mov_b32_e32 v13, v78
	v_pk_fma_f32 v[12:13], v[12:13], v[14:15], v[68:69]
	v_pk_fma_f32 v[2:3], v[2:3], v[6:7], v[16:17] op_sel_hi:[0,1,0] neg_lo:[0,0,1] neg_hi:[0,0,1]
	v_cvt_f32_i32_e32 v7, v17
	v_cvt_f32_i32_e32 v6, v9
	v_mov_b32_e32 v78, v11
	v_pk_fma_f32 v[2:3], v[78:79], v[2:3], v[12:13]
	v_pk_fma_f32 v[4:5], v[4:5], v[140:141], v[8:9] op_sel_hi:[0,1,0] neg_lo:[0,0,1] neg_hi:[0,0,1]
	v_mov_b32_e32 v8, v76
	v_mov_b32_e32 v9, v70
	v_pk_fma_f32 v[2:3], v[8:9], v[4:5], v[2:3]
	v_pk_fma_f32 v[4:5], v[142:143], v[6:7], v[144:145] op_sel_hi:[0,1,0] neg_lo:[0,0,1] neg_hi:[0,0,1]
	v_mov_b32_e32 v70, v77
	v_pk_fma_f32 v[68:69], v[70:71], v[4:5], v[2:3]
	s_cmp_ge_i32 s20, s15
	s_barrier
	s_cbranch_scc1 .LBB197_5
; %bb.13:                               ;   in Loop: Header=BB197_6 Depth=1
	v_add_u32_e32 v2, s16, v107
	v_cmp_gt_i32_e32 vcc, s9, v2
	s_and_b64 s[22:23], s[2:3], vcc
	s_and_saveexec_b64 s[4:5], s[22:23]
	s_cbranch_execz .LBB197_15
; %bb.14:                               ;   in Loop: Header=BB197_6 Depth=1
	v_add_u32_e32 v2, s16, v109
	v_mad_i64_i32 v[2:3], s[22:23], v2, 36, v[22:23]
	global_load_dword v2, v[2:3], off offset:4
	s_waitcnt vmcnt(0)
	ds_write_b32 v98, v2
.LBB197_15:                             ;   in Loop: Header=BB197_6 Depth=1
	s_or_b64 exec, exec, s[4:5]
	s_and_saveexec_b64 s[4:5], s[0:1]
	s_cbranch_execz .LBB197_4
; %bb.16:                               ;   in Loop: Header=BB197_6 Depth=1
	v_add3_u32 v2, v80, s16, 4
	v_cmp_gt_i32_e32 vcc, s9, v2
	s_and_b64 s[22:23], s[2:3], vcc
	s_and_b64 exec, exec, s[22:23]
	s_cbranch_execz .LBB197_4
; %bb.17:                               ;   in Loop: Header=BB197_6 Depth=1
	global_load_dword v2, v[24:25], off
	s_waitcnt vmcnt(0)
	ds_write_b32 v99, v2
	s_branch .LBB197_4
.LBB197_18:
	v_mov_b32_e32 v2, 0
	s_mul_i32 s0, s11, s8
	s_waitcnt vmcnt(0)
	v_cmp_gt_i32_e32 vcc, s0, v65
	s_and_saveexec_b64 s[0:1], vcc
	s_cbranch_execnz .LBB197_21
.LBB197_19:
	s_endpgm
.LBB197_20:
	v_cvt_f16_f32_e32 v1, v67
	v_cvt_f16_f32_e32 v2, v66
	;; [unrolled: 1-line block ×4, first 2 shown]
	v_pack_b32_f16 v2, v2, v1
	v_pack_b32_f16 v3, v4, v3
	s_mul_i32 s0, s11, s8
	v_cmp_gt_i32_e32 vcc, s0, v65
	s_and_saveexec_b64 s[0:1], vcc
	s_cbranch_execz .LBB197_19
.LBB197_21:
	v_and_b32_e32 v0, 0x3ff, v0
	v_add_u32_e32 v1, s18, v0
	v_mul_lo_u32 v0, v65, s10
	v_cmp_gt_u32_e32 vcc, s10, v1
	s_and_saveexec_b64 s[0:1], vcc
	s_cbranch_execz .LBB197_23
; %bb.22:
	v_add_u32_e32 v4, v0, v1
	v_mov_b32_e32 v5, 0
	v_lshlrev_b64 v[4:5], 1, v[4:5]
	v_mov_b32_e32 v6, s13
	v_add_co_u32_e32 v4, vcc, s12, v4
	v_addc_co_u32_e32 v5, vcc, v6, v5, vcc
	global_store_short v[4:5], v2, off
.LBB197_23:
	s_or_b64 exec, exec, s[0:1]
	v_add_u32_e32 v4, 32, v1
	v_cmp_gt_u32_e32 vcc, s10, v4
	s_and_saveexec_b64 s[0:1], vcc
	s_cbranch_execz .LBB197_25
; %bb.24:
	v_add_u32_e32 v4, v0, v4
	v_mov_b32_e32 v5, 0
	v_lshlrev_b64 v[4:5], 1, v[4:5]
	v_mov_b32_e32 v6, s13
	v_add_co_u32_e32 v4, vcc, s12, v4
	v_addc_co_u32_e32 v5, vcc, v6, v5, vcc
	global_store_short_d16_hi v[4:5], v2, off
.LBB197_25:
	s_or_b64 exec, exec, s[0:1]
	v_add_u32_e32 v2, 64, v1
	v_cmp_gt_u32_e32 vcc, s10, v2
	s_and_saveexec_b64 s[0:1], vcc
	s_cbranch_execz .LBB197_27
; %bb.26:
	v_add_u32_e32 v4, v0, v2
	v_mov_b32_e32 v5, 0
	v_lshlrev_b64 v[4:5], 1, v[4:5]
	v_mov_b32_e32 v2, s13
	v_add_co_u32_e32 v4, vcc, s12, v4
	v_addc_co_u32_e32 v5, vcc, v2, v5, vcc
	global_store_short v[4:5], v3, off
.LBB197_27:
	s_or_b64 exec, exec, s[0:1]
	v_add_u32_e32 v1, 0x60, v1
	v_cmp_gt_u32_e32 vcc, s10, v1
	s_and_b64 exec, exec, vcc
	s_cbranch_execz .LBB197_19
; %bb.28:
	v_add_u32_e32 v0, v0, v1
	v_mov_b32_e32 v1, 0
	v_lshlrev_b64 v[0:1], 1, v[0:1]
	v_mov_b32_e32 v2, s13
	v_add_co_u32_e32 v0, vcc, s12, v0
	v_addc_co_u32_e32 v1, vcc, v2, v1, vcc
	global_store_short_d16_hi v[0:1], v3, off
	s_endpgm
	.section	.rodata,"a",@progbits
	.p2align	6, 0x0
	.amdhsa_kernel _ZL8moe_q4_0IN3c104HalfELb0EEvPKvS3_PT_PKiS7_S7_iiiiiii
		.amdhsa_group_segment_fixed_size 22272
		.amdhsa_private_segment_fixed_size 0
		.amdhsa_kernarg_size 76
		.amdhsa_user_sgpr_count 6
		.amdhsa_user_sgpr_private_segment_buffer 1
		.amdhsa_user_sgpr_dispatch_ptr 0
		.amdhsa_user_sgpr_queue_ptr 0
		.amdhsa_user_sgpr_kernarg_segment_ptr 1
		.amdhsa_user_sgpr_dispatch_id 0
		.amdhsa_user_sgpr_flat_scratch_init 0
		.amdhsa_user_sgpr_kernarg_preload_length 0
		.amdhsa_user_sgpr_kernarg_preload_offset 0
		.amdhsa_user_sgpr_private_segment_size 0
		.amdhsa_uses_dynamic_stack 0
		.amdhsa_system_sgpr_private_segment_wavefront_offset 0
		.amdhsa_system_sgpr_workgroup_id_x 1
		.amdhsa_system_sgpr_workgroup_id_y 1
		.amdhsa_system_sgpr_workgroup_id_z 0
		.amdhsa_system_sgpr_workgroup_info 0
		.amdhsa_system_vgpr_workitem_id 1
		.amdhsa_next_free_vgpr 146
		.amdhsa_next_free_sgpr 24
		.amdhsa_accum_offset 148
		.amdhsa_reserve_vcc 1
		.amdhsa_reserve_flat_scratch 0
		.amdhsa_float_round_mode_32 0
		.amdhsa_float_round_mode_16_64 0
		.amdhsa_float_denorm_mode_32 3
		.amdhsa_float_denorm_mode_16_64 3
		.amdhsa_dx10_clamp 1
		.amdhsa_ieee_mode 1
		.amdhsa_fp16_overflow 0
		.amdhsa_tg_split 0
		.amdhsa_exception_fp_ieee_invalid_op 0
		.amdhsa_exception_fp_denorm_src 0
		.amdhsa_exception_fp_ieee_div_zero 0
		.amdhsa_exception_fp_ieee_overflow 0
		.amdhsa_exception_fp_ieee_underflow 0
		.amdhsa_exception_fp_ieee_inexact 0
		.amdhsa_exception_int_div_zero 0
	.end_amdhsa_kernel
	.section	.text._ZL8moe_q4_0IN3c104HalfELb0EEvPKvS3_PT_PKiS7_S7_iiiiiii,"axG",@progbits,_ZL8moe_q4_0IN3c104HalfELb0EEvPKvS3_PT_PKiS7_S7_iiiiiii,comdat
.Lfunc_end197:
	.size	_ZL8moe_q4_0IN3c104HalfELb0EEvPKvS3_PT_PKiS7_S7_iiiiiii, .Lfunc_end197-_ZL8moe_q4_0IN3c104HalfELb0EEvPKvS3_PT_PKiS7_S7_iiiiiii
                                        ; -- End function
	.section	.AMDGPU.csdata,"",@progbits
; Kernel info:
; codeLenInByte = 8892
; NumSgprs: 28
; NumVgprs: 146
; NumAgprs: 0
; TotalNumVgprs: 146
; ScratchSize: 0
; MemoryBound: 0
; FloatMode: 240
; IeeeMode: 1
; LDSByteSize: 22272 bytes/workgroup (compile time only)
; SGPRBlocks: 3
; VGPRBlocks: 18
; NumSGPRsForWavesPerEU: 28
; NumVGPRsForWavesPerEU: 146
; AccumOffset: 148
; Occupancy: 2
; WaveLimiterHint : 1
; COMPUTE_PGM_RSRC2:SCRATCH_EN: 0
; COMPUTE_PGM_RSRC2:USER_SGPR: 6
; COMPUTE_PGM_RSRC2:TRAP_HANDLER: 0
; COMPUTE_PGM_RSRC2:TGID_X_EN: 1
; COMPUTE_PGM_RSRC2:TGID_Y_EN: 1
; COMPUTE_PGM_RSRC2:TGID_Z_EN: 0
; COMPUTE_PGM_RSRC2:TIDIG_COMP_CNT: 1
; COMPUTE_PGM_RSRC3_GFX90A:ACCUM_OFFSET: 36
; COMPUTE_PGM_RSRC3_GFX90A:TG_SPLIT: 0
	.section	.text._ZL8moe_q4_0IN3c104HalfELb1EEvPKvS3_PT_PKiS7_S7_iiiiiii,"axG",@progbits,_ZL8moe_q4_0IN3c104HalfELb1EEvPKvS3_PT_PKiS7_S7_iiiiiii,comdat
	.globl	_ZL8moe_q4_0IN3c104HalfELb1EEvPKvS3_PT_PKiS7_S7_iiiiiii ; -- Begin function _ZL8moe_q4_0IN3c104HalfELb1EEvPKvS3_PT_PKiS7_S7_iiiiiii
	.p2align	8
	.type	_ZL8moe_q4_0IN3c104HalfELb1EEvPKvS3_PT_PKiS7_S7_iiiiiii,@function
_ZL8moe_q4_0IN3c104HalfELb1EEvPKvS3_PT_PKiS7_S7_iiiiiii: ; @_ZL8moe_q4_0IN3c104HalfELb1EEvPKvS3_PT_PKiS7_S7_iiiiiii
; %bb.0:
	s_load_dwordx4 s[0:3], s[4:5], 0x18
	s_mov_b32 s8, s7
	s_mov_b32 s9, 0
	s_lshl_b64 s[10:11], s[8:9], 2
	s_waitcnt lgkmcnt(0)
	s_add_u32 s2, s2, s10
	s_addc_u32 s3, s3, s11
	s_load_dword s2, s[2:3], 0x0
	s_waitcnt lgkmcnt(0)
	s_cmpk_gt_u32 s2, 0xff
	s_cbranch_scc1 .LBB198_19
; %bb.1:
	s_load_dwordx2 s[10:11], s[4:5], 0x28
	s_lshl_b32 s3, s8, 3
	s_waitcnt lgkmcnt(0)
	s_load_dword s7, s[10:11], 0x0
	s_waitcnt lgkmcnt(0)
	s_cmp_gt_u32 s3, s7
	s_cbranch_scc1 .LBB198_19
; %bb.2:
	v_bfe_u32 v1, v0, 10, 10
	v_add_u32_e32 v2, s3, v1
	v_mov_b32_e32 v3, 0
	v_lshlrev_b64 v[4:5], 2, v[2:3]
	v_mov_b32_e32 v2, s1
	v_add_co_u32_e32 v4, vcc, s0, v4
	v_addc_co_u32_e32 v5, vcc, v2, v5, vcc
	global_load_dword v65, v[4:5], off
	s_load_dwordx8 s[8:15], s[4:5], 0x30
	s_load_dwordx2 s[16:17], s[4:5], 0x10
	s_waitcnt lgkmcnt(0)
	s_lshl_b32 s15, s6, 7
	s_cmp_lt_i32 s9, 32
	s_cbranch_scc1 .LBB198_18
; %bb.3:
	s_ashr_i32 s0, s9, 31
	s_lshr_b32 s0, s0, 27
	s_add_i32 s0, s9, s0
	s_ashr_i32 s20, s0, 5
	s_ashr_i32 s0, s12, 31
	s_lshr_b32 s0, s0, 27
	s_add_i32 s0, s12, s0
	s_ashr_i32 s12, s0, 5
	s_not_b32 s0, s15
	s_mul_i32 s8, s2, s8
	s_add_i32 s2, s0, s10
	v_and_b32_e32 v67, 0x3ff, v0
	v_lshlrev_b32_e32 v2, 2, v67
	v_min_i32_e32 v3, s2, v1
	s_movk_i32 s3, 0x84
	v_mul_lo_u32 v5, v3, s20
	v_mad_u64_u32 v[22:23], s[0:1], v3, s3, v[2:3]
	v_add_u32_e32 v3, 8, v1
	v_min_i32_e32 v3, s2, v3
	v_mul_lo_u32 v7, v3, s20
	v_mad_u64_u32 v[24:25], s[0:1], v3, s3, v[2:3]
	v_add_u32_e32 v3, 16, v1
	v_min_i32_e32 v3, s2, v3
	;; [unrolled: 4-line block ×15, first 2 shown]
	v_mul_lo_u32 v21, v3, s20
	v_mad_u64_u32 v[52:53], s[0:1], v3, s3, v[2:3]
	v_lshlrev_b32_e32 v3, 2, v1
	v_lshrrev_b32_e32 v69, 3, v67
	v_add_u32_e32 v23, v69, v3
	v_min_i32_e32 v25, s2, v23
	v_ashrrev_i32_e32 v27, 31, v25
	v_lshrrev_b32_e32 v27, 30, v27
	v_and_b32_e32 v63, 7, v67
	v_mul_lo_u32 v53, v25, s20
	v_add_u32_e32 v27, v25, v27
	v_lshlrev_b32_e32 v100, 5, v25
	v_add_u32_e32 v25, 32, v23
	v_and_b32_e32 v27, -4, v27
	v_lshlrev_b32_e32 v29, 2, v63
	s_movk_i32 s3, 0x4200
	v_min_i32_e32 v25, s2, v25
	v_add3_u32 v97, v27, v29, s3
	v_ashrrev_i32_e32 v27, 31, v25
	v_lshrrev_b32_e32 v27, 30, v27
	v_mul_lo_u32 v59, v25, s20
	v_add_u32_e32 v27, v25, v27
	v_lshlrev_b32_e32 v102, 5, v25
	v_add_u32_e32 v25, 64, v23
	s_load_dwordx4 s[4:7], s[4:5], 0x0
	v_and_b32_e32 v27, -4, v27
	v_min_i32_e32 v25, s2, v25
	v_add3_u32 v101, v27, v29, s3
	v_ashrrev_i32_e32 v27, 31, v25
	v_add_u32_e32 v23, 0x60, v23
	v_lshrrev_b32_e32 v27, 30, v27
	v_min_i32_e32 v23, s2, v23
	v_mul_lo_u32 v61, v25, s20
	v_add_u32_e32 v27, v25, v27
	v_lshlrev_b32_e32 v104, 5, v25
	v_ashrrev_i32_e32 v25, 31, v23
	v_and_b32_e32 v6, 12, v2
	v_lshrrev_b32_e32 v25, 30, v25
	v_and_b32_e32 v2, 28, v2
	v_mul_lo_u32 v96, v23, s20
	v_add_u32_e32 v25, v23, v25
	v_lshlrev_b32_e32 v106, 5, v23
	v_and_b32_e32 v23, 31, v67
	s_waitcnt lgkmcnt(0)
	v_add_co_u32_e32 v54, vcc, s6, v2
	v_lshlrev_b32_e32 v2, 7, v1
	v_lshl_or_b32 v23, v23, 2, v2
	v_add_u32_e32 v71, 0x5280, v23
	v_mov_b32_e32 v23, 0x5680
	v_add_u32_e32 v75, 0x5280, v2
	v_lshl_add_u32 v77, v1, 4, v23
	v_and_b32_e32 v1, 0xfc, v67
	v_lshlrev_b32_e32 v2, 5, v67
	v_or_b32_e32 v3, v3, v67
	v_add3_u32 v81, v2, v1, s3
	v_add_u32_e32 v1, 32, v67
	v_lshl_add_u32 v73, v3, 2, v23
	v_and_b32_e32 v2, 0x1fc, v1
	v_lshlrev_b32_e32 v3, 5, v1
	v_add3_u32 v83, v3, v2, s3
	v_add_u32_e32 v2, 64, v67
	v_and_b32_e32 v3, 0x1fc, v2
	v_lshlrev_b32_e32 v2, 5, v2
	s_abs_i32 s2, s14
	v_add3_u32 v85, v2, v3, s3
	v_cvt_f32_u32_e32 v3, s2
	v_add_u32_e32 v2, 0x60, v67
	v_and_b32_e32 v23, 0x1fc, v2
	v_lshlrev_b32_e32 v2, 5, v2
	v_add3_u32 v87, v2, v23, s3
	v_rcp_iflag_f32_e32 v2, v3
	v_and_b32_e32 v27, -4, v27
	v_and_b32_e32 v25, -4, v25
	v_add3_u32 v103, v27, v29, s3
	v_mul_f32_e32 v2, 0x4f7ffffe, v2
	v_cvt_u32_f32_e32 v2, v2
	v_add3_u32 v105, v25, v29, s3
	s_sub_i32 s3, 0, s2
	s_waitcnt vmcnt(0)
	v_sub_u32_e32 v3, 0, v65
	v_mul_lo_u32 v23, s3, v2
	v_mul_hi_u32 v23, v2, v23
	v_max_i32_e32 v3, v65, v3
	v_add_u32_e32 v2, v2, v23
	v_mul_hi_u32 v2, v3, v2
	v_mov_b32_e32 v25, s7
	v_mul_lo_u32 v23, v2, s2
	v_addc_co_u32_e32 v55, vcc, 0, v25, vcc
	v_sub_u32_e32 v3, v3, v23
	v_add_u32_e32 v23, 1, v2
	v_cmp_le_u32_e32 vcc, s2, v3
	v_cndmask_b32_e32 v2, v2, v23, vcc
	v_subrev_u32_e32 v23, s2, v3
	v_cndmask_b32_e32 v3, v3, v23, vcc
	v_lshrrev_b32_e32 v89, 3, v1
	v_xor_b32_e32 v1, s14, v65
	v_add_u32_e32 v23, 1, v2
	v_cmp_le_u32_e32 vcc, s2, v3
	v_ashrrev_i32_e32 v1, 31, v1
	v_cndmask_b32_e32 v2, v2, v23, vcc
	v_xor_b32_e32 v2, v2, v1
	v_sub_u32_e32 v1, v2, v1
	v_cmp_gt_i32_e64 s[2:3], s11, v1
	v_mul_lo_u32 v1, v1, s12
	v_ashrrev_i32_e32 v2, 31, v1
	v_add_co_u32_e32 v3, vcc, v1, v67
	s_mul_i32 s19, s20, s15
	v_addc_co_u32_e32 v23, vcc, 0, v2, vcc
	v_mad_u64_u32 v[2:3], s[22:23], v3, 36, s[6:7]
	s_movk_i32 s10, 0x90
	v_mad_i32_i24 v3, v23, 36, v3
	v_add_co_u32_e32 v56, vcc, s10, v2
	s_mul_hi_i32 s10, s19, 18
	s_mul_i32 s22, s19, 18
	v_lshrrev_b32_e32 v4, 2, v67
	v_addc_co_u32_e32 v57, vcc, 0, v3, vcc
	v_mov_b32_e32 v2, s22
	v_mov_b32_e32 v3, s10
	v_mad_u64_u32 v[2:3], s[22:23], v4, 18, v[2:3]
	v_mad_i64_i32 v[4:5], s[22:23], v5, 18, v[2:3]
	v_add_u32_e32 v91, v67, v1
	v_add_u32_e32 v93, v89, v1
	;; [unrolled: 1-line block ×3, first 2 shown]
	v_add_co_u32_e32 v1, vcc, v4, v6
	v_addc_co_u32_e32 v4, vcc, 0, v5, vcc
	v_mov_b32_e32 v51, s5
	v_add_co_u32_e32 v1, vcc, s4, v1
	v_addc_co_u32_e32 v4, vcc, v4, v51, vcc
	v_add_co_u32_e32 v58, vcc, 2, v1
	v_addc_co_u32_e32 v1, vcc, 0, v4, vcc
	v_mad_i64_i32 v[4:5], s[22:23], v7, 18, v[2:3]
	v_add_co_u32_e32 v4, vcc, v4, v6
	v_addc_co_u32_e32 v5, vcc, 0, v5, vcc
	v_add_co_u32_e32 v4, vcc, s4, v4
	v_addc_co_u32_e32 v5, vcc, v5, v51, vcc
	v_add_co_u32_e32 v60, vcc, 2, v4
	v_addc_co_u32_e32 v23, vcc, 0, v5, vcc
	v_mad_i64_i32 v[4:5], s[22:23], v8, 18, v[2:3]
	v_add_co_u32_e32 v4, vcc, v4, v6
	v_addc_co_u32_e32 v5, vcc, 0, v5, vcc
	v_add_co_u32_e32 v4, vcc, s4, v4
	v_addc_co_u32_e32 v5, vcc, v5, v51, vcc
	v_add_co_u32_e32 v62, vcc, 2, v4
	v_addc_co_u32_e32 v25, vcc, 0, v5, vcc
	v_mad_i64_i32 v[4:5], s[22:23], v9, 18, v[2:3]
	v_add_co_u32_e32 v4, vcc, v4, v6
	v_addc_co_u32_e32 v5, vcc, 0, v5, vcc
	v_add_co_u32_e32 v4, vcc, s4, v4
	v_addc_co_u32_e32 v5, vcc, v5, v51, vcc
	v_add_co_u32_e32 v64, vcc, 2, v4
	v_addc_co_u32_e32 v27, vcc, 0, v5, vcc
	v_mad_i64_i32 v[4:5], s[22:23], v10, 18, v[2:3]
	v_add_co_u32_e32 v4, vcc, v4, v6
	v_addc_co_u32_e32 v5, vcc, 0, v5, vcc
	v_add_co_u32_e32 v4, vcc, s4, v4
	v_addc_co_u32_e32 v5, vcc, v5, v51, vcc
	v_add_co_u32_e32 v66, vcc, 2, v4
	v_addc_co_u32_e32 v29, vcc, 0, v5, vcc
	v_mad_i64_i32 v[4:5], s[22:23], v11, 18, v[2:3]
	v_add_co_u32_e32 v4, vcc, v4, v6
	v_addc_co_u32_e32 v5, vcc, 0, v5, vcc
	v_add_co_u32_e32 v4, vcc, s4, v4
	v_addc_co_u32_e32 v5, vcc, v5, v51, vcc
	v_add_co_u32_e32 v68, vcc, 2, v4
	v_addc_co_u32_e32 v31, vcc, 0, v5, vcc
	v_mad_i64_i32 v[4:5], s[22:23], v12, 18, v[2:3]
	v_add_co_u32_e32 v4, vcc, v4, v6
	v_addc_co_u32_e32 v5, vcc, 0, v5, vcc
	v_add_co_u32_e32 v4, vcc, s4, v4
	v_addc_co_u32_e32 v5, vcc, v5, v51, vcc
	v_add_co_u32_e32 v70, vcc, 2, v4
	v_addc_co_u32_e32 v33, vcc, 0, v5, vcc
	v_mad_i64_i32 v[4:5], s[22:23], v13, 18, v[2:3]
	v_add_co_u32_e32 v4, vcc, v4, v6
	v_addc_co_u32_e32 v5, vcc, 0, v5, vcc
	v_add_co_u32_e32 v4, vcc, s4, v4
	v_addc_co_u32_e32 v5, vcc, v5, v51, vcc
	v_add_co_u32_e32 v72, vcc, 2, v4
	v_addc_co_u32_e32 v35, vcc, 0, v5, vcc
	v_mad_i64_i32 v[4:5], s[22:23], v14, 18, v[2:3]
	v_add_co_u32_e32 v4, vcc, v4, v6
	v_addc_co_u32_e32 v5, vcc, 0, v5, vcc
	v_add_co_u32_e32 v4, vcc, s4, v4
	v_addc_co_u32_e32 v5, vcc, v5, v51, vcc
	v_add_co_u32_e32 v74, vcc, 2, v4
	v_addc_co_u32_e32 v37, vcc, 0, v5, vcc
	v_mad_i64_i32 v[4:5], s[22:23], v15, 18, v[2:3]
	v_add_co_u32_e32 v4, vcc, v4, v6
	v_addc_co_u32_e32 v5, vcc, 0, v5, vcc
	v_add_co_u32_e32 v4, vcc, s4, v4
	v_addc_co_u32_e32 v5, vcc, v5, v51, vcc
	v_add_co_u32_e32 v76, vcc, 2, v4
	v_addc_co_u32_e32 v39, vcc, 0, v5, vcc
	v_mad_i64_i32 v[4:5], s[22:23], v16, 18, v[2:3]
	v_add_co_u32_e32 v4, vcc, v4, v6
	v_addc_co_u32_e32 v5, vcc, 0, v5, vcc
	v_add_co_u32_e32 v4, vcc, s4, v4
	v_addc_co_u32_e32 v5, vcc, v5, v51, vcc
	v_add_co_u32_e32 v78, vcc, 2, v4
	v_addc_co_u32_e32 v41, vcc, 0, v5, vcc
	v_mad_i64_i32 v[4:5], s[22:23], v17, 18, v[2:3]
	v_add_co_u32_e32 v4, vcc, v4, v6
	v_addc_co_u32_e32 v5, vcc, 0, v5, vcc
	v_add_co_u32_e32 v4, vcc, s4, v4
	v_addc_co_u32_e32 v5, vcc, v5, v51, vcc
	v_add_co_u32_e32 v80, vcc, 2, v4
	v_addc_co_u32_e32 v43, vcc, 0, v5, vcc
	v_mad_i64_i32 v[4:5], s[22:23], v18, 18, v[2:3]
	v_add_co_u32_e32 v4, vcc, v4, v6
	v_addc_co_u32_e32 v5, vcc, 0, v5, vcc
	v_add_co_u32_e32 v4, vcc, s4, v4
	v_addc_co_u32_e32 v5, vcc, v5, v51, vcc
	v_add_co_u32_e32 v82, vcc, 2, v4
	v_addc_co_u32_e32 v45, vcc, 0, v5, vcc
	v_mad_i64_i32 v[4:5], s[22:23], v19, 18, v[2:3]
	v_add_co_u32_e32 v4, vcc, v4, v6
	v_addc_co_u32_e32 v5, vcc, 0, v5, vcc
	v_add_co_u32_e32 v4, vcc, s4, v4
	v_addc_co_u32_e32 v5, vcc, v5, v51, vcc
	v_add_co_u32_e32 v84, vcc, 2, v4
	v_addc_co_u32_e32 v47, vcc, 0, v5, vcc
	v_mad_i64_i32 v[4:5], s[22:23], v20, 18, v[2:3]
	v_add_co_u32_e32 v4, vcc, v4, v6
	v_addc_co_u32_e32 v5, vcc, 0, v5, vcc
	v_add_co_u32_e32 v4, vcc, s4, v4
	v_addc_co_u32_e32 v5, vcc, v5, v51, vcc
	v_add_co_u32_e32 v86, vcc, 2, v4
	v_addc_co_u32_e32 v49, vcc, 0, v5, vcc
	v_mad_i64_i32 v[2:3], s[22:23], v21, 18, v[2:3]
	v_add_co_u32_e32 v2, vcc, v2, v6
	v_addc_co_u32_e32 v3, vcc, 0, v3, vcc
	v_add_co_u32_e32 v2, vcc, s4, v2
	v_addc_co_u32_e32 v3, vcc, v3, v51, vcc
	v_add_co_u32_e32 v88, vcc, 2, v2
	v_addc_co_u32_e32 v51, vcc, 0, v3, vcc
	v_mad_i64_i32 v[2:3], s[22:23], v53, 18, 0
	v_mad_i64_i32 v[2:3], s[22:23], s19, 18, v[2:3]
	v_mad_u64_u32 v[2:3], s[22:23], v63, 18, v[2:3]
	v_mov_b32_e32 v4, s5
	v_add_co_u32_e32 v90, vcc, s4, v2
	v_addc_co_u32_e32 v53, vcc, v4, v3, vcc
	v_mad_i64_i32 v[2:3], s[22:23], v59, 18, 0
	v_mad_i64_i32 v[2:3], s[22:23], s19, 18, v[2:3]
	v_mad_u64_u32 v[2:3], s[22:23], v63, 18, v[2:3]
	v_add_co_u32_e32 v92, vcc, s4, v2
	v_addc_co_u32_e32 v59, vcc, v4, v3, vcc
	v_mad_i64_i32 v[2:3], s[22:23], v61, 18, 0
	v_mad_i64_i32 v[2:3], s[22:23], s19, 18, v[2:3]
	v_mad_u64_u32 v[2:3], s[22:23], v63, 18, v[2:3]
	v_add_co_u32_e32 v94, vcc, s4, v2
	v_addc_co_u32_e32 v61, vcc, v4, v3, vcc
	v_mad_i64_i32 v[2:3], s[22:23], v96, 18, 0
	v_mad_i64_i32 v[2:3], s[22:23], s19, 18, v[2:3]
	s_mov_b32 s18, 0
	v_mad_u64_u32 v[2:3], s[22:23], v63, 18, v[2:3]
	s_ashr_i32 s21, s8, 31
	v_add_co_u32_e32 v96, vcc, s4, v2
	s_mov_b32 s19, s18
	v_cmp_gt_u32_e64 s[0:1], 4, v67
	v_mul_u32_u24_e32 v79, 0x84, v67
	v_addc_co_u32_e32 v63, vcc, v4, v3, vcc
	s_movk_i32 s10, 0x80
	v_pk_mov_b32 v[98:99], s[18:19], s[18:19] op_sel:[0,1]
	v_add_u32_e32 v97, v97, v100
	v_add_u32_e32 v112, v101, v102
	;; [unrolled: 1-line block ×4, first 2 shown]
	v_mov_b32_e32 v115, s21
	v_pk_mov_b32 v[100:101], s[18:19], s[18:19] op_sel:[0,1]
	s_branch .LBB198_6
.LBB198_4:                              ;   in Loop: Header=BB198_6 Depth=1
	s_or_b64 exec, exec, s[4:5]
	s_waitcnt lgkmcnt(0)
	s_barrier
	ds_read_b128 v[2:5], v77
	ds_read_b128 v[14:17], v75
	ds_read_b128 v[18:21], v75 offset:16
	ds_read2_b32 v[104:105], v79 offset0:16 offset1:17
	ds_read_b128 v[6:9], v75 offset:32
	ds_read_b128 v[10:13], v75 offset:48
	v_mov_b32_e32 v137, 0
	v_add_u32_e32 v120, 0x2148, v79
	v_add_u32_e32 v122, 0x31c0, v79
	s_waitcnt lgkmcnt(2)
	v_lshrrev_b32_e32 v103, 4, v104
	v_and_b32_e32 v106, 0xf0f0f0f, v104
	v_and_b32_e32 v104, 0xf0f0f0f, v103
	v_mov_b32_e32 v103, 0
	v_dot4c_i32_i8_e32 v103, v106, v14
	v_dot4c_i32_i8_e32 v103, v104, v18
	v_and_b32_e32 v104, 0xf0f0f0f, v105
	v_lshrrev_b32_e32 v105, 4, v105
	v_and_b32_e32 v106, 0xf0f0f0f, v105
	v_dot4c_i32_i8_e32 v103, v104, v15
	ds_read2_b32 v[104:105], v79 offset0:18 offset1:19
	v_dot4c_i32_i8_e32 v103, v106, v19
	ds_read2_b32 v[106:107], v79 offset0:20 offset1:21
	ds_read2_b32 v[108:109], v79 offset0:22 offset1:23
	;; [unrolled: 1-line block ×3, first 2 shown]
	v_mov_b32_e32 v138, 0
	v_mov_b32_e32 v139, 0
	s_waitcnt lgkmcnt(3)
	v_and_b32_e32 v116, 0xf0f0f0f, v104
	v_dot4c_i32_i8_e32 v103, v116, v16
	v_add_u32_e32 v116, 0x10c0, v79
	ds_read2_b32 v[116:117], v116 offset1:1
	v_lshrrev_b32_e32 v104, 4, v104
	v_and_b32_e32 v104, 0xf0f0f0f, v104
	v_dot4c_i32_i8_e32 v103, v104, v20
	v_and_b32_e32 v104, 0xf0f0f0f, v105
	v_lshrrev_b32_e32 v105, 4, v105
	v_and_b32_e32 v105, 0xf0f0f0f, v105
	v_dot4c_i32_i8_e32 v103, v104, v17
	v_dot4c_i32_i8_e32 v103, v105, v21
	ds_read2_b32 v[104:105], v87 offset0:6 offset1:7
	s_waitcnt lgkmcnt(1)
	v_and_b32_e32 v118, 0xf0f0f0f, v116
	v_lshrrev_b32_e32 v116, 4, v116
	v_and_b32_e32 v116, 0xf0f0f0f, v116
	v_dot4c_i32_i8_e32 v137, v118, v14
	v_dot4c_i32_i8_e32 v137, v116, v18
	v_and_b32_e32 v116, 0xf0f0f0f, v117
	v_lshrrev_b32_e32 v117, 4, v117
	v_and_b32_e32 v117, 0xf0f0f0f, v117
	v_dot4c_i32_i8_e32 v137, v116, v15
	v_add_u32_e32 v116, 0x10c8, v79
	v_dot4c_i32_i8_e32 v137, v117, v19
	ds_read2_b32 v[116:117], v116 offset1:1
	v_add_u32_e32 v118, 0x2140, v79
	ds_read2_b32 v[118:119], v118 offset1:1
	ds_read2_b32 v[120:121], v120 offset1:1
	;; [unrolled: 1-line block ×3, first 2 shown]
	v_mov_b32_e32 v140, 0
	v_mov_b32_e32 v141, 0
	s_waitcnt lgkmcnt(3)
	v_and_b32_e32 v124, 0xf0f0f0f, v116
	v_lshrrev_b32_e32 v116, 4, v116
	v_and_b32_e32 v116, 0xf0f0f0f, v116
	v_dot4c_i32_i8_e32 v137, v124, v16
	v_dot4c_i32_i8_e32 v137, v116, v20
	v_and_b32_e32 v116, 0xf0f0f0f, v117
	v_lshrrev_b32_e32 v117, 4, v117
	v_and_b32_e32 v117, 0xf0f0f0f, v117
	v_dot4c_i32_i8_e32 v137, v116, v17
	s_waitcnt lgkmcnt(2)
	v_lshrrev_b32_e32 v116, 4, v118
	v_dot4c_i32_i8_e32 v137, v117, v21
	v_and_b32_e32 v117, 0xf0f0f0f, v118
	v_and_b32_e32 v118, 0xf0f0f0f, v116
	v_mov_b32_e32 v116, 0
	v_dot4c_i32_i8_e32 v116, v117, v14
	v_dot4c_i32_i8_e32 v116, v118, v18
	v_and_b32_e32 v117, 0xf0f0f0f, v119
	v_lshrrev_b32_e32 v118, 4, v119
	v_and_b32_e32 v118, 0xf0f0f0f, v118
	v_dot4c_i32_i8_e32 v116, v117, v15
	v_dot4c_i32_i8_e32 v116, v118, v19
	s_waitcnt lgkmcnt(1)
	v_and_b32_e32 v117, 0xf0f0f0f, v120
	v_lshrrev_b32_e32 v118, 4, v120
	v_and_b32_e32 v118, 0xf0f0f0f, v118
	v_dot4c_i32_i8_e32 v116, v117, v16
	v_dot4c_i32_i8_e32 v116, v118, v20
	v_and_b32_e32 v117, 0xf0f0f0f, v121
	v_lshrrev_b32_e32 v118, 4, v121
	v_and_b32_e32 v118, 0xf0f0f0f, v118
	v_dot4c_i32_i8_e32 v116, v117, v17
	s_waitcnt lgkmcnt(0)
	v_lshrrev_b32_e32 v117, 4, v122
	v_dot4c_i32_i8_e32 v116, v118, v21
	v_and_b32_e32 v118, 0xf0f0f0f, v122
	v_and_b32_e32 v119, 0xf0f0f0f, v117
	v_mov_b32_e32 v117, 0
	v_dot4c_i32_i8_e32 v117, v118, v14
	v_dot4c_i32_i8_e32 v117, v119, v18
	v_and_b32_e32 v14, 0xf0f0f0f, v123
	v_dot4c_i32_i8_e32 v117, v14, v15
	v_add_u32_e32 v14, 0x31c8, v79
	ds_read2_b32 v[14:15], v14 offset1:1
	v_lshrrev_b32_e32 v18, 4, v123
	v_and_b32_e32 v18, 0xf0f0f0f, v18
	v_dot4c_i32_i8_e32 v117, v18, v19
	v_add_u32_e32 v18, 0x10d0, v79
	s_waitcnt lgkmcnt(0)
	v_and_b32_e32 v122, 0xf0f0f0f, v14
	v_lshrrev_b32_e32 v14, 4, v14
	v_and_b32_e32 v14, 0xf0f0f0f, v14
	v_dot4c_i32_i8_e32 v117, v122, v16
	v_dot4c_i32_i8_e32 v117, v14, v20
	v_and_b32_e32 v14, 0xf0f0f0f, v15
	v_lshrrev_b32_e32 v15, 4, v15
	v_and_b32_e32 v15, 0xf0f0f0f, v15
	v_dot4c_i32_i8_e32 v117, v14, v17
	v_cvt_f32_f16_sdwa v16, v3 dst_sel:DWORD dst_unused:UNUSED_PAD src0_sel:WORD_1
	v_dot4c_i32_i8_e32 v117, v15, v21
	v_cvt_f32_f16_e32 v14, v3
	v_and_b32_e32 v3, 0xf0f0f0f, v106
	v_lshrrev_b32_e32 v15, 4, v106
	v_mov_b32_e32 v17, 0
	v_and_b32_e32 v15, 0xf0f0f0f, v15
	v_dot4c_i32_i8_e32 v17, v3, v6
	v_dot4c_i32_i8_e32 v17, v15, v10
	v_and_b32_e32 v3, 0xf0f0f0f, v107
	v_lshrrev_b32_e32 v15, 4, v107
	v_and_b32_e32 v15, 0xf0f0f0f, v15
	v_dot4c_i32_i8_e32 v17, v3, v7
	v_add_u32_e32 v118, 0x10d8, v79
	v_add_u32_e32 v120, 0x2150, v79
	v_dot4c_i32_i8_e32 v17, v15, v11
	v_and_b32_e32 v3, 0xf0f0f0f, v108
	v_lshrrev_b32_e32 v15, 4, v108
	ds_read2_b32 v[18:19], v18 offset1:1
	ds_read2_b32 v[118:119], v118 offset1:1
	;; [unrolled: 1-line block ×3, first 2 shown]
	v_and_b32_e32 v15, 0xf0f0f0f, v15
	v_dot4c_i32_i8_e32 v17, v3, v8
	v_dot4c_i32_i8_e32 v17, v15, v12
	v_and_b32_e32 v3, 0xf0f0f0f, v109
	v_lshrrev_b32_e32 v15, 4, v109
	v_and_b32_e32 v15, 0xf0f0f0f, v15
	v_dot4c_i32_i8_e32 v17, v3, v9
	v_dot4c_i32_i8_e32 v17, v15, v13
	s_waitcnt lgkmcnt(2)
	v_and_b32_e32 v3, 0xf0f0f0f, v18
	v_lshrrev_b32_e32 v15, 4, v18
	v_and_b32_e32 v15, 0xf0f0f0f, v15
	v_dot4c_i32_i8_e32 v138, v3, v6
	v_dot4c_i32_i8_e32 v138, v15, v10
	v_and_b32_e32 v3, 0xf0f0f0f, v19
	v_lshrrev_b32_e32 v15, 4, v19
	v_and_b32_e32 v15, 0xf0f0f0f, v15
	v_dot4c_i32_i8_e32 v138, v3, v7
	v_dot4c_i32_i8_e32 v138, v15, v11
	s_waitcnt lgkmcnt(1)
	v_and_b32_e32 v3, 0xf0f0f0f, v118
	v_lshrrev_b32_e32 v15, 4, v118
	;; [unrolled: 11-line block ×3, first 2 shown]
	v_and_b32_e32 v15, 0xf0f0f0f, v15
	v_dot4c_i32_i8_e32 v139, v3, v6
	v_dot4c_i32_i8_e32 v139, v15, v10
	v_and_b32_e32 v3, 0xf0f0f0f, v121
	v_dot4c_i32_i8_e32 v139, v3, v7
	v_add_u32_e32 v3, 0x2158, v79
	ds_read2_b32 v[18:19], v3 offset1:1
	v_lshrrev_b32_e32 v15, 4, v121
	v_and_b32_e32 v15, 0xf0f0f0f, v15
	v_dot4c_i32_i8_e32 v139, v15, v11
	v_add_u32_e32 v15, 0x31d0, v79
	v_add_u32_e32 v106, 0x31d8, v79
	;; [unrolled: 1-line block ×3, first 2 shown]
	ds_read2_b32 v[20:21], v15 offset1:1
	ds_read2_b32 v[106:107], v106 offset1:1
	;; [unrolled: 1-line block ×3, first 2 shown]
	s_waitcnt lgkmcnt(3)
	v_and_b32_e32 v3, 0xf0f0f0f, v18
	v_lshrrev_b32_e32 v15, 4, v18
	v_and_b32_e32 v15, 0xf0f0f0f, v15
	v_dot4c_i32_i8_e32 v139, v3, v8
	v_dot4c_i32_i8_e32 v139, v15, v12
	v_and_b32_e32 v3, 0xf0f0f0f, v19
	v_lshrrev_b32_e32 v15, 4, v19
	v_and_b32_e32 v15, 0xf0f0f0f, v15
	v_dot4c_i32_i8_e32 v139, v3, v9
	v_dot4c_i32_i8_e32 v139, v15, v13
	s_waitcnt lgkmcnt(2)
	v_and_b32_e32 v3, 0xf0f0f0f, v20
	v_lshrrev_b32_e32 v15, 4, v20
	v_and_b32_e32 v15, 0xf0f0f0f, v15
	v_dot4c_i32_i8_e32 v140, v3, v6
	v_dot4c_i32_i8_e32 v140, v15, v10
	v_and_b32_e32 v3, 0xf0f0f0f, v21
	v_lshrrev_b32_e32 v6, 4, v21
	v_and_b32_e32 v6, 0xf0f0f0f, v6
	v_dot4c_i32_i8_e32 v140, v3, v7
	v_dot4c_i32_i8_e32 v140, v6, v11
	s_waitcnt lgkmcnt(1)
	v_and_b32_e32 v3, 0xf0f0f0f, v106
	v_lshrrev_b32_e32 v6, 4, v106
	v_and_b32_e32 v6, 0xf0f0f0f, v6
	v_dot4c_i32_i8_e32 v140, v3, v8
	v_dot4c_i32_i8_e32 v140, v6, v12
	v_and_b32_e32 v3, 0xf0f0f0f, v107
	v_dot4c_i32_i8_e32 v140, v3, v9
	v_cvt_f32_f16_sdwa v3, v4 dst_sel:DWORD dst_unused:UNUSED_PAD src0_sel:WORD_1
	ds_read_b128 v[118:121], v75 offset:64
	ds_read_b128 v[122:125], v75 offset:80
	v_lshrrev_b32_e32 v6, 4, v107
	v_and_b32_e32 v6, 0xf0f0f0f, v6
	ds_read2_b32 v[8:9], v85 offset0:4 offset1:5
	ds_read2_b32 v[18:19], v83 offset0:6 offset1:7
	;; [unrolled: 1-line block ×5, first 2 shown]
	v_dot4c_i32_i8_e32 v140, v6, v13
	v_mul_f32_e32 v6, 0x41000000, v3
	v_and_b32_e32 v3, 0xf0f0f0f, v110
	v_lshrrev_b32_e32 v7, 4, v110
	v_mov_b32_e32 v15, 0
	v_and_b32_e32 v7, 0xf0f0f0f, v7
	s_waitcnt lgkmcnt(6)
	v_dot4c_i32_i8_e32 v15, v3, v118
	s_waitcnt lgkmcnt(5)
	v_dot4c_i32_i8_e32 v15, v7, v122
	v_and_b32_e32 v3, 0xf0f0f0f, v111
	v_lshrrev_b32_e32 v7, 4, v111
	v_and_b32_e32 v7, 0xf0f0f0f, v7
	v_dot4c_i32_i8_e32 v15, v3, v119
	v_dot4c_i32_i8_e32 v15, v7, v123
	s_waitcnt lgkmcnt(0)
	v_and_b32_e32 v3, 0xf0f0f0f, v10
	v_lshrrev_b32_e32 v7, 4, v10
	v_and_b32_e32 v7, 0xf0f0f0f, v7
	v_dot4c_i32_i8_e32 v15, v3, v120
	v_dot4c_i32_i8_e32 v15, v7, v124
	v_and_b32_e32 v3, 0xf0f0f0f, v11
	v_lshrrev_b32_e32 v7, 4, v11
	v_and_b32_e32 v7, 0xf0f0f0f, v7
	v_dot4c_i32_i8_e32 v15, v3, v121
	v_dot4c_i32_i8_e32 v15, v7, v125
	;; [unrolled: 5-line block ×3, first 2 shown]
	v_and_b32_e32 v3, 0xf0f0f0f, v109
	v_dot4c_i32_i8_e32 v141, v3, v119
	v_add_u32_e32 v3, 0x10e8, v79
	ds_read2_b32 v[126:127], v79 offset0:28 offset1:29
	ds_read2_b32 v[128:129], v81 offset0:4 offset1:5
	;; [unrolled: 1-line block ×3, first 2 shown]
	ds_read2_b32 v[10:11], v3 offset1:1
	v_lshrrev_b32_e32 v7, 4, v109
	v_and_b32_e32 v7, 0xf0f0f0f, v7
	v_dot4c_i32_i8_e32 v141, v7, v123
	v_add_u32_e32 v7, 0x2160, v79
	v_add_u32_e32 v3, 0x31e0, v79
	;; [unrolled: 1-line block ×3, first 2 shown]
	ds_read2_b32 v[108:109], v7 offset1:1
	ds_read2_b32 v[110:111], v12 offset1:1
	ds_read2_b32 v[132:133], v3 offset1:1
	s_waitcnt lgkmcnt(3)
	v_and_b32_e32 v3, 0xf0f0f0f, v10
	v_lshrrev_b32_e32 v7, 4, v10
	v_and_b32_e32 v7, 0xf0f0f0f, v7
	v_dot4c_i32_i8_e32 v141, v3, v120
	v_dot4c_i32_i8_e32 v141, v7, v124
	v_and_b32_e32 v3, 0xf0f0f0f, v11
	v_lshrrev_b32_e32 v7, 4, v11
	v_and_b32_e32 v7, 0xf0f0f0f, v7
	v_dot4c_i32_i8_e32 v141, v3, v121
	v_dot4c_i32_i8_e32 v141, v7, v125
	s_waitcnt lgkmcnt(2)
	v_and_b32_e32 v3, 0xf0f0f0f, v108
	v_lshrrev_b32_e32 v7, 4, v108
	v_mov_b32_e32 v142, 0
	v_and_b32_e32 v7, 0xf0f0f0f, v7
	v_dot4c_i32_i8_e32 v142, v3, v118
	v_dot4c_i32_i8_e32 v142, v7, v122
	v_and_b32_e32 v3, 0xf0f0f0f, v109
	v_lshrrev_b32_e32 v7, 4, v109
	v_and_b32_e32 v7, 0xf0f0f0f, v7
	v_dot4c_i32_i8_e32 v142, v3, v119
	v_dot4c_i32_i8_e32 v142, v7, v123
	s_waitcnt lgkmcnt(1)
	v_and_b32_e32 v3, 0xf0f0f0f, v110
	v_lshrrev_b32_e32 v7, 4, v110
	v_and_b32_e32 v7, 0xf0f0f0f, v7
	v_dot4c_i32_i8_e32 v142, v3, v120
	v_dot4c_i32_i8_e32 v142, v7, v124
	v_and_b32_e32 v3, 0xf0f0f0f, v111
	v_lshrrev_b32_e32 v7, 4, v111
	v_and_b32_e32 v7, 0xf0f0f0f, v7
	v_dot4c_i32_i8_e32 v142, v3, v121
	v_dot4c_i32_i8_e32 v142, v7, v125
	s_waitcnt lgkmcnt(0)
	v_and_b32_e32 v3, 0xf0f0f0f, v132
	v_lshrrev_b32_e32 v7, 4, v132
	v_mov_b32_e32 v143, 0
	v_and_b32_e32 v7, 0xf0f0f0f, v7
	v_dot4c_i32_i8_e32 v143, v3, v118
	v_dot4c_i32_i8_e32 v143, v7, v122
	v_and_b32_e32 v3, 0xf0f0f0f, v133
	v_dot4c_i32_i8_e32 v143, v3, v119
	v_add_u32_e32 v3, 0x31e8, v79
	ds_read2_b32 v[12:13], v87 offset0:4 offset1:5
	ds_read2_b32 v[10:11], v85 offset0:6 offset1:7
	ds_read2_b32 v[108:109], v3 offset1:1
	v_lshrrev_b32_e32 v7, 4, v133
	v_and_b32_e32 v7, 0xf0f0f0f, v7
	v_dot4c_i32_i8_e32 v143, v7, v123
	v_add_u32_e32 v7, 0x10f0, v79
	v_add_u32_e32 v3, 0x2170, v79
	;; [unrolled: 1-line block ×3, first 2 shown]
	ds_read2_b32 v[122:123], v7 offset1:1
	ds_read2_b32 v[132:133], v110 offset1:1
	;; [unrolled: 1-line block ×3, first 2 shown]
	s_waitcnt lgkmcnt(3)
	v_and_b32_e32 v3, 0xf0f0f0f, v108
	v_lshrrev_b32_e32 v7, 4, v108
	v_and_b32_e32 v7, 0xf0f0f0f, v7
	v_dot4c_i32_i8_e32 v143, v3, v120
	v_dot4c_i32_i8_e32 v143, v7, v124
	v_and_b32_e32 v3, 0xf0f0f0f, v109
	v_dot4c_i32_i8_e32 v143, v3, v121
	v_cvt_f32_f16_sdwa v3, v5 dst_sel:DWORD dst_unused:UNUSED_PAD src0_sel:WORD_1
	v_lshrrev_b32_e32 v7, 4, v109
	ds_read_b128 v[108:111], v75 offset:96
	ds_read_b128 v[118:121], v75 offset:112
	v_and_b32_e32 v7, 0xf0f0f0f, v7
	v_dot4c_i32_i8_e32 v143, v7, v125
	v_cvt_f32_f16_e32 v124, v5
	v_mul_f32_e32 v136, 0x41000000, v3
	v_and_b32_e32 v3, 0xf0f0f0f, v126
	v_lshrrev_b32_e32 v5, 4, v126
	v_mov_b32_e32 v7, 0
	v_and_b32_e32 v5, 0xf0f0f0f, v5
	s_waitcnt lgkmcnt(1)
	v_dot4c_i32_i8_e32 v7, v3, v108
	s_waitcnt lgkmcnt(0)
	v_dot4c_i32_i8_e32 v7, v5, v118
	v_and_b32_e32 v3, 0xf0f0f0f, v127
	v_lshrrev_b32_e32 v5, 4, v127
	v_and_b32_e32 v5, 0xf0f0f0f, v5
	v_dot4c_i32_i8_e32 v7, v3, v109
	v_dot4c_i32_i8_e32 v7, v5, v119
	v_and_b32_e32 v3, 0xf0f0f0f, v130
	v_lshrrev_b32_e32 v5, 4, v130
	v_and_b32_e32 v5, 0xf0f0f0f, v5
	v_dot4c_i32_i8_e32 v7, v3, v110
	;; [unrolled: 5-line block ×3, first 2 shown]
	v_dot4c_i32_i8_e32 v7, v5, v121
	v_and_b32_e32 v3, 0xf0f0f0f, v122
	v_lshrrev_b32_e32 v5, 4, v122
	v_mov_b32_e32 v125, 0
	v_cvt_f32_f16_sdwa v102, v2 dst_sel:DWORD dst_unused:UNUSED_PAD src0_sel:WORD_1
	v_and_b32_e32 v5, 0xf0f0f0f, v5
	v_dot4c_i32_i8_e32 v125, v3, v108
	v_cvt_f32_f16_e32 v2, v2
	v_dot4c_i32_i8_e32 v125, v5, v118
	v_and_b32_e32 v3, 0xf0f0f0f, v123
	v_lshrrev_b32_e32 v5, 4, v123
	v_cvt_f32_i32_e32 v123, v137
	v_cvt_f32_i32_e32 v122, v103
	v_and_b32_e32 v5, 0xf0f0f0f, v5
	v_dot4c_i32_i8_e32 v125, v3, v109
	v_dot4c_i32_i8_e32 v125, v5, v119
	v_and_b32_e32 v3, 0xf0f0f0f, v132
	v_mul_f32_e32 v102, 0x41000000, v102
	v_dot4c_i32_i8_e32 v125, v3, v110
	v_and_b32_e32 v3, 0xf0f0f0f, v133
	v_lshrrev_b32_e32 v5, 4, v132
	v_pk_fma_f32 v[122:123], v[2:3], v[122:123], v[102:103] op_sel_hi:[0,1,0] neg_lo:[0,0,1] neg_hi:[0,0,1]
	v_mov_b32_e32 v126, v128
	v_mov_b32_e32 v127, v106
	v_cvt_f32_i32_e32 v131, v138
	v_cvt_f32_i32_e32 v130, v17
	v_cvt_f32_f16_e32 v4, v4
	v_and_b32_e32 v5, 0xf0f0f0f, v5
	v_pk_fma_f32 v[98:99], v[126:127], v[122:123], v[98:99]
	v_cvt_f32_i32_e32 v123, v141
	v_cvt_f32_i32_e32 v122, v15
	v_dot4c_i32_i8_e32 v125, v5, v120
	v_lshrrev_b32_e32 v5, 4, v133
	v_mul_f32_e32 v16, 0x41000000, v16
	v_and_b32_e32 v5, 0xf0f0f0f, v5
	v_dot4c_i32_i8_e32 v125, v3, v111
	v_dot4c_i32_i8_e32 v125, v5, v121
	v_pk_fma_f32 v[126:127], v[14:15], v[130:131], v[16:17] op_sel_hi:[0,1,0] neg_lo:[0,0,1] neg_hi:[0,0,1]
	v_mov_b32_e32 v106, v129
	v_pk_fma_f32 v[98:99], v[106:107], v[126:127], v[98:99]
	v_pk_fma_f32 v[106:107], v[4:5], v[122:123], v[6:7] op_sel_hi:[0,1,0] neg_lo:[0,0,1] neg_hi:[0,0,1]
	v_cvt_f32_i32_e32 v123, v125
	v_cvt_f32_i32_e32 v122, v7
	v_and_b32_e32 v3, 0xf0f0f0f, v134
	v_lshrrev_b32_e32 v5, 4, v134
	v_mov_b32_e32 v17, 0
	v_and_b32_e32 v5, 0xf0f0f0f, v5
	v_dot4c_i32_i8_e32 v17, v3, v108
	v_mov_b32_e32 v126, v20
	v_mov_b32_e32 v127, v18
	v_dot4c_i32_i8_e32 v17, v5, v118
	v_and_b32_e32 v3, 0xf0f0f0f, v135
	v_pk_fma_f32 v[98:99], v[126:127], v[106:107], v[98:99]
	v_pk_fma_f32 v[106:107], v[124:125], v[122:123], v[136:137] op_sel_hi:[0,1,0] neg_lo:[0,0,1] neg_hi:[0,0,1]
	v_mov_b32_e32 v18, v21
	v_dot4c_i32_i8_e32 v17, v3, v109
	v_add_u32_e32 v3, 0x2178, v79
	v_pk_fma_f32 v[98:99], v[18:19], v[106:107], v[98:99]
	ds_read2_b32 v[18:19], v3 offset1:1
	v_lshrrev_b32_e32 v5, 4, v135
	v_and_b32_e32 v5, 0xf0f0f0f, v5
	v_dot4c_i32_i8_e32 v17, v5, v119
	v_add_u32_e32 v3, 0x31f0, v79
	v_add_u32_e32 v5, 0x31f8, v79
	ds_read2_b32 v[20:21], v3 offset1:1
	ds_read2_b32 v[106:107], v5 offset1:1
	s_waitcnt lgkmcnt(2)
	v_and_b32_e32 v3, 0xf0f0f0f, v18
	v_lshrrev_b32_e32 v5, 4, v18
	v_and_b32_e32 v5, 0xf0f0f0f, v5
	v_dot4c_i32_i8_e32 v17, v3, v110
	v_dot4c_i32_i8_e32 v17, v5, v120
	v_and_b32_e32 v3, 0xf0f0f0f, v19
	v_lshrrev_b32_e32 v5, 4, v19
	v_and_b32_e32 v5, 0xf0f0f0f, v5
	v_dot4c_i32_i8_e32 v17, v3, v111
	v_dot4c_i32_i8_e32 v17, v5, v121
	s_waitcnt lgkmcnt(1)
	v_and_b32_e32 v3, 0xf0f0f0f, v20
	v_lshrrev_b32_e32 v5, 4, v20
	v_mov_b32_e32 v7, 0
	v_and_b32_e32 v5, 0xf0f0f0f, v5
	v_dot4c_i32_i8_e32 v7, v3, v108
	v_dot4c_i32_i8_e32 v7, v5, v118
	v_and_b32_e32 v3, 0xf0f0f0f, v21
	v_lshrrev_b32_e32 v5, 4, v21
	v_and_b32_e32 v5, 0xf0f0f0f, v5
	v_dot4c_i32_i8_e32 v7, v3, v109
	v_cvt_f32_i32_e32 v19, v117
	v_cvt_f32_i32_e32 v18, v116
	v_dot4c_i32_i8_e32 v7, v5, v119
	s_waitcnt lgkmcnt(0)
	v_and_b32_e32 v3, 0xf0f0f0f, v106
	v_lshrrev_b32_e32 v5, 4, v106
	v_and_b32_e32 v5, 0xf0f0f0f, v5
	v_dot4c_i32_i8_e32 v7, v3, v110
	v_dot4c_i32_i8_e32 v7, v5, v120
	v_and_b32_e32 v3, 0xf0f0f0f, v107
	v_dot4c_i32_i8_e32 v7, v3, v111
	v_pk_fma_f32 v[2:3], v[2:3], v[18:19], v[102:103] op_sel_hi:[0,1,0] neg_lo:[0,0,1] neg_hi:[0,0,1]
	v_mov_b32_e32 v18, v8
	v_mov_b32_e32 v19, v12
	v_pk_fma_f32 v[2:3], v[18:19], v[2:3], v[100:101]
	v_cvt_f32_i32_e32 v19, v143
	v_cvt_f32_i32_e32 v18, v142
	v_lshrrev_b32_e32 v5, 4, v107
	v_and_b32_e32 v5, 0xf0f0f0f, v5
	v_cvt_f32_i32_e32 v21, v140
	v_cvt_f32_i32_e32 v20, v139
	v_dot4c_i32_i8_e32 v7, v5, v121
	v_mov_b32_e32 v12, v9
	v_mov_b32_e32 v8, v10
	v_pk_fma_f32 v[14:15], v[14:15], v[20:21], v[16:17] op_sel_hi:[0,1,0] neg_lo:[0,0,1] neg_hi:[0,0,1]
	v_pk_fma_f32 v[4:5], v[4:5], v[18:19], v[6:7] op_sel_hi:[0,1,0] neg_lo:[0,0,1] neg_hi:[0,0,1]
	v_cvt_f32_i32_e32 v7, v7
	v_cvt_f32_i32_e32 v6, v17
	v_pk_fma_f32 v[2:3], v[12:13], v[14:15], v[2:3]
	v_mov_b32_e32 v9, v104
	v_pk_fma_f32 v[2:3], v[8:9], v[4:5], v[2:3]
	v_pk_fma_f32 v[4:5], v[124:125], v[6:7], v[136:137] op_sel_hi:[0,1,0] neg_lo:[0,0,1] neg_hi:[0,0,1]
	v_mov_b32_e32 v104, v11
	v_pk_fma_f32 v[100:101], v[104:105], v[4:5], v[2:3]
	s_barrier
.LBB198_5:                              ;   in Loop: Header=BB198_6 Depth=1
	v_add_co_u32_e32 v56, vcc, 0x120, v56
	v_addc_co_u32_e32 v57, vcc, 0, v57, vcc
	v_add_co_u32_e32 v58, vcc, 0x90, v58
	v_addc_co_u32_e32 v1, vcc, 0, v1, vcc
	;; [unrolled: 2-line block ×20, first 2 shown]
	s_add_i32 s18, s18, 8
	s_addk_i32 s10, 0x100
	v_add_co_u32_e32 v96, vcc, 0x90, v96
	s_cmp_ge_i32 s18, s20
	v_addc_co_u32_e32 v63, vcc, 0, v63, vcc
	s_cbranch_scc1 .LBB198_20
.LBB198_6:                              ; =>This Inner Loop Header: Depth=1
	v_add_co_u32_e32 v2, vcc, s8, v58
	v_addc_co_u32_e32 v3, vcc, v1, v115, vcc
	global_load_dword v4, v[2:3], off
	v_add_co_u32_e32 v2, vcc, s8, v60
	v_addc_co_u32_e32 v3, vcc, v23, v115, vcc
	global_load_dword v5, v[2:3], off
	;; [unrolled: 3-line block ×16, first 2 shown]
	v_add_co_u32_e32 v2, vcc, s8, v90
	v_addc_co_u32_e32 v3, vcc, v53, v115, vcc
	global_load_ushort v20, v[2:3], off
	v_add_co_u32_e32 v2, vcc, s8, v92
	v_addc_co_u32_e32 v3, vcc, v59, v115, vcc
	global_load_ushort v21, v[2:3], off
	;; [unrolled: 3-line block ×4, first 2 shown]
	s_waitcnt vmcnt(19)
	ds_write_b32 v22, v4
	s_waitcnt vmcnt(18)
	ds_write_b32 v24, v5
	;; [unrolled: 2-line block ×15, first 2 shown]
	s_add_i32 s4, s10, 0xffffff80
	s_cmp_lt_i32 s4, s9
	s_waitcnt vmcnt(4)
	ds_write_b32 v52, v19
	s_waitcnt vmcnt(3)
	v_cvt_f32_f16_e32 v3, v20
	s_waitcnt vmcnt(2)
	v_cvt_f32_f16_e32 v4, v21
	ds_write_b32 v97, v3
	ds_write_b32 v112, v4
	s_waitcnt vmcnt(1)
	v_cvt_f32_f16_e32 v5, v102
	ds_write_b32 v113, v5
	s_waitcnt vmcnt(0)
	v_cvt_f32_f16_e32 v2, v2
	ds_write_b32 v114, v2
	s_cbranch_scc0 .LBB198_5
; %bb.7:                                ;   in Loop: Header=BB198_6 Depth=1
	v_add_u32_e32 v2, s18, v69
	v_cmp_gt_i32_e32 vcc, s12, v2
	s_and_b64 s[22:23], s[2:3], vcc
	s_and_saveexec_b64 s[4:5], s[22:23]
	s_cbranch_execz .LBB198_9
; %bb.8:                                ;   in Loop: Header=BB198_6 Depth=1
	v_add_u32_e32 v2, s18, v95
	v_mad_i64_i32 v[2:3], s[22:23], v2, 36, v[54:55]
	global_load_dword v2, v[2:3], off offset:4
	s_waitcnt vmcnt(0)
	ds_write_b32 v71, v2
.LBB198_9:                              ;   in Loop: Header=BB198_6 Depth=1
	s_or_b64 exec, exec, s[4:5]
	s_and_saveexec_b64 s[4:5], s[0:1]
	s_cbranch_execz .LBB198_12
; %bb.10:                               ;   in Loop: Header=BB198_6 Depth=1
	v_add_u32_e32 v2, s18, v67
	v_cmp_gt_i32_e32 vcc, s12, v2
	s_and_b64 s[22:23], s[2:3], vcc
	s_and_b64 exec, exec, s[22:23]
	s_cbranch_execz .LBB198_12
; %bb.11:                               ;   in Loop: Header=BB198_6 Depth=1
	v_add_u32_e32 v2, s18, v91
	v_mad_i64_i32 v[2:3], s[22:23], v2, 36, s[6:7]
	global_load_dword v2, v[2:3], off
	s_waitcnt vmcnt(0)
	ds_write_b32 v73, v2
.LBB198_12:                             ;   in Loop: Header=BB198_6 Depth=1
	s_or_b64 exec, exec, s[4:5]
	s_waitcnt lgkmcnt(0)
	s_barrier
	ds_read_b128 v[2:5], v77
	ds_read_b128 v[14:17], v75
	ds_read_b128 v[18:21], v75 offset:16
	ds_read2_b32 v[102:103], v79 offset1:1
	ds_read_b128 v[6:9], v75 offset:32
	ds_read_b128 v[10:13], v75 offset:48
	v_mov_b32_e32 v124, 0
	v_mov_b32_e32 v125, 0
	s_waitcnt lgkmcnt(2)
	v_and_b32_e32 v105, 0xf0f0f0f, v102
	v_lshrrev_b32_e32 v102, 4, v102
	v_and_b32_e32 v102, 0xf0f0f0f, v102
	v_dot4c_i32_i8_e32 v124, v105, v14
	v_dot4c_i32_i8_e32 v124, v102, v18
	v_and_b32_e32 v102, 0xf0f0f0f, v103
	v_lshrrev_b32_e32 v103, 4, v103
	v_and_b32_e32 v105, 0xf0f0f0f, v103
	v_dot4c_i32_i8_e32 v124, v102, v15
	ds_read2_b32 v[102:103], v79 offset0:2 offset1:3
	v_dot4c_i32_i8_e32 v124, v105, v19
	ds_read2_b32 v[106:107], v79 offset0:4 offset1:5
	ds_read2_b32 v[108:109], v79 offset0:6 offset1:7
	;; [unrolled: 1-line block ×3, first 2 shown]
	v_add_u32_e32 v118, 0x2100, v79
	v_add_u32_e32 v120, 0x2108, v79
	s_waitcnt lgkmcnt(3)
	v_and_b32_e32 v105, 0xf0f0f0f, v102
	v_dot4c_i32_i8_e32 v124, v105, v16
	v_add_u32_e32 v105, 0x1080, v79
	ds_read2_b32 v[116:117], v105 offset1:1
	v_lshrrev_b32_e32 v102, 4, v102
	v_and_b32_e32 v102, 0xf0f0f0f, v102
	v_dot4c_i32_i8_e32 v124, v102, v20
	v_and_b32_e32 v102, 0xf0f0f0f, v103
	v_lshrrev_b32_e32 v103, 4, v103
	v_and_b32_e32 v103, 0xf0f0f0f, v103
	v_dot4c_i32_i8_e32 v124, v102, v17
	v_dot4c_i32_i8_e32 v124, v103, v21
	ds_read2_b32 v[102:103], v87 offset0:2 offset1:3
	s_waitcnt lgkmcnt(1)
	v_and_b32_e32 v105, 0xf0f0f0f, v116
	v_lshrrev_b32_e32 v116, 4, v116
	v_and_b32_e32 v116, 0xf0f0f0f, v116
	v_dot4c_i32_i8_e32 v125, v105, v14
	v_dot4c_i32_i8_e32 v125, v116, v18
	v_and_b32_e32 v105, 0xf0f0f0f, v117
	v_lshrrev_b32_e32 v116, 4, v117
	v_and_b32_e32 v116, 0xf0f0f0f, v116
	v_dot4c_i32_i8_e32 v125, v105, v15
	v_add_u32_e32 v105, 0x1088, v79
	v_dot4c_i32_i8_e32 v125, v116, v19
	ds_read2_b32 v[116:117], v105 offset1:1
	v_add_u32_e32 v105, 0x3180, v79
	ds_read2_b32 v[118:119], v118 offset1:1
	ds_read2_b32 v[120:121], v120 offset1:1
	;; [unrolled: 1-line block ×3, first 2 shown]
	v_cvt_f32_f16_e32 v104, v2
	v_cvt_f32_f16_sdwa v2, v2 dst_sel:DWORD dst_unused:UNUSED_PAD src0_sel:WORD_1
	s_waitcnt lgkmcnt(3)
	v_and_b32_e32 v105, 0xf0f0f0f, v116
	v_lshrrev_b32_e32 v116, 4, v116
	v_and_b32_e32 v116, 0xf0f0f0f, v116
	v_dot4c_i32_i8_e32 v125, v105, v16
	v_dot4c_i32_i8_e32 v125, v116, v20
	v_and_b32_e32 v105, 0xf0f0f0f, v117
	v_lshrrev_b32_e32 v116, 4, v117
	v_and_b32_e32 v116, 0xf0f0f0f, v116
	v_dot4c_i32_i8_e32 v125, v105, v17
	v_dot4c_i32_i8_e32 v125, v116, v21
	v_cvt_f32_i32_e32 v116, v124
	s_waitcnt lgkmcnt(2)
	v_and_b32_e32 v105, 0xf0f0f0f, v118
	v_lshrrev_b32_e32 v118, 4, v118
	v_mov_b32_e32 v124, 0
	v_and_b32_e32 v118, 0xf0f0f0f, v118
	v_dot4c_i32_i8_e32 v124, v105, v14
	v_dot4c_i32_i8_e32 v124, v118, v18
	v_and_b32_e32 v105, 0xf0f0f0f, v119
	v_lshrrev_b32_e32 v118, 4, v119
	v_and_b32_e32 v118, 0xf0f0f0f, v118
	v_dot4c_i32_i8_e32 v124, v105, v15
	v_dot4c_i32_i8_e32 v124, v118, v19
	s_waitcnt lgkmcnt(1)
	v_and_b32_e32 v105, 0xf0f0f0f, v120
	v_lshrrev_b32_e32 v118, 4, v120
	v_and_b32_e32 v118, 0xf0f0f0f, v118
	v_dot4c_i32_i8_e32 v124, v105, v16
	v_dot4c_i32_i8_e32 v124, v118, v20
	v_and_b32_e32 v105, 0xf0f0f0f, v121
	v_lshrrev_b32_e32 v118, 4, v121
	v_and_b32_e32 v118, 0xf0f0f0f, v118
	v_dot4c_i32_i8_e32 v124, v105, v17
	v_cvt_f32_i32_e32 v117, v125
	v_dot4c_i32_i8_e32 v124, v118, v21
	s_waitcnt lgkmcnt(0)
	v_and_b32_e32 v105, 0xf0f0f0f, v122
	v_lshrrev_b32_e32 v118, 4, v122
	v_mov_b32_e32 v125, 0
	v_and_b32_e32 v118, 0xf0f0f0f, v118
	v_dot4c_i32_i8_e32 v125, v105, v14
	v_dot4c_i32_i8_e32 v125, v118, v18
	v_and_b32_e32 v14, 0xf0f0f0f, v123
	v_dot4c_i32_i8_e32 v125, v14, v15
	v_add_u32_e32 v14, 0x3188, v79
	ds_read2_b32 v[14:15], v14 offset1:1
	v_lshrrev_b32_e32 v18, 4, v123
	v_and_b32_e32 v18, 0xf0f0f0f, v18
	v_dot4c_i32_i8_e32 v125, v18, v19
	v_add_u32_e32 v18, 0x1090, v79
	v_add_u32_e32 v19, 0x1098, v79
	;; [unrolled: 1-line block ×3, first 2 shown]
	ds_read2_b32 v[118:119], v18 offset1:1
	ds_read2_b32 v[120:121], v19 offset1:1
	;; [unrolled: 1-line block ×3, first 2 shown]
	s_waitcnt lgkmcnt(3)
	v_and_b32_e32 v18, 0xf0f0f0f, v14
	v_lshrrev_b32_e32 v14, 4, v14
	v_and_b32_e32 v14, 0xf0f0f0f, v14
	v_dot4c_i32_i8_e32 v125, v18, v16
	v_dot4c_i32_i8_e32 v125, v14, v20
	v_and_b32_e32 v14, 0xf0f0f0f, v15
	v_lshrrev_b32_e32 v15, 4, v15
	v_and_b32_e32 v15, 0xf0f0f0f, v15
	v_dot4c_i32_i8_e32 v125, v14, v17
	v_dot4c_i32_i8_e32 v125, v15, v21
	v_cvt_f32_i32_e32 v14, v124
	v_mul_f32_e32 v2, 0x41000000, v2
	v_cvt_f32_f16_sdwa v16, v3 dst_sel:DWORD dst_unused:UNUSED_PAD src0_sel:WORD_1
	v_cvt_f32_i32_e32 v15, v125
	v_pk_fma_f32 v[18:19], v[104:105], v[116:117], v[2:3] op_sel_hi:[0,1,0] neg_lo:[0,0,1] neg_hi:[0,0,1]
	v_lshrrev_b32_e32 v17, 4, v106
	v_mov_b32_e32 v20, 0
	v_pk_fma_f32 v[14:15], v[104:105], v[14:15], v[2:3] op_sel_hi:[0,1,0] neg_lo:[0,0,1] neg_hi:[0,0,1]
	v_cvt_f32_f16_e32 v2, v3
	v_and_b32_e32 v3, 0xf0f0f0f, v106
	v_and_b32_e32 v17, 0xf0f0f0f, v17
	v_dot4c_i32_i8_e32 v20, v3, v6
	v_dot4c_i32_i8_e32 v20, v17, v10
	v_and_b32_e32 v3, 0xf0f0f0f, v107
	v_lshrrev_b32_e32 v17, 4, v107
	v_and_b32_e32 v17, 0xf0f0f0f, v17
	v_dot4c_i32_i8_e32 v20, v3, v7
	v_dot4c_i32_i8_e32 v20, v17, v11
	v_and_b32_e32 v3, 0xf0f0f0f, v108
	v_lshrrev_b32_e32 v17, 4, v108
	;; [unrolled: 5-line block ×3, first 2 shown]
	v_and_b32_e32 v17, 0xf0f0f0f, v17
	v_dot4c_i32_i8_e32 v20, v3, v9
	v_dot4c_i32_i8_e32 v20, v17, v13
	s_waitcnt lgkmcnt(2)
	v_and_b32_e32 v3, 0xf0f0f0f, v118
	v_lshrrev_b32_e32 v17, 4, v118
	v_mov_b32_e32 v21, 0
	v_and_b32_e32 v17, 0xf0f0f0f, v17
	v_dot4c_i32_i8_e32 v21, v3, v6
	v_dot4c_i32_i8_e32 v21, v17, v10
	v_and_b32_e32 v3, 0xf0f0f0f, v119
	v_lshrrev_b32_e32 v17, 4, v119
	v_and_b32_e32 v17, 0xf0f0f0f, v17
	v_dot4c_i32_i8_e32 v21, v3, v7
	v_dot4c_i32_i8_e32 v21, v17, v11
	s_waitcnt lgkmcnt(1)
	v_and_b32_e32 v3, 0xf0f0f0f, v120
	v_lshrrev_b32_e32 v17, 4, v120
	v_and_b32_e32 v17, 0xf0f0f0f, v17
	v_dot4c_i32_i8_e32 v21, v3, v8
	v_dot4c_i32_i8_e32 v21, v17, v12
	v_and_b32_e32 v3, 0xf0f0f0f, v121
	v_lshrrev_b32_e32 v17, 4, v121
	v_and_b32_e32 v17, 0xf0f0f0f, v17
	v_dot4c_i32_i8_e32 v21, v3, v9
	v_dot4c_i32_i8_e32 v21, v17, v13
	s_waitcnt lgkmcnt(0)
	v_and_b32_e32 v3, 0xf0f0f0f, v122
	v_lshrrev_b32_e32 v17, 4, v122
	v_mov_b32_e32 v116, 0
	v_and_b32_e32 v17, 0xf0f0f0f, v17
	v_dot4c_i32_i8_e32 v116, v3, v6
	v_dot4c_i32_i8_e32 v116, v17, v10
	v_and_b32_e32 v3, 0xf0f0f0f, v123
	v_dot4c_i32_i8_e32 v116, v3, v7
	v_add_u32_e32 v3, 0x2118, v79
	ds_read2_b32 v[104:105], v3 offset1:1
	v_lshrrev_b32_e32 v17, 4, v123
	v_and_b32_e32 v17, 0xf0f0f0f, v17
	v_dot4c_i32_i8_e32 v116, v17, v11
	v_add_u32_e32 v17, 0x3190, v79
	v_add_u32_e32 v108, 0x3198, v79
	;; [unrolled: 1-line block ×3, first 2 shown]
	ds_read2_b32 v[106:107], v17 offset1:1
	ds_read2_b32 v[108:109], v108 offset1:1
	ds_read2_b32 v[124:125], v3 offset1:1
	s_waitcnt lgkmcnt(3)
	v_and_b32_e32 v3, 0xf0f0f0f, v104
	v_lshrrev_b32_e32 v17, 4, v104
	v_and_b32_e32 v17, 0xf0f0f0f, v17
	v_dot4c_i32_i8_e32 v116, v3, v8
	v_dot4c_i32_i8_e32 v116, v17, v12
	v_and_b32_e32 v3, 0xf0f0f0f, v105
	v_lshrrev_b32_e32 v17, 4, v105
	v_and_b32_e32 v17, 0xf0f0f0f, v17
	v_dot4c_i32_i8_e32 v116, v3, v9
	v_dot4c_i32_i8_e32 v116, v17, v13
	s_waitcnt lgkmcnt(2)
	v_and_b32_e32 v3, 0xf0f0f0f, v106
	v_lshrrev_b32_e32 v17, 4, v106
	v_mov_b32_e32 v104, 0
	v_and_b32_e32 v17, 0xf0f0f0f, v17
	v_dot4c_i32_i8_e32 v104, v3, v6
	v_dot4c_i32_i8_e32 v104, v17, v10
	v_and_b32_e32 v3, 0xf0f0f0f, v107
	v_lshrrev_b32_e32 v6, 4, v107
	v_and_b32_e32 v6, 0xf0f0f0f, v6
	v_dot4c_i32_i8_e32 v104, v3, v7
	v_dot4c_i32_i8_e32 v104, v6, v11
	s_waitcnt lgkmcnt(1)
	v_and_b32_e32 v3, 0xf0f0f0f, v108
	v_lshrrev_b32_e32 v6, 4, v108
	v_and_b32_e32 v6, 0xf0f0f0f, v6
	v_dot4c_i32_i8_e32 v104, v3, v8
	v_dot4c_i32_i8_e32 v104, v6, v12
	v_and_b32_e32 v3, 0xf0f0f0f, v109
	v_lshrrev_b32_e32 v6, 4, v109
	v_and_b32_e32 v6, 0xf0f0f0f, v6
	v_dot4c_i32_i8_e32 v104, v3, v9
	v_cvt_f32_f16_sdwa v3, v4 dst_sel:DWORD dst_unused:UNUSED_PAD src0_sel:WORD_1
	v_dot4c_i32_i8_e32 v104, v6, v13
	v_cvt_f32_i32_e32 v6, v116
	ds_read_b128 v[116:119], v75 offset:64
	ds_read_b128 v[120:123], v75 offset:80
	v_cvt_f32_i32_e32 v7, v104
	ds_read2_b32 v[10:11], v85 offset1:1
	ds_read2_b32 v[12:13], v83 offset0:2 offset1:3
	ds_read2_b32 v[106:107], v83 offset1:1
	ds_read2_b32 v[104:105], v81 offset0:2 offset1:3
	ds_read2_b32 v[108:109], v79 offset0:10 offset1:11
	v_mul_f32_e32 v8, 0x41000000, v3
	v_and_b32_e32 v3, 0xf0f0f0f, v110
	v_lshrrev_b32_e32 v9, 4, v110
	v_mov_b32_e32 v17, 0
	v_and_b32_e32 v9, 0xf0f0f0f, v9
	s_waitcnt lgkmcnt(6)
	v_dot4c_i32_i8_e32 v17, v3, v116
	s_waitcnt lgkmcnt(5)
	v_dot4c_i32_i8_e32 v17, v9, v120
	v_and_b32_e32 v3, 0xf0f0f0f, v111
	v_lshrrev_b32_e32 v9, 4, v111
	v_and_b32_e32 v9, 0xf0f0f0f, v9
	v_dot4c_i32_i8_e32 v17, v3, v117
	v_dot4c_i32_i8_e32 v17, v9, v121
	s_waitcnt lgkmcnt(0)
	v_and_b32_e32 v3, 0xf0f0f0f, v108
	v_lshrrev_b32_e32 v9, 4, v108
	v_and_b32_e32 v9, 0xf0f0f0f, v9
	v_dot4c_i32_i8_e32 v17, v3, v118
	v_dot4c_i32_i8_e32 v17, v9, v122
	v_and_b32_e32 v3, 0xf0f0f0f, v109
	v_lshrrev_b32_e32 v9, 4, v109
	v_and_b32_e32 v9, 0xf0f0f0f, v9
	v_dot4c_i32_i8_e32 v17, v3, v119
	v_dot4c_i32_i8_e32 v17, v9, v123
	v_and_b32_e32 v3, 0xf0f0f0f, v124
	v_lshrrev_b32_e32 v9, 4, v124
	v_mov_b32_e32 v110, 0
	v_and_b32_e32 v9, 0xf0f0f0f, v9
	v_dot4c_i32_i8_e32 v110, v3, v116
	v_dot4c_i32_i8_e32 v110, v9, v120
	v_and_b32_e32 v3, 0xf0f0f0f, v125
	v_dot4c_i32_i8_e32 v110, v3, v117
	v_add_u32_e32 v3, 0x10a8, v79
	ds_read2_b32 v[126:127], v79 offset0:12 offset1:13
	ds_read2_b32 v[128:129], v81 offset1:1
	ds_read2_b32 v[130:131], v79 offset0:14 offset1:15
	ds_read2_b32 v[108:109], v3 offset1:1
	v_lshrrev_b32_e32 v9, 4, v125
	v_and_b32_e32 v9, 0xf0f0f0f, v9
	v_dot4c_i32_i8_e32 v110, v9, v121
	v_add_u32_e32 v9, 0x2120, v79
	v_add_u32_e32 v3, 0x31a0, v79
	;; [unrolled: 1-line block ×3, first 2 shown]
	ds_read2_b32 v[124:125], v9 offset1:1
	ds_read2_b32 v[132:133], v111 offset1:1
	;; [unrolled: 1-line block ×3, first 2 shown]
	s_waitcnt lgkmcnt(3)
	v_and_b32_e32 v3, 0xf0f0f0f, v108
	v_lshrrev_b32_e32 v9, 4, v108
	v_and_b32_e32 v9, 0xf0f0f0f, v9
	v_dot4c_i32_i8_e32 v110, v3, v118
	v_dot4c_i32_i8_e32 v110, v9, v122
	v_and_b32_e32 v3, 0xf0f0f0f, v109
	v_lshrrev_b32_e32 v9, 4, v109
	v_and_b32_e32 v9, 0xf0f0f0f, v9
	v_dot4c_i32_i8_e32 v110, v3, v119
	v_dot4c_i32_i8_e32 v110, v9, v123
	v_cvt_f32_i32_e32 v136, v17
	s_waitcnt lgkmcnt(2)
	v_and_b32_e32 v3, 0xf0f0f0f, v124
	v_lshrrev_b32_e32 v9, 4, v124
	v_mov_b32_e32 v17, 0
	v_and_b32_e32 v9, 0xf0f0f0f, v9
	v_dot4c_i32_i8_e32 v17, v3, v116
	v_dot4c_i32_i8_e32 v17, v9, v120
	v_and_b32_e32 v3, 0xf0f0f0f, v125
	v_lshrrev_b32_e32 v9, 4, v125
	v_and_b32_e32 v9, 0xf0f0f0f, v9
	v_dot4c_i32_i8_e32 v17, v3, v117
	v_dot4c_i32_i8_e32 v17, v9, v121
	s_waitcnt lgkmcnt(1)
	v_and_b32_e32 v3, 0xf0f0f0f, v132
	v_lshrrev_b32_e32 v9, 4, v132
	v_and_b32_e32 v9, 0xf0f0f0f, v9
	v_dot4c_i32_i8_e32 v17, v3, v118
	v_dot4c_i32_i8_e32 v17, v9, v122
	v_and_b32_e32 v3, 0xf0f0f0f, v133
	v_lshrrev_b32_e32 v9, 4, v133
	v_and_b32_e32 v9, 0xf0f0f0f, v9
	v_dot4c_i32_i8_e32 v17, v3, v119
	v_dot4c_i32_i8_e32 v17, v9, v123
	s_waitcnt lgkmcnt(0)
	v_and_b32_e32 v3, 0xf0f0f0f, v134
	v_lshrrev_b32_e32 v9, 4, v134
	v_mov_b32_e32 v138, 0
	v_and_b32_e32 v9, 0xf0f0f0f, v9
	v_dot4c_i32_i8_e32 v138, v3, v116
	v_dot4c_i32_i8_e32 v138, v9, v120
	v_and_b32_e32 v3, 0xf0f0f0f, v135
	v_dot4c_i32_i8_e32 v138, v3, v117
	v_add_u32_e32 v3, 0x31a8, v79
	v_cvt_f32_i32_e32 v137, v110
	ds_read2_b32 v[110:111], v87 offset1:1
	ds_read2_b32 v[108:109], v85 offset0:2 offset1:3
	ds_read2_b32 v[116:117], v3 offset1:1
	v_lshrrev_b32_e32 v9, 4, v135
	v_and_b32_e32 v9, 0xf0f0f0f, v9
	v_dot4c_i32_i8_e32 v138, v9, v121
	v_add_u32_e32 v9, 0x10b0, v79
	v_add_u32_e32 v3, 0x2130, v79
	;; [unrolled: 1-line block ×3, first 2 shown]
	ds_read2_b32 v[124:125], v9 offset1:1
	ds_read2_b32 v[132:133], v120 offset1:1
	;; [unrolled: 1-line block ×3, first 2 shown]
	s_waitcnt lgkmcnt(3)
	v_and_b32_e32 v3, 0xf0f0f0f, v116
	v_lshrrev_b32_e32 v9, 4, v116
	v_and_b32_e32 v9, 0xf0f0f0f, v9
	v_dot4c_i32_i8_e32 v138, v3, v118
	v_dot4c_i32_i8_e32 v138, v9, v122
	v_and_b32_e32 v3, 0xf0f0f0f, v117
	v_lshrrev_b32_e32 v9, 4, v117
	v_and_b32_e32 v9, 0xf0f0f0f, v9
	v_dot4c_i32_i8_e32 v138, v3, v119
	v_cvt_f32_f16_sdwa v3, v5 dst_sel:DWORD dst_unused:UNUSED_PAD src0_sel:WORD_1
	v_dot4c_i32_i8_e32 v138, v9, v123
	ds_read_b128 v[116:119], v75 offset:96
	ds_read_b128 v[120:123], v75 offset:112
	v_cvt_f32_f16_e32 v140, v5
	v_mul_f32_e32 v142, 0x41000000, v3
	v_and_b32_e32 v3, 0xf0f0f0f, v126
	v_lshrrev_b32_e32 v5, 4, v126
	v_mov_b32_e32 v9, 0
	v_and_b32_e32 v5, 0xf0f0f0f, v5
	s_waitcnt lgkmcnt(1)
	v_dot4c_i32_i8_e32 v9, v3, v116
	s_waitcnt lgkmcnt(0)
	v_dot4c_i32_i8_e32 v9, v5, v120
	v_and_b32_e32 v3, 0xf0f0f0f, v127
	v_lshrrev_b32_e32 v5, 4, v127
	v_and_b32_e32 v5, 0xf0f0f0f, v5
	v_dot4c_i32_i8_e32 v9, v3, v117
	v_dot4c_i32_i8_e32 v9, v5, v121
	v_and_b32_e32 v3, 0xf0f0f0f, v130
	v_lshrrev_b32_e32 v5, 4, v130
	v_and_b32_e32 v5, 0xf0f0f0f, v5
	v_dot4c_i32_i8_e32 v9, v3, v118
	;; [unrolled: 5-line block ×3, first 2 shown]
	v_cvt_f32_i32_e32 v139, v138
	v_cvt_f32_i32_e32 v138, v17
	v_dot4c_i32_i8_e32 v9, v5, v123
	v_and_b32_e32 v3, 0xf0f0f0f, v124
	v_lshrrev_b32_e32 v5, 4, v124
	v_mov_b32_e32 v17, 0
	v_and_b32_e32 v5, 0xf0f0f0f, v5
	v_dot4c_i32_i8_e32 v17, v3, v116
	v_dot4c_i32_i8_e32 v17, v5, v120
	v_and_b32_e32 v3, 0xf0f0f0f, v125
	v_lshrrev_b32_e32 v5, 4, v125
	v_and_b32_e32 v5, 0xf0f0f0f, v5
	v_dot4c_i32_i8_e32 v17, v3, v117
	v_dot4c_i32_i8_e32 v17, v5, v121
	v_and_b32_e32 v3, 0xf0f0f0f, v132
	v_lshrrev_b32_e32 v5, 4, v132
	v_cvt_f32_i32_e32 v21, v21
	v_cvt_f32_i32_e32 v20, v20
	v_and_b32_e32 v5, 0xf0f0f0f, v5
	v_dot4c_i32_i8_e32 v17, v3, v118
	v_cvt_f32_f16_e32 v4, v4
	v_dot4c_i32_i8_e32 v17, v5, v122
	v_and_b32_e32 v3, 0xf0f0f0f, v133
	v_lshrrev_b32_e32 v5, 4, v133
	v_and_b32_e32 v5, 0xf0f0f0f, v5
	v_dot4c_i32_i8_e32 v17, v3, v119
	v_mul_f32_e32 v16, 0x41000000, v16
	v_dot4c_i32_i8_e32 v17, v5, v123
	v_mov_b32_e32 v124, v128
	v_mov_b32_e32 v125, v106
	v_pk_fma_f32 v[18:19], v[124:125], v[18:19], v[98:99]
	v_pk_fma_f32 v[20:21], v[2:3], v[20:21], v[16:17] op_sel_hi:[0,1,0] neg_lo:[0,0,1] neg_hi:[0,0,1]
	v_mov_b32_e32 v106, v129
	v_cvt_f32_i32_e32 v99, v17
	v_cvt_f32_i32_e32 v98, v9
	v_pk_fma_f32 v[18:19], v[106:107], v[20:21], v[18:19]
	v_pk_fma_f32 v[20:21], v[4:5], v[136:137], v[8:9] op_sel_hi:[0,1,0] neg_lo:[0,0,1] neg_hi:[0,0,1]
	v_and_b32_e32 v3, 0xf0f0f0f, v134
	v_lshrrev_b32_e32 v5, 4, v134
	v_mov_b32_e32 v9, 0
	v_and_b32_e32 v5, 0xf0f0f0f, v5
	v_dot4c_i32_i8_e32 v9, v3, v116
	v_mov_b32_e32 v106, v104
	v_mov_b32_e32 v107, v12
	v_dot4c_i32_i8_e32 v9, v5, v120
	v_and_b32_e32 v3, 0xf0f0f0f, v135
	v_pk_fma_f32 v[18:19], v[106:107], v[20:21], v[18:19]
	v_pk_fma_f32 v[20:21], v[140:141], v[98:99], v[142:143] op_sel_hi:[0,1,0] neg_lo:[0,0,1] neg_hi:[0,0,1]
	v_mov_b32_e32 v12, v105
	v_dot4c_i32_i8_e32 v9, v3, v117
	v_add_u32_e32 v3, 0x2138, v79
	v_pk_fma_f32 v[98:99], v[12:13], v[20:21], v[18:19]
	ds_read2_b32 v[12:13], v3 offset1:1
	v_lshrrev_b32_e32 v5, 4, v135
	v_and_b32_e32 v5, 0xf0f0f0f, v5
	v_dot4c_i32_i8_e32 v9, v5, v121
	v_add_u32_e32 v3, 0x31b0, v79
	v_add_u32_e32 v5, 0x31b8, v79
	ds_read2_b32 v[18:19], v3 offset1:1
	ds_read2_b32 v[20:21], v5 offset1:1
	s_waitcnt lgkmcnt(2)
	v_and_b32_e32 v3, 0xf0f0f0f, v12
	v_lshrrev_b32_e32 v5, 4, v12
	v_and_b32_e32 v5, 0xf0f0f0f, v5
	v_dot4c_i32_i8_e32 v9, v3, v118
	v_dot4c_i32_i8_e32 v9, v5, v122
	v_and_b32_e32 v3, 0xf0f0f0f, v13
	v_lshrrev_b32_e32 v5, 4, v13
	v_and_b32_e32 v5, 0xf0f0f0f, v5
	v_dot4c_i32_i8_e32 v9, v3, v119
	v_dot4c_i32_i8_e32 v9, v5, v123
	s_waitcnt lgkmcnt(1)
	v_and_b32_e32 v3, 0xf0f0f0f, v18
	v_lshrrev_b32_e32 v5, 4, v18
	v_mov_b32_e32 v17, 0
	v_and_b32_e32 v5, 0xf0f0f0f, v5
	v_dot4c_i32_i8_e32 v17, v3, v116
	v_dot4c_i32_i8_e32 v17, v5, v120
	v_and_b32_e32 v3, 0xf0f0f0f, v19
	v_lshrrev_b32_e32 v5, 4, v19
	v_and_b32_e32 v5, 0xf0f0f0f, v5
	v_dot4c_i32_i8_e32 v17, v3, v117
	v_dot4c_i32_i8_e32 v17, v5, v121
	s_waitcnt lgkmcnt(0)
	v_and_b32_e32 v3, 0xf0f0f0f, v20
	v_lshrrev_b32_e32 v5, 4, v20
	v_and_b32_e32 v5, 0xf0f0f0f, v5
	v_dot4c_i32_i8_e32 v17, v3, v118
	v_dot4c_i32_i8_e32 v17, v5, v122
	v_and_b32_e32 v3, 0xf0f0f0f, v21
	v_lshrrev_b32_e32 v5, 4, v21
	v_and_b32_e32 v5, 0xf0f0f0f, v5
	v_dot4c_i32_i8_e32 v17, v3, v119
	v_dot4c_i32_i8_e32 v17, v5, v123
	v_mov_b32_e32 v12, v10
	v_mov_b32_e32 v13, v110
	v_pk_fma_f32 v[12:13], v[12:13], v[14:15], v[100:101]
	v_pk_fma_f32 v[2:3], v[2:3], v[6:7], v[16:17] op_sel_hi:[0,1,0] neg_lo:[0,0,1] neg_hi:[0,0,1]
	v_cvt_f32_i32_e32 v7, v17
	v_cvt_f32_i32_e32 v6, v9
	v_mov_b32_e32 v110, v11
	v_pk_fma_f32 v[2:3], v[110:111], v[2:3], v[12:13]
	v_pk_fma_f32 v[4:5], v[4:5], v[138:139], v[8:9] op_sel_hi:[0,1,0] neg_lo:[0,0,1] neg_hi:[0,0,1]
	v_mov_b32_e32 v8, v108
	v_mov_b32_e32 v9, v102
	v_pk_fma_f32 v[2:3], v[8:9], v[4:5], v[2:3]
	v_pk_fma_f32 v[4:5], v[140:141], v[6:7], v[142:143] op_sel_hi:[0,1,0] neg_lo:[0,0,1] neg_hi:[0,0,1]
	v_mov_b32_e32 v102, v109
	v_pk_fma_f32 v[100:101], v[102:103], v[4:5], v[2:3]
	s_cmp_ge_i32 s10, s9
	s_barrier
	s_cbranch_scc1 .LBB198_5
; %bb.13:                               ;   in Loop: Header=BB198_6 Depth=1
	v_add_u32_e32 v2, s18, v89
	v_cmp_gt_i32_e32 vcc, s12, v2
	s_and_b64 s[22:23], s[2:3], vcc
	s_and_saveexec_b64 s[4:5], s[22:23]
	s_cbranch_execz .LBB198_15
; %bb.14:                               ;   in Loop: Header=BB198_6 Depth=1
	v_add_u32_e32 v2, s18, v93
	v_mad_i64_i32 v[2:3], s[22:23], v2, 36, v[54:55]
	global_load_dword v2, v[2:3], off offset:4
	s_waitcnt vmcnt(0)
	ds_write_b32 v71, v2
.LBB198_15:                             ;   in Loop: Header=BB198_6 Depth=1
	s_or_b64 exec, exec, s[4:5]
	s_and_saveexec_b64 s[4:5], s[0:1]
	s_cbranch_execz .LBB198_4
; %bb.16:                               ;   in Loop: Header=BB198_6 Depth=1
	v_add3_u32 v2, v67, s18, 4
	v_cmp_gt_i32_e32 vcc, s12, v2
	s_and_b64 s[22:23], s[2:3], vcc
	s_and_b64 exec, exec, s[22:23]
	s_cbranch_execz .LBB198_4
; %bb.17:                               ;   in Loop: Header=BB198_6 Depth=1
	global_load_dword v2, v[56:57], off
	s_waitcnt vmcnt(0)
	ds_write_b32 v73, v2
	s_branch .LBB198_4
.LBB198_18:
	v_mov_b32_e32 v2, 0
	s_mul_i32 s0, s14, s11
	s_waitcnt vmcnt(0)
	v_cmp_gt_i32_e32 vcc, s0, v65
	s_and_saveexec_b64 s[0:1], vcc
	s_cbranch_execnz .LBB198_21
.LBB198_19:
	s_endpgm
.LBB198_20:
	v_cvt_f16_f32_e32 v1, v99
	v_cvt_f16_f32_e32 v2, v98
	v_cvt_f16_f32_e32 v3, v101
	v_cvt_f16_f32_e32 v4, v100
	v_pack_b32_f16 v2, v2, v1
	v_pack_b32_f16 v3, v4, v3
	s_mul_i32 s0, s14, s11
	v_cmp_gt_i32_e32 vcc, s0, v65
	s_and_saveexec_b64 s[0:1], vcc
	s_cbranch_execz .LBB198_19
.LBB198_21:
	v_and_b32_e32 v0, 0x3ff, v0
	v_add_u32_e32 v1, s15, v0
	v_mul_lo_u32 v0, v65, s13
	v_cmp_gt_u32_e32 vcc, s13, v1
	s_and_saveexec_b64 s[0:1], vcc
	s_cbranch_execz .LBB198_23
; %bb.22:
	v_add_u32_e32 v4, v0, v1
	v_mov_b32_e32 v5, 0
	v_lshlrev_b64 v[4:5], 1, v[4:5]
	v_mov_b32_e32 v6, s17
	v_add_co_u32_e32 v4, vcc, s16, v4
	v_addc_co_u32_e32 v5, vcc, v6, v5, vcc
	global_store_short v[4:5], v2, off
.LBB198_23:
	s_or_b64 exec, exec, s[0:1]
	v_add_u32_e32 v4, 32, v1
	v_cmp_gt_u32_e32 vcc, s13, v4
	s_and_saveexec_b64 s[0:1], vcc
	s_cbranch_execz .LBB198_25
; %bb.24:
	v_add_u32_e32 v4, v0, v4
	v_mov_b32_e32 v5, 0
	v_lshlrev_b64 v[4:5], 1, v[4:5]
	v_mov_b32_e32 v6, s17
	v_add_co_u32_e32 v4, vcc, s16, v4
	v_addc_co_u32_e32 v5, vcc, v6, v5, vcc
	global_store_short_d16_hi v[4:5], v2, off
.LBB198_25:
	s_or_b64 exec, exec, s[0:1]
	v_add_u32_e32 v2, 64, v1
	v_cmp_gt_u32_e32 vcc, s13, v2
	s_and_saveexec_b64 s[0:1], vcc
	s_cbranch_execz .LBB198_27
; %bb.26:
	v_add_u32_e32 v4, v0, v2
	v_mov_b32_e32 v5, 0
	v_lshlrev_b64 v[4:5], 1, v[4:5]
	v_mov_b32_e32 v2, s17
	v_add_co_u32_e32 v4, vcc, s16, v4
	v_addc_co_u32_e32 v5, vcc, v2, v5, vcc
	global_store_short v[4:5], v3, off
.LBB198_27:
	s_or_b64 exec, exec, s[0:1]
	v_add_u32_e32 v1, 0x60, v1
	v_cmp_gt_u32_e32 vcc, s13, v1
	s_and_b64 exec, exec, vcc
	s_cbranch_execz .LBB198_19
; %bb.28:
	v_add_u32_e32 v0, v0, v1
	v_mov_b32_e32 v1, 0
	v_lshlrev_b64 v[0:1], 1, v[0:1]
	v_mov_b32_e32 v2, s17
	v_add_co_u32_e32 v0, vcc, s16, v0
	v_addc_co_u32_e32 v1, vcc, v2, v1, vcc
	global_store_short_d16_hi v[0:1], v3, off
	s_endpgm
	.section	.rodata,"a",@progbits
	.p2align	6, 0x0
	.amdhsa_kernel _ZL8moe_q4_0IN3c104HalfELb1EEvPKvS3_PT_PKiS7_S7_iiiiiii
		.amdhsa_group_segment_fixed_size 22272
		.amdhsa_private_segment_fixed_size 0
		.amdhsa_kernarg_size 76
		.amdhsa_user_sgpr_count 6
		.amdhsa_user_sgpr_private_segment_buffer 1
		.amdhsa_user_sgpr_dispatch_ptr 0
		.amdhsa_user_sgpr_queue_ptr 0
		.amdhsa_user_sgpr_kernarg_segment_ptr 1
		.amdhsa_user_sgpr_dispatch_id 0
		.amdhsa_user_sgpr_flat_scratch_init 0
		.amdhsa_user_sgpr_kernarg_preload_length 0
		.amdhsa_user_sgpr_kernarg_preload_offset 0
		.amdhsa_user_sgpr_private_segment_size 0
		.amdhsa_uses_dynamic_stack 0
		.amdhsa_system_sgpr_private_segment_wavefront_offset 0
		.amdhsa_system_sgpr_workgroup_id_x 1
		.amdhsa_system_sgpr_workgroup_id_y 1
		.amdhsa_system_sgpr_workgroup_id_z 0
		.amdhsa_system_sgpr_workgroup_info 0
		.amdhsa_system_vgpr_workitem_id 1
		.amdhsa_next_free_vgpr 144
		.amdhsa_next_free_sgpr 24
		.amdhsa_accum_offset 144
		.amdhsa_reserve_vcc 1
		.amdhsa_reserve_flat_scratch 0
		.amdhsa_float_round_mode_32 0
		.amdhsa_float_round_mode_16_64 0
		.amdhsa_float_denorm_mode_32 3
		.amdhsa_float_denorm_mode_16_64 3
		.amdhsa_dx10_clamp 1
		.amdhsa_ieee_mode 1
		.amdhsa_fp16_overflow 0
		.amdhsa_tg_split 0
		.amdhsa_exception_fp_ieee_invalid_op 0
		.amdhsa_exception_fp_denorm_src 0
		.amdhsa_exception_fp_ieee_div_zero 0
		.amdhsa_exception_fp_ieee_overflow 0
		.amdhsa_exception_fp_ieee_underflow 0
		.amdhsa_exception_fp_ieee_inexact 0
		.amdhsa_exception_int_div_zero 0
	.end_amdhsa_kernel
	.section	.text._ZL8moe_q4_0IN3c104HalfELb1EEvPKvS3_PT_PKiS7_S7_iiiiiii,"axG",@progbits,_ZL8moe_q4_0IN3c104HalfELb1EEvPKvS3_PT_PKiS7_S7_iiiiiii,comdat
.Lfunc_end198:
	.size	_ZL8moe_q4_0IN3c104HalfELb1EEvPKvS3_PT_PKiS7_S7_iiiiiii, .Lfunc_end198-_ZL8moe_q4_0IN3c104HalfELb1EEvPKvS3_PT_PKiS7_S7_iiiiiii
                                        ; -- End function
	.section	.AMDGPU.csdata,"",@progbits
; Kernel info:
; codeLenInByte = 9156
; NumSgprs: 28
; NumVgprs: 144
; NumAgprs: 0
; TotalNumVgprs: 144
; ScratchSize: 0
; MemoryBound: 0
; FloatMode: 240
; IeeeMode: 1
; LDSByteSize: 22272 bytes/workgroup (compile time only)
; SGPRBlocks: 3
; VGPRBlocks: 17
; NumSGPRsForWavesPerEU: 28
; NumVGPRsForWavesPerEU: 144
; AccumOffset: 144
; Occupancy: 2
; WaveLimiterHint : 1
; COMPUTE_PGM_RSRC2:SCRATCH_EN: 0
; COMPUTE_PGM_RSRC2:USER_SGPR: 6
; COMPUTE_PGM_RSRC2:TRAP_HANDLER: 0
; COMPUTE_PGM_RSRC2:TGID_X_EN: 1
; COMPUTE_PGM_RSRC2:TGID_Y_EN: 1
; COMPUTE_PGM_RSRC2:TGID_Z_EN: 0
; COMPUTE_PGM_RSRC2:TIDIG_COMP_CNT: 1
; COMPUTE_PGM_RSRC3_GFX90A:ACCUM_OFFSET: 35
; COMPUTE_PGM_RSRC3_GFX90A:TG_SPLIT: 0
	.section	.text._ZL8moe_q4_1IN3c104HalfELb0EEvPKvS3_PT_PKiS7_S7_iiiiiii,"axG",@progbits,_ZL8moe_q4_1IN3c104HalfELb0EEvPKvS3_PT_PKiS7_S7_iiiiiii,comdat
	.globl	_ZL8moe_q4_1IN3c104HalfELb0EEvPKvS3_PT_PKiS7_S7_iiiiiii ; -- Begin function _ZL8moe_q4_1IN3c104HalfELb0EEvPKvS3_PT_PKiS7_S7_iiiiiii
	.p2align	8
	.type	_ZL8moe_q4_1IN3c104HalfELb0EEvPKvS3_PT_PKiS7_S7_iiiiiii,@function
_ZL8moe_q4_1IN3c104HalfELb0EEvPKvS3_PT_PKiS7_S7_iiiiiii: ; @_ZL8moe_q4_1IN3c104HalfELb0EEvPKvS3_PT_PKiS7_S7_iiiiiii
; %bb.0:
	s_load_dwordx4 s[0:3], s[4:5], 0x18
	s_mov_b32 s8, s7
	s_mov_b32 s9, 0
	s_lshl_b64 s[10:11], s[8:9], 2
	s_waitcnt lgkmcnt(0)
	s_add_u32 s2, s2, s10
	s_addc_u32 s3, s3, s11
	s_load_dword s2, s[2:3], 0x0
	s_waitcnt lgkmcnt(0)
	s_cmpk_gt_u32 s2, 0xff
	s_cbranch_scc1 .LBB199_19
; %bb.1:
	s_load_dwordx2 s[10:11], s[4:5], 0x28
	s_lshl_b32 s3, s8, 3
	s_waitcnt lgkmcnt(0)
	s_load_dword s7, s[10:11], 0x0
	s_waitcnt lgkmcnt(0)
	s_cmp_gt_u32 s3, s7
	s_cbranch_scc1 .LBB199_19
; %bb.2:
	v_bfe_u32 v1, v0, 10, 10
	v_add_u32_e32 v2, s3, v1
	v_mov_b32_e32 v3, 0
	v_lshlrev_b64 v[4:5], 2, v[2:3]
	v_mov_b32_e32 v2, s1
	v_add_co_u32_e32 v4, vcc, s0, v4
	v_addc_co_u32_e32 v5, vcc, v2, v5, vcc
	global_load_dword v65, v[4:5], off
	s_load_dwordx2 s[14:15], s[4:5], 0x30
	s_load_dwordx2 s[12:13], s[4:5], 0x10
	s_load_dwordx4 s[8:11], s[4:5], 0x3c
	s_lshl_b32 s18, s6, 7
	s_waitcnt lgkmcnt(0)
	s_cmp_lt_i32 s15, 32
	s_cbranch_scc1 .LBB199_18
; %bb.3:
	v_and_b32_e32 v98, 0x3ff, v0
	s_ashr_i32 s0, s15, 31
	v_lshlrev_b32_e32 v3, 2, v1
	v_lshrrev_b32_e32 v115, 3, v98
	s_load_dwordx4 s[4:7], s[4:5], 0x0
	s_lshr_b32 s0, s0, 27
	s_ashr_i32 s1, s9, 31
	v_and_b32_e32 v63, 7, v98
	v_add_u32_e32 v22, v115, v3
	s_add_i32 s0, s15, s0
	s_lshr_b32 s1, s1, 27
	s_mul_i32 s14, s2, s14
	v_and_b32_e32 v23, 0x1ffc, v22
	v_lshlrev_b32_e32 v24, 2, v63
	s_movk_i32 s2, 0x4200
	s_ashr_i32 s19, s0, 5
	s_add_i32 s1, s9, s1
	v_add3_u32 v68, v23, v24, s2
	v_add_u32_e32 v23, 32, v22
	s_ashr_i32 s9, s1, 5
	v_lshlrev_b32_e32 v2, 2, v98
	s_movk_i32 s1, 0x84
	v_mul_lo_u32 v57, s19, v22
	v_lshlrev_b32_e32 v69, 5, v22
	v_and_b32_e32 v25, 0x3ffc, v23
	v_lshlrev_b32_e32 v71, 5, v23
	v_add_u32_e32 v23, 64, v22
	v_add_u32_e32 v22, 0x60, v22
	v_and_b32_e32 v6, 12, v2
	v_mad_u32_u24 v99, v1, s1, v2
	v_add3_u32 v70, v25, v24, s2
	v_and_b32_e32 v25, 0x3ffc, v23
	v_lshlrev_b32_e32 v73, 5, v23
	v_and_b32_e32 v23, 0x3ffc, v22
	v_and_b32_e32 v2, 28, v2
	v_add3_u32 v72, v25, v24, s2
	v_add3_u32 v74, v23, v24, s2
	v_lshlrev_b32_e32 v75, 5, v22
	v_and_b32_e32 v24, 31, v98
	s_waitcnt lgkmcnt(0)
	v_add_co_u32_e32 v22, vcc, s6, v2
	v_lshlrev_b32_e32 v2, 7, v1
	v_lshl_or_b32 v24, v24, 2, v2
	v_add_u32_e32 v116, 0x5280, v24
	v_mov_b32_e32 v24, 0x5680
	v_mul_lo_u32 v5, s19, v1
	v_add_u32_e32 v118, 0x5280, v2
	v_lshl_add_u32 v119, v1, 4, v24
	v_and_b32_e32 v1, 0xfc, v98
	v_lshlrev_b32_e32 v2, 5, v98
	v_or_b32_e32 v3, v3, v98
	v_add3_u32 v121, v2, v1, s2
	v_add_u32_e32 v1, 32, v98
	v_lshl_add_u32 v117, v3, 2, v24
	v_and_b32_e32 v2, 0x1fc, v1
	v_lshlrev_b32_e32 v3, 5, v1
	v_add3_u32 v122, v3, v2, s2
	v_add_u32_e32 v2, 64, v98
	v_and_b32_e32 v3, 0x1fc, v2
	v_lshlrev_b32_e32 v2, 5, v2
	s_abs_i32 s3, s11
	v_add3_u32 v123, v2, v3, s2
	v_cvt_f32_u32_e32 v3, s3
	v_add_u32_e32 v2, 0x60, v98
	v_and_b32_e32 v24, 0x1fc, v2
	v_lshlrev_b32_e32 v2, 5, v2
	v_add3_u32 v124, v2, v24, s2
	v_rcp_iflag_f32_e32 v2, v3
	s_sub_i32 s2, 0, s3
	s_waitcnt vmcnt(0)
	v_sub_u32_e32 v3, 0, v65
	v_max_i32_e32 v3, v65, v3
	v_mul_f32_e32 v2, 0x4f7ffffe, v2
	v_cvt_u32_f32_e32 v2, v2
	v_mov_b32_e32 v23, s7
	v_addc_co_u32_e32 v23, vcc, 0, v23, vcc
	v_mul_lo_u32 v24, s2, v2
	v_mul_hi_u32 v24, v2, v24
	v_add_u32_e32 v2, v2, v24
	v_mul_hi_u32 v2, v3, v2
	v_mul_lo_u32 v24, v2, s3
	v_sub_u32_e32 v3, v3, v24
	v_add_u32_e32 v24, 1, v2
	v_cmp_le_u32_e32 vcc, s3, v3
	v_cndmask_b32_e32 v2, v2, v24, vcc
	v_subrev_u32_e32 v24, s3, v3
	v_cndmask_b32_e32 v3, v3, v24, vcc
	v_lshrrev_b32_e32 v125, 3, v1
	v_xor_b32_e32 v1, s11, v65
	v_add_u32_e32 v24, 1, v2
	v_cmp_le_u32_e32 vcc, s3, v3
	v_ashrrev_i32_e32 v1, 31, v1
	v_cndmask_b32_e32 v2, v2, v24, vcc
	v_xor_b32_e32 v2, v2, v1
	v_sub_u32_e32 v1, v2, v1
	v_cmp_gt_i32_e64 s[2:3], s8, v1
	v_mul_lo_u32 v1, v1, s9
	v_ashrrev_i32_e32 v2, 31, v1
	v_add_co_u32_e32 v3, vcc, v1, v98
	s_mul_i32 s17, s19, s18
	v_addc_co_u32_e32 v24, vcc, 0, v2, vcc
	v_mad_u64_u32 v[2:3], s[22:23], v3, 36, s[6:7]
	s_movk_i32 s20, 0x90
	v_mad_i32_i24 v3, v24, 36, v3
	v_add_co_u32_e32 v24, vcc, s20, v2
	s_mul_hi_i32 s20, s17, 20
	s_mul_i32 s22, s17, 20
	v_lshrrev_b32_e32 v4, 2, v98
	v_addc_co_u32_e32 v25, vcc, 0, v3, vcc
	v_mov_b32_e32 v2, s22
	v_mov_b32_e32 v3, s20
	s_lshl_b32 s1, s19, 3
	v_mad_u64_u32 v[2:3], s[22:23], v4, 20, v[2:3]
	v_add_u32_e32 v7, s1, v5
	v_mad_u64_u32 v[4:5], s[22:23], v5, 20, v[2:3]
	v_add_u32_e32 v126, v98, v1
	v_add_u32_e32 v127, v125, v1
	v_add_u32_e32 v128, v115, v1
	v_add_co_u32_e32 v1, vcc, v4, v6
	v_addc_co_u32_e32 v4, vcc, 0, v5, vcc
	v_mov_b32_e32 v55, s5
	v_add_co_u32_e32 v1, vcc, s4, v1
	v_addc_co_u32_e32 v4, vcc, v4, v55, vcc
	v_add_co_u32_e32 v26, vcc, 4, v1
	v_addc_co_u32_e32 v1, vcc, 0, v4, vcc
	v_mad_u64_u32 v[4:5], s[22:23], v7, 20, v[2:3]
	v_add_co_u32_e32 v4, vcc, v4, v6
	v_addc_co_u32_e32 v5, vcc, 0, v5, vcc
	v_add_co_u32_e32 v4, vcc, s4, v4
	v_addc_co_u32_e32 v5, vcc, v5, v55, vcc
	v_add_u32_e32 v8, s1, v7
	v_add_co_u32_e32 v28, vcc, 4, v4
	v_addc_co_u32_e32 v27, vcc, 0, v5, vcc
	v_mad_u64_u32 v[4:5], s[22:23], v8, 20, v[2:3]
	v_add_co_u32_e32 v4, vcc, v4, v6
	v_addc_co_u32_e32 v5, vcc, 0, v5, vcc
	v_add_co_u32_e32 v4, vcc, s4, v4
	v_addc_co_u32_e32 v5, vcc, v5, v55, vcc
	v_add_u32_e32 v9, s1, v8
	;; [unrolled: 8-line block ×14, first 2 shown]
	v_add_co_u32_e32 v54, vcc, 4, v4
	v_addc_co_u32_e32 v53, vcc, 0, v5, vcc
	v_mad_u64_u32 v[2:3], s[22:23], v21, 20, v[2:3]
	v_add_co_u32_e32 v2, vcc, v2, v6
	v_addc_co_u32_e32 v3, vcc, 0, v3, vcc
	v_add_co_u32_e32 v2, vcc, s4, v2
	v_addc_co_u32_e32 v3, vcc, v3, v55, vcc
	;; [unrolled: 2-line block ×3, first 2 shown]
	v_mad_u64_u32 v[2:3], s[22:23], v57, 20, 0
	v_mad_i64_i32 v[2:3], s[22:23], s17, 20, v[2:3]
	s_andn2_b32 s0, s0, 31
	v_mad_u64_u32 v[2:3], s[22:23], v63, 20, v[2:3]
	v_add_u32_e32 v59, s0, v57
	v_mov_b32_e32 v4, s5
	v_add_co_u32_e32 v58, vcc, s4, v2
	v_addc_co_u32_e32 v57, vcc, v4, v3, vcc
	v_mad_u64_u32 v[2:3], s[22:23], v59, 20, 0
	v_mad_i64_i32 v[2:3], s[22:23], s17, 20, v[2:3]
	v_mad_u64_u32 v[2:3], s[22:23], v63, 20, v[2:3]
	v_add_u32_e32 v61, s0, v59
	v_add_co_u32_e32 v60, vcc, s4, v2
	v_addc_co_u32_e32 v59, vcc, v4, v3, vcc
	v_mad_u64_u32 v[2:3], s[22:23], v61, 20, 0
	v_mad_i64_i32 v[2:3], s[22:23], s17, 20, v[2:3]
	v_mad_u64_u32 v[2:3], s[22:23], v63, 20, v[2:3]
	v_add_u32_e32 v64, s0, v61
	v_add_co_u32_e32 v62, vcc, s4, v2
	v_addc_co_u32_e32 v61, vcc, v4, v3, vcc
	v_mad_u64_u32 v[2:3], s[22:23], v64, 20, 0
	v_mad_i64_i32 v[2:3], s[22:23], s17, 20, v[2:3]
	s_mov_b32 s16, 0
	v_mad_u64_u32 v[2:3], s[22:23], v63, 20, v[2:3]
	s_ashr_i32 s21, s14, 31
	v_mul_u32_u24_e32 v120, 0x84, v98
	v_add_co_u32_e32 v64, vcc, s4, v2
	s_mov_b32 s17, s16
	v_add_u32_e32 v100, 0x420, v99
	v_add_u32_e32 v101, 0x840, v99
	;; [unrolled: 1-line block ×15, first 2 shown]
	v_cmp_gt_u32_e64 s[0:1], 4, v98
	v_addc_co_u32_e32 v63, vcc, v4, v3, vcc
	s_movk_i32 s20, 0x80
	v_pk_mov_b32 v[66:67], s[16:17], s[16:17] op_sel:[0,1]
	v_add_u32_e32 v129, v68, v69
	v_add_u32_e32 v130, v70, v71
	;; [unrolled: 1-line block ×4, first 2 shown]
	v_mov_b32_e32 v133, s21
	v_add_u32_e32 v134, 0x1080, v120
	v_pk_mov_b32 v[68:69], s[16:17], s[16:17] op_sel:[0,1]
	s_branch .LBB199_6
.LBB199_4:                              ;   in Loop: Header=BB199_6 Depth=1
	s_or_b64 exec, exec, s[4:5]
	s_waitcnt lgkmcnt(0)
	s_barrier
	ds_read_b128 v[2:5], v119
	ds_read2_b32 v[70:71], v120 offset0:16 offset1:17
	ds_read_b128 v[14:17], v118
	ds_read_b128 v[18:21], v118 offset:16
	ds_read_b128 v[6:9], v118 offset:32
	;; [unrolled: 1-line block ×3, first 2 shown]
	ds_read2_b32 v[72:73], v121 offset0:4 offset1:5
	s_waitcnt lgkmcnt(5)
	v_and_b32_e32 v74, 0xf0f0f0f, v70
	v_lshrrev_b32_e32 v70, 4, v70
	v_mov_b32_e32 v90, 0
	v_and_b32_e32 v70, 0xf0f0f0f, v70
	s_waitcnt lgkmcnt(4)
	v_dot4c_i32_i8_e32 v90, v74, v14
	s_waitcnt lgkmcnt(3)
	v_dot4c_i32_i8_e32 v90, v70, v18
	v_and_b32_e32 v70, 0xf0f0f0f, v71
	v_lshrrev_b32_e32 v71, 4, v71
	v_and_b32_e32 v74, 0xf0f0f0f, v71
	v_dot4c_i32_i8_e32 v90, v70, v15
	ds_read2_b32 v[70:71], v120 offset0:18 offset1:19
	v_dot4c_i32_i8_e32 v90, v74, v19
	ds_read2_b32 v[80:81], v120 offset0:20 offset1:21
	ds_read2_b32 v[82:83], v120 offset0:22 offset1:23
	;; [unrolled: 1-line block ×3, first 2 shown]
	s_waitcnt lgkmcnt(4)
	v_pk_mul_f16 v91, v2, v72
	v_mov_b32_e32 v135, 0
	s_waitcnt lgkmcnt(3)
	v_and_b32_e32 v74, 0xf0f0f0f, v70
	v_lshrrev_b32_e32 v70, 4, v70
	v_and_b32_e32 v70, 0xf0f0f0f, v70
	v_dot4c_i32_i8_e32 v90, v74, v16
	v_dot4c_i32_i8_e32 v90, v70, v20
	v_and_b32_e32 v70, 0xf0f0f0f, v71
	v_dot4c_i32_i8_e32 v90, v70, v17
	v_add_u32_e32 v70, 0x10c0, v120
	ds_read2_b32 v[76:77], v70 offset1:1
	ds_read2_b32 v[88:89], v120 offset0:26 offset1:27
	ds_read2_b32 v[74:75], v120 offset0:28 offset1:29
	;; [unrolled: 1-line block ×3, first 2 shown]
	v_lshrrev_b32_e32 v71, 4, v71
	s_waitcnt lgkmcnt(3)
	v_and_b32_e32 v72, 0xf0f0f0f, v76
	v_lshrrev_b32_e32 v76, 4, v76
	v_and_b32_e32 v76, 0xf0f0f0f, v76
	v_dot4c_i32_i8_e32 v135, v72, v14
	v_dot4c_i32_i8_e32 v135, v76, v18
	v_and_b32_e32 v72, 0xf0f0f0f, v77
	v_lshrrev_b32_e32 v76, 4, v77
	v_and_b32_e32 v71, 0xf0f0f0f, v71
	v_and_b32_e32 v76, 0xf0f0f0f, v76
	v_dot4c_i32_i8_e32 v135, v72, v15
	v_add_u32_e32 v72, 0x10c8, v120
	v_dot4c_i32_i8_e32 v90, v71, v21
	ds_read2_b32 v[92:93], v122 offset0:4 offset1:5
	ds_read2_b32 v[70:71], v124 offset0:6 offset1:7
	v_dot4c_i32_i8_e32 v135, v76, v19
	ds_read2_b32 v[76:77], v72 offset1:1
	v_add_u32_e32 v84, 0x2140, v120
	v_add_u32_e32 v72, 0x31c0, v120
	;; [unrolled: 1-line block ×3, first 2 shown]
	ds_read2_b32 v[94:95], v84 offset1:1
	ds_read2_b32 v[96:97], v85 offset1:1
	;; [unrolled: 1-line block ×3, first 2 shown]
	s_waitcnt lgkmcnt(3)
	v_and_b32_e32 v72, 0xf0f0f0f, v76
	v_lshrrev_b32_e32 v76, 4, v76
	v_and_b32_e32 v76, 0xf0f0f0f, v76
	v_dot4c_i32_i8_e32 v135, v72, v16
	v_dot4c_i32_i8_e32 v135, v76, v20
	v_and_b32_e32 v72, 0xf0f0f0f, v77
	v_dot4c_i32_i8_e32 v135, v72, v17
	s_waitcnt lgkmcnt(2)
	v_lshrrev_b32_e32 v72, 4, v94
	v_and_b32_e32 v140, 0xf0f0f0f, v94
	v_and_b32_e32 v94, 0xf0f0f0f, v72
	v_mov_b32_e32 v72, 0
	v_dot4c_i32_i8_e32 v72, v140, v14
	v_dot4c_i32_i8_e32 v72, v94, v18
	v_and_b32_e32 v94, 0xf0f0f0f, v95
	v_lshrrev_b32_e32 v95, 4, v95
	v_and_b32_e32 v95, 0xf0f0f0f, v95
	v_dot4c_i32_i8_e32 v72, v94, v15
	v_dot4c_i32_i8_e32 v72, v95, v19
	s_waitcnt lgkmcnt(1)
	v_and_b32_e32 v94, 0xf0f0f0f, v96
	v_lshrrev_b32_e32 v95, 4, v96
	v_and_b32_e32 v95, 0xf0f0f0f, v95
	v_dot4c_i32_i8_e32 v72, v94, v16
	v_dot4c_i32_i8_e32 v72, v95, v20
	v_and_b32_e32 v94, 0xf0f0f0f, v97
	v_lshrrev_b32_e32 v95, 4, v97
	v_and_b32_e32 v95, 0xf0f0f0f, v95
	v_dot4c_i32_i8_e32 v72, v94, v17
	v_dot4c_i32_i8_e32 v72, v95, v21
	s_waitcnt lgkmcnt(0)
	v_and_b32_e32 v94, 0xf0f0f0f, v136
	v_lshrrev_b32_e32 v95, 4, v136
	v_mov_b32_e32 v140, 0
	v_and_b32_e32 v95, 0xf0f0f0f, v95
	v_dot4c_i32_i8_e32 v140, v94, v14
	v_lshrrev_b32_e32 v76, 4, v77
	v_dot4c_i32_i8_e32 v140, v95, v18
	v_and_b32_e32 v14, 0xf0f0f0f, v137
	v_and_b32_e32 v76, 0xf0f0f0f, v76
	v_dot4c_i32_i8_e32 v140, v14, v15
	v_add_u32_e32 v14, 0x31c8, v120
	v_dot4c_i32_i8_e32 v135, v76, v21
	ds_read2_b32 v[138:139], v123 offset0:4 offset1:5
	ds_read2_b32 v[76:77], v122 offset0:6 offset1:7
	;; [unrolled: 1-line block ×3, first 2 shown]
	ds_read2_b32 v[14:15], v14 offset1:1
	v_lshrrev_b32_e32 v18, 4, v137
	v_and_b32_e32 v18, 0xf0f0f0f, v18
	v_dot4c_i32_i8_e32 v140, v18, v19
	v_add_u32_e32 v18, 0x10d0, v120
	v_add_u32_e32 v94, 0x10d8, v120
	;; [unrolled: 1-line block ×3, first 2 shown]
	s_waitcnt lgkmcnt(0)
	v_and_b32_e32 v136, 0xf0f0f0f, v14
	ds_read2_b32 v[18:19], v18 offset1:1
	ds_read2_b32 v[94:95], v94 offset1:1
	;; [unrolled: 1-line block ×3, first 2 shown]
	v_dot4c_i32_i8_e32 v140, v136, v16
	ds_read2_b32 v[136:137], v124 offset0:4 offset1:5
	v_lshrrev_b32_e32 v14, 4, v14
	v_and_b32_e32 v14, 0xf0f0f0f, v14
	v_dot4c_i32_i8_e32 v140, v14, v20
	v_and_b32_e32 v14, 0xf0f0f0f, v15
	v_lshrrev_b32_e32 v15, 4, v15
	v_and_b32_e32 v15, 0xf0f0f0f, v15
	v_dot4c_i32_i8_e32 v140, v14, v17
	v_pk_mul_f16 v92, v2, v92
	v_pk_mul_f16 v138, v2, v138
	v_dot4c_i32_i8_e32 v140, v15, v21
	ds_read2_b32 v[14:15], v123 offset0:6 offset1:7
	s_waitcnt lgkmcnt(1)
	v_pk_mul_f16 v136, v2, v136
	v_and_b32_e32 v2, 0xf0f0f0f, v80
	v_lshrrev_b32_e32 v16, 4, v80
	v_mov_b32_e32 v141, 0
	v_and_b32_e32 v16, 0xf0f0f0f, v16
	v_dot4c_i32_i8_e32 v141, v2, v6
	v_dot4c_i32_i8_e32 v141, v16, v10
	v_and_b32_e32 v2, 0xf0f0f0f, v81
	v_lshrrev_b32_e32 v16, 4, v81
	v_and_b32_e32 v16, 0xf0f0f0f, v16
	v_dot4c_i32_i8_e32 v141, v2, v7
	v_dot4c_i32_i8_e32 v141, v16, v11
	v_and_b32_e32 v2, 0xf0f0f0f, v82
	v_lshrrev_b32_e32 v16, 4, v82
	;; [unrolled: 5-line block ×4, first 2 shown]
	v_mov_b32_e32 v82, 0
	v_and_b32_e32 v16, 0xf0f0f0f, v16
	v_dot4c_i32_i8_e32 v82, v2, v6
	v_dot4c_i32_i8_e32 v82, v16, v10
	v_and_b32_e32 v2, 0xf0f0f0f, v19
	v_lshrrev_b32_e32 v16, 4, v19
	v_and_b32_e32 v16, 0xf0f0f0f, v16
	v_dot4c_i32_i8_e32 v82, v2, v7
	v_dot4c_i32_i8_e32 v82, v16, v11
	v_and_b32_e32 v2, 0xf0f0f0f, v94
	v_lshrrev_b32_e32 v16, 4, v94
	;; [unrolled: 5-line block ×3, first 2 shown]
	v_and_b32_e32 v16, 0xf0f0f0f, v16
	v_dot4c_i32_i8_e32 v82, v2, v9
	v_dot4c_i32_i8_e32 v82, v16, v13
	v_pk_mul_f16 v83, v3, v93
	v_and_b32_e32 v2, 0xf0f0f0f, v96
	v_lshrrev_b32_e32 v16, 4, v96
	v_mov_b32_e32 v93, 0
	v_and_b32_e32 v16, 0xf0f0f0f, v16
	v_dot4c_i32_i8_e32 v93, v2, v6
	v_dot4c_i32_i8_e32 v93, v16, v10
	v_and_b32_e32 v2, 0xf0f0f0f, v97
	v_lshrrev_b32_e32 v16, 4, v97
	v_and_b32_e32 v16, 0xf0f0f0f, v16
	v_dot4c_i32_i8_e32 v93, v2, v7
	v_add_u32_e32 v2, 0x2158, v120
	v_dot4c_i32_i8_e32 v93, v16, v11
	ds_read2_b32 v[16:17], v2 offset1:1
	v_add_u32_e32 v18, 0x31d0, v120
	v_add_u32_e32 v20, 0x31d8, v120
	;; [unrolled: 1-line block ×3, first 2 shown]
	ds_read2_b32 v[18:19], v18 offset1:1
	ds_read2_b32 v[20:21], v20 offset1:1
	;; [unrolled: 1-line block ×3, first 2 shown]
	s_waitcnt lgkmcnt(3)
	v_and_b32_e32 v2, 0xf0f0f0f, v16
	v_lshrrev_b32_e32 v16, 4, v16
	v_and_b32_e32 v16, 0xf0f0f0f, v16
	v_dot4c_i32_i8_e32 v93, v2, v8
	v_dot4c_i32_i8_e32 v93, v16, v12
	v_and_b32_e32 v2, 0xf0f0f0f, v17
	v_lshrrev_b32_e32 v16, 4, v17
	v_and_b32_e32 v16, 0xf0f0f0f, v16
	v_dot4c_i32_i8_e32 v93, v2, v9
	v_dot4c_i32_i8_e32 v93, v16, v13
	s_waitcnt lgkmcnt(2)
	v_and_b32_e32 v2, 0xf0f0f0f, v18
	v_lshrrev_b32_e32 v16, 4, v18
	v_mov_b32_e32 v95, 0
	v_and_b32_e32 v16, 0xf0f0f0f, v16
	v_dot4c_i32_i8_e32 v95, v2, v6
	v_dot4c_i32_i8_e32 v95, v16, v10
	v_and_b32_e32 v2, 0xf0f0f0f, v19
	v_lshrrev_b32_e32 v6, 4, v19
	v_and_b32_e32 v6, 0xf0f0f0f, v6
	v_dot4c_i32_i8_e32 v95, v2, v7
	v_dot4c_i32_i8_e32 v95, v6, v11
	s_waitcnt lgkmcnt(1)
	v_and_b32_e32 v2, 0xf0f0f0f, v20
	v_lshrrev_b32_e32 v6, 4, v20
	v_and_b32_e32 v6, 0xf0f0f0f, v6
	v_dot4c_i32_i8_e32 v95, v2, v8
	v_dot4c_i32_i8_e32 v95, v6, v12
	v_and_b32_e32 v2, 0xf0f0f0f, v21
	v_lshrrev_b32_e32 v6, 4, v21
	v_and_b32_e32 v6, 0xf0f0f0f, v6
	v_dot4c_i32_i8_e32 v95, v2, v9
	v_dot4c_i32_i8_e32 v95, v6, v13
	ds_read_b128 v[6:9], v118 offset:64
	ds_read_b128 v[10:13], v118 offset:80
	v_pk_mul_f16 v73, v3, v73
	v_pk_mul_f16 v94, v3, v139
	;; [unrolled: 1-line block ×3, first 2 shown]
	v_and_b32_e32 v2, 0xf0f0f0f, v86
	v_lshrrev_b32_e32 v3, 4, v86
	v_mov_b32_e32 v86, 0
	v_and_b32_e32 v3, 0xf0f0f0f, v3
	s_waitcnt lgkmcnt(1)
	v_dot4c_i32_i8_e32 v86, v2, v6
	s_waitcnt lgkmcnt(0)
	v_dot4c_i32_i8_e32 v86, v3, v10
	v_and_b32_e32 v2, 0xf0f0f0f, v87
	v_lshrrev_b32_e32 v3, 4, v87
	v_and_b32_e32 v3, 0xf0f0f0f, v3
	v_dot4c_i32_i8_e32 v86, v2, v7
	v_dot4c_i32_i8_e32 v86, v3, v11
	v_and_b32_e32 v2, 0xf0f0f0f, v88
	v_lshrrev_b32_e32 v3, 4, v88
	v_and_b32_e32 v3, 0xf0f0f0f, v3
	v_dot4c_i32_i8_e32 v86, v2, v8
	;; [unrolled: 5-line block ×3, first 2 shown]
	v_dot4c_i32_i8_e32 v86, v3, v13
	v_and_b32_e32 v2, 0xf0f0f0f, v80
	v_lshrrev_b32_e32 v3, 4, v80
	v_mov_b32_e32 v87, 0
	v_and_b32_e32 v3, 0xf0f0f0f, v3
	v_dot4c_i32_i8_e32 v87, v2, v6
	v_dot4c_i32_i8_e32 v87, v3, v10
	v_and_b32_e32 v2, 0xf0f0f0f, v81
	v_lshrrev_b32_e32 v3, 4, v81
	v_and_b32_e32 v3, 0xf0f0f0f, v3
	v_dot4c_i32_i8_e32 v87, v2, v7
	v_add_u32_e32 v2, 0x10e8, v120
	v_dot4c_i32_i8_e32 v87, v3, v11
	ds_read2_b32 v[2:3], v2 offset1:1
	v_add_u32_e32 v16, 0x2160, v120
	v_add_u32_e32 v18, 0x2168, v120
	;; [unrolled: 1-line block ×3, first 2 shown]
	ds_read2_b32 v[16:17], v16 offset1:1
	ds_read2_b32 v[18:19], v18 offset1:1
	;; [unrolled: 1-line block ×3, first 2 shown]
	s_waitcnt lgkmcnt(3)
	v_and_b32_e32 v80, 0xf0f0f0f, v2
	v_lshrrev_b32_e32 v2, 4, v2
	v_and_b32_e32 v2, 0xf0f0f0f, v2
	v_dot4c_i32_i8_e32 v87, v80, v8
	v_dot4c_i32_i8_e32 v87, v2, v12
	v_and_b32_e32 v2, 0xf0f0f0f, v3
	v_lshrrev_b32_e32 v3, 4, v3
	v_and_b32_e32 v3, 0xf0f0f0f, v3
	v_dot4c_i32_i8_e32 v87, v2, v9
	v_dot4c_i32_i8_e32 v87, v3, v13
	s_waitcnt lgkmcnt(2)
	v_and_b32_e32 v2, 0xf0f0f0f, v16
	v_lshrrev_b32_e32 v3, 4, v16
	v_mov_b32_e32 v88, 0
	v_and_b32_e32 v3, 0xf0f0f0f, v3
	v_dot4c_i32_i8_e32 v88, v2, v6
	v_dot4c_i32_i8_e32 v88, v3, v10
	v_and_b32_e32 v2, 0xf0f0f0f, v17
	v_lshrrev_b32_e32 v3, 4, v17
	v_and_b32_e32 v3, 0xf0f0f0f, v3
	v_dot4c_i32_i8_e32 v88, v2, v7
	v_dot4c_i32_i8_e32 v88, v3, v11
	s_waitcnt lgkmcnt(1)
	v_and_b32_e32 v2, 0xf0f0f0f, v18
	v_lshrrev_b32_e32 v3, 4, v18
	v_and_b32_e32 v3, 0xf0f0f0f, v3
	v_dot4c_i32_i8_e32 v88, v2, v8
	v_dot4c_i32_i8_e32 v88, v3, v12
	v_and_b32_e32 v2, 0xf0f0f0f, v19
	v_lshrrev_b32_e32 v3, 4, v19
	v_and_b32_e32 v3, 0xf0f0f0f, v3
	v_dot4c_i32_i8_e32 v88, v2, v9
	v_dot4c_i32_i8_e32 v88, v3, v13
	s_waitcnt lgkmcnt(0)
	v_and_b32_e32 v2, 0xf0f0f0f, v20
	v_lshrrev_b32_e32 v3, 4, v20
	v_mov_b32_e32 v97, 0
	v_and_b32_e32 v3, 0xf0f0f0f, v3
	v_dot4c_i32_i8_e32 v97, v2, v6
	v_dot4c_i32_i8_e32 v97, v3, v10
	v_and_b32_e32 v2, 0xf0f0f0f, v21
	v_lshrrev_b32_e32 v3, 4, v21
	v_and_b32_e32 v3, 0xf0f0f0f, v3
	v_dot4c_i32_i8_e32 v97, v2, v7
	v_add_u32_e32 v2, 0x31e8, v120
	v_dot4c_i32_i8_e32 v97, v3, v11
	ds_read2_b32 v[2:3], v2 offset1:1
	v_add_u32_e32 v6, 0x10f0, v120
	v_add_u32_e32 v7, 0x10f8, v120
	;; [unrolled: 1-line block ×3, first 2 shown]
	ds_read2_b32 v[16:17], v6 offset1:1
	ds_read2_b32 v[18:19], v7 offset1:1
	;; [unrolled: 1-line block ×3, first 2 shown]
	s_waitcnt lgkmcnt(3)
	v_and_b32_e32 v6, 0xf0f0f0f, v2
	v_lshrrev_b32_e32 v2, 4, v2
	v_and_b32_e32 v2, 0xf0f0f0f, v2
	v_dot4c_i32_i8_e32 v97, v6, v8
	v_dot4c_i32_i8_e32 v97, v2, v12
	v_and_b32_e32 v2, 0xf0f0f0f, v3
	v_lshrrev_b32_e32 v3, 4, v3
	v_and_b32_e32 v3, 0xf0f0f0f, v3
	v_dot4c_i32_i8_e32 v97, v2, v9
	v_dot4c_i32_i8_e32 v97, v3, v13
	ds_read_b128 v[6:9], v118 offset:96
	ds_read_b128 v[10:13], v118 offset:112
	v_pk_mul_f16 v84, v4, v84
	v_pk_mul_f16 v76, v4, v76
	;; [unrolled: 1-line block ×4, first 2 shown]
	v_and_b32_e32 v2, 0xf0f0f0f, v74
	v_lshrrev_b32_e32 v3, 4, v74
	v_mov_b32_e32 v4, 0
	v_and_b32_e32 v3, 0xf0f0f0f, v3
	s_waitcnt lgkmcnt(1)
	v_dot4c_i32_i8_e32 v4, v2, v6
	s_waitcnt lgkmcnt(0)
	v_dot4c_i32_i8_e32 v4, v3, v10
	v_and_b32_e32 v2, 0xf0f0f0f, v75
	v_lshrrev_b32_e32 v3, 4, v75
	v_and_b32_e32 v3, 0xf0f0f0f, v3
	v_dot4c_i32_i8_e32 v4, v2, v7
	v_dot4c_i32_i8_e32 v4, v3, v11
	v_and_b32_e32 v2, 0xf0f0f0f, v78
	v_lshrrev_b32_e32 v3, 4, v78
	v_and_b32_e32 v3, 0xf0f0f0f, v3
	v_dot4c_i32_i8_e32 v4, v2, v8
	v_dot4c_i32_i8_e32 v4, v3, v12
	v_and_b32_e32 v2, 0xf0f0f0f, v79
	v_lshrrev_b32_e32 v3, 4, v79
	v_and_b32_e32 v3, 0xf0f0f0f, v3
	v_dot4c_i32_i8_e32 v4, v2, v9
	v_dot4c_i32_i8_e32 v4, v3, v13
	v_pk_mul_f16 v14, v5, v85
	v_and_b32_e32 v2, 0xf0f0f0f, v16
	v_lshrrev_b32_e32 v3, 4, v16
	v_mov_b32_e32 v85, 0
	v_and_b32_e32 v3, 0xf0f0f0f, v3
	v_dot4c_i32_i8_e32 v85, v2, v6
	v_dot4c_i32_i8_e32 v85, v3, v10
	v_and_b32_e32 v2, 0xf0f0f0f, v17
	v_lshrrev_b32_e32 v3, 4, v17
	v_and_b32_e32 v3, 0xf0f0f0f, v3
	v_dot4c_i32_i8_e32 v85, v2, v7
	v_dot4c_i32_i8_e32 v85, v3, v11
	v_and_b32_e32 v2, 0xf0f0f0f, v18
	v_lshrrev_b32_e32 v3, 4, v18
	;; [unrolled: 5-line block ×3, first 2 shown]
	v_and_b32_e32 v3, 0xf0f0f0f, v3
	v_dot4c_i32_i8_e32 v85, v2, v9
	v_dot4c_i32_i8_e32 v85, v3, v13
	v_cvt_f32_f16_e32 v3, v92
	v_cvt_f32_f16_e32 v2, v91
	v_cvt_f32_f16_sdwa v17, v92 dst_sel:DWORD dst_unused:UNUSED_PAD src0_sel:WORD_1
	v_cvt_f32_f16_sdwa v16, v91 dst_sel:DWORD dst_unused:UNUSED_PAD src0_sel:WORD_1
	v_cvt_f32_i32_e32 v19, v135
	v_cvt_f32_i32_e32 v18, v90
	v_cvt_f32_f16_e32 v75, v83
	v_cvt_f32_f16_e32 v74, v73
	v_cvt_f32_f16_sdwa v79, v83 dst_sel:DWORD dst_unused:UNUSED_PAD src0_sel:WORD_1
	v_cvt_f32_f16_sdwa v78, v73 dst_sel:DWORD dst_unused:UNUSED_PAD src0_sel:WORD_1
	v_cvt_f32_i32_e32 v81, v82
	v_cvt_f32_i32_e32 v80, v141
	v_pk_fma_f32 v[2:3], v[2:3], v[18:19], v[16:17]
	v_pk_mul_f16 v73, v5, v77
	v_pk_add_f32 v[2:3], v[66:67], v[2:3]
	v_pk_fma_f32 v[16:17], v[74:75], v[80:81], v[78:79]
	v_cvt_f32_f16_e32 v19, v76
	v_cvt_f32_f16_e32 v18, v84
	v_cvt_f32_f16_sdwa v67, v76 dst_sel:DWORD dst_unused:UNUSED_PAD src0_sel:WORD_1
	v_cvt_f32_f16_sdwa v66, v84 dst_sel:DWORD dst_unused:UNUSED_PAD src0_sel:WORD_1
	v_cvt_f32_i32_e32 v75, v87
	v_cvt_f32_i32_e32 v74, v86
	v_cvt_f32_f16_e32 v77, v73
	v_cvt_f32_f16_e32 v76, v14
	v_cvt_f32_f16_sdwa v79, v73 dst_sel:DWORD dst_unused:UNUSED_PAD src0_sel:WORD_1
	v_cvt_f32_f16_sdwa v78, v14 dst_sel:DWORD dst_unused:UNUSED_PAD src0_sel:WORD_1
	v_cvt_f32_i32_e32 v81, v85
	v_cvt_f32_i32_e32 v80, v4
	v_pk_add_f32 v[2:3], v[2:3], v[16:17]
	v_pk_fma_f32 v[16:17], v[18:19], v[74:75], v[66:67]
	v_pk_add_f32 v[2:3], v[2:3], v[16:17]
	v_pk_fma_f32 v[16:17], v[76:77], v[80:81], v[78:79]
	v_pk_add_f32 v[66:67], v[2:3], v[16:17]
	v_and_b32_e32 v2, 0xf0f0f0f, v20
	v_lshrrev_b32_e32 v3, 4, v20
	v_mov_b32_e32 v20, 0
	v_and_b32_e32 v3, 0xf0f0f0f, v3
	v_dot4c_i32_i8_e32 v20, v2, v6
	v_dot4c_i32_i8_e32 v20, v3, v10
	v_and_b32_e32 v2, 0xf0f0f0f, v21
	v_lshrrev_b32_e32 v3, 4, v21
	v_and_b32_e32 v3, 0xf0f0f0f, v3
	v_dot4c_i32_i8_e32 v20, v2, v7
	v_add_u32_e32 v2, 0x2178, v120
	v_dot4c_i32_i8_e32 v20, v3, v11
	ds_read2_b32 v[2:3], v2 offset1:1
	v_add_u32_e32 v4, 0x31f0, v120
	v_add_u32_e32 v14, 0x31f8, v120
	ds_read2_b32 v[16:17], v4 offset1:1
	ds_read2_b32 v[18:19], v14 offset1:1
	v_pk_mul_f16 v21, v5, v15
	s_waitcnt lgkmcnt(2)
	v_and_b32_e32 v4, 0xf0f0f0f, v2
	v_lshrrev_b32_e32 v2, 4, v2
	v_and_b32_e32 v2, 0xf0f0f0f, v2
	v_dot4c_i32_i8_e32 v20, v4, v8
	v_dot4c_i32_i8_e32 v20, v2, v12
	v_and_b32_e32 v2, 0xf0f0f0f, v3
	v_lshrrev_b32_e32 v3, 4, v3
	v_and_b32_e32 v3, 0xf0f0f0f, v3
	v_dot4c_i32_i8_e32 v20, v2, v9
	v_dot4c_i32_i8_e32 v20, v3, v13
	s_waitcnt lgkmcnt(1)
	v_and_b32_e32 v2, 0xf0f0f0f, v16
	v_lshrrev_b32_e32 v3, 4, v16
	v_mov_b32_e32 v16, 0
	v_and_b32_e32 v3, 0xf0f0f0f, v3
	v_dot4c_i32_i8_e32 v16, v2, v6
	v_dot4c_i32_i8_e32 v16, v3, v10
	v_and_b32_e32 v2, 0xf0f0f0f, v17
	v_lshrrev_b32_e32 v3, 4, v17
	v_and_b32_e32 v3, 0xf0f0f0f, v3
	v_dot4c_i32_i8_e32 v16, v2, v7
	v_dot4c_i32_i8_e32 v16, v3, v11
	s_waitcnt lgkmcnt(0)
	v_and_b32_e32 v2, 0xf0f0f0f, v18
	v_lshrrev_b32_e32 v3, 4, v18
	v_and_b32_e32 v3, 0xf0f0f0f, v3
	v_dot4c_i32_i8_e32 v16, v2, v8
	v_dot4c_i32_i8_e32 v16, v3, v12
	v_and_b32_e32 v2, 0xf0f0f0f, v19
	v_lshrrev_b32_e32 v3, 4, v19
	v_and_b32_e32 v3, 0xf0f0f0f, v3
	v_dot4c_i32_i8_e32 v16, v2, v9
	v_dot4c_i32_i8_e32 v16, v3, v13
	v_cvt_f32_f16_e32 v3, v136
	v_cvt_f32_f16_e32 v2, v138
	v_cvt_f32_f16_sdwa v7, v136 dst_sel:DWORD dst_unused:UNUSED_PAD src0_sel:WORD_1
	v_cvt_f32_f16_sdwa v6, v138 dst_sel:DWORD dst_unused:UNUSED_PAD src0_sel:WORD_1
	v_cvt_f32_i32_e32 v9, v140
	v_cvt_f32_i32_e32 v8, v72
	v_cvt_f32_f16_e32 v11, v96
	v_cvt_f32_f16_e32 v10, v94
	v_cvt_f32_f16_sdwa v13, v96 dst_sel:DWORD dst_unused:UNUSED_PAD src0_sel:WORD_1
	v_cvt_f32_f16_sdwa v12, v94 dst_sel:DWORD dst_unused:UNUSED_PAD src0_sel:WORD_1
	v_cvt_f32_i32_e32 v15, v95
	v_cvt_f32_i32_e32 v14, v93
	v_pk_mul_f16 v17, v5, v71
	v_pk_fma_f32 v[2:3], v[2:3], v[8:9], v[6:7]
	v_cvt_f32_f16_e32 v7, v70
	v_pk_fma_f32 v[4:5], v[10:11], v[14:15], v[12:13]
	v_cvt_f32_f16_e32 v6, v89
	v_cvt_f32_f16_sdwa v9, v70 dst_sel:DWORD dst_unused:UNUSED_PAD src0_sel:WORD_1
	v_cvt_f32_f16_sdwa v8, v89 dst_sel:DWORD dst_unused:UNUSED_PAD src0_sel:WORD_1
	v_cvt_f32_i32_e32 v11, v97
	v_cvt_f32_i32_e32 v10, v88
	v_cvt_f32_f16_e32 v13, v17
	v_cvt_f32_f16_e32 v12, v21
	v_cvt_f32_f16_sdwa v15, v17 dst_sel:DWORD dst_unused:UNUSED_PAD src0_sel:WORD_1
	v_cvt_f32_f16_sdwa v14, v21 dst_sel:DWORD dst_unused:UNUSED_PAD src0_sel:WORD_1
	v_cvt_f32_i32_e32 v17, v16
	v_cvt_f32_i32_e32 v16, v20
	v_pk_add_f32 v[2:3], v[68:69], v[2:3]
	v_pk_add_f32 v[2:3], v[2:3], v[4:5]
	v_pk_fma_f32 v[4:5], v[6:7], v[10:11], v[8:9]
	v_pk_add_f32 v[2:3], v[2:3], v[4:5]
	v_pk_fma_f32 v[4:5], v[12:13], v[16:17], v[14:15]
	v_pk_add_f32 v[68:69], v[2:3], v[4:5]
	s_barrier
.LBB199_5:                              ;   in Loop: Header=BB199_6 Depth=1
	v_add_co_u32_e32 v24, vcc, 0x120, v24
	v_addc_co_u32_e32 v25, vcc, 0, v25, vcc
	v_add_co_u32_e32 v26, vcc, 0xa0, v26
	v_addc_co_u32_e32 v1, vcc, 0, v1, vcc
	;; [unrolled: 2-line block ×20, first 2 shown]
	s_add_i32 s16, s16, 8
	s_addk_i32 s20, 0x100
	v_add_co_u32_e32 v64, vcc, 0xa0, v64
	s_cmp_ge_i32 s16, s19
	v_addc_co_u32_e32 v63, vcc, 0, v63, vcc
	s_cbranch_scc1 .LBB199_20
.LBB199_6:                              ; =>This Inner Loop Header: Depth=1
	v_add_co_u32_e32 v2, vcc, s14, v26
	v_addc_co_u32_e32 v3, vcc, v1, v133, vcc
	global_load_dword v4, v[2:3], off
	v_add_co_u32_e32 v2, vcc, s14, v28
	v_addc_co_u32_e32 v3, vcc, v27, v133, vcc
	global_load_dword v5, v[2:3], off
	v_add_co_u32_e32 v2, vcc, s14, v30
	v_addc_co_u32_e32 v3, vcc, v29, v133, vcc
	global_load_dword v6, v[2:3], off
	v_add_co_u32_e32 v2, vcc, s14, v32
	v_addc_co_u32_e32 v3, vcc, v31, v133, vcc
	global_load_dword v7, v[2:3], off
	v_add_co_u32_e32 v2, vcc, s14, v34
	v_addc_co_u32_e32 v3, vcc, v33, v133, vcc
	global_load_dword v8, v[2:3], off
	v_add_co_u32_e32 v2, vcc, s14, v36
	v_addc_co_u32_e32 v3, vcc, v35, v133, vcc
	global_load_dword v9, v[2:3], off
	v_add_co_u32_e32 v2, vcc, s14, v38
	v_addc_co_u32_e32 v3, vcc, v37, v133, vcc
	global_load_dword v10, v[2:3], off
	v_add_co_u32_e32 v2, vcc, s14, v40
	v_addc_co_u32_e32 v3, vcc, v39, v133, vcc
	global_load_dword v11, v[2:3], off
	v_add_co_u32_e32 v2, vcc, s14, v42
	v_addc_co_u32_e32 v3, vcc, v41, v133, vcc
	global_load_dword v12, v[2:3], off
	v_add_co_u32_e32 v2, vcc, s14, v44
	v_addc_co_u32_e32 v3, vcc, v43, v133, vcc
	global_load_dword v13, v[2:3], off
	v_add_co_u32_e32 v2, vcc, s14, v46
	v_addc_co_u32_e32 v3, vcc, v45, v133, vcc
	global_load_dword v14, v[2:3], off
	v_add_co_u32_e32 v2, vcc, s14, v48
	v_addc_co_u32_e32 v3, vcc, v47, v133, vcc
	global_load_dword v15, v[2:3], off
	v_add_co_u32_e32 v2, vcc, s14, v50
	v_addc_co_u32_e32 v3, vcc, v49, v133, vcc
	global_load_dword v16, v[2:3], off
	v_add_co_u32_e32 v2, vcc, s14, v52
	v_addc_co_u32_e32 v3, vcc, v51, v133, vcc
	global_load_dword v17, v[2:3], off
	v_add_co_u32_e32 v2, vcc, s14, v54
	v_addc_co_u32_e32 v3, vcc, v53, v133, vcc
	global_load_dword v18, v[2:3], off
	v_add_co_u32_e32 v2, vcc, s14, v56
	v_addc_co_u32_e32 v3, vcc, v55, v133, vcc
	global_load_dword v19, v[2:3], off
	v_add_co_u32_e32 v2, vcc, s14, v58
	v_addc_co_u32_e32 v3, vcc, v57, v133, vcc
	global_load_dword v20, v[2:3], off
	v_add_co_u32_e32 v2, vcc, s14, v60
	v_addc_co_u32_e32 v3, vcc, v59, v133, vcc
	global_load_dword v21, v[2:3], off
	v_add_co_u32_e32 v2, vcc, s14, v62
	v_addc_co_u32_e32 v3, vcc, v61, v133, vcc
	global_load_dword v70, v[2:3], off
	v_add_co_u32_e32 v2, vcc, s14, v64
	v_addc_co_u32_e32 v3, vcc, v63, v133, vcc
	global_load_dword v2, v[2:3], off
	s_add_i32 s4, s20, 0xffffff80
	s_cmp_lt_i32 s4, s15
	s_waitcnt vmcnt(19)
	ds_write_b32 v99, v4
	s_waitcnt vmcnt(18)
	ds_write_b32 v100, v5
	;; [unrolled: 2-line block ×20, first 2 shown]
	s_cbranch_scc0 .LBB199_5
; %bb.7:                                ;   in Loop: Header=BB199_6 Depth=1
	v_add_u32_e32 v2, s16, v115
	v_cmp_gt_i32_e32 vcc, s9, v2
	s_and_b64 s[22:23], s[2:3], vcc
	s_and_saveexec_b64 s[4:5], s[22:23]
	s_cbranch_execz .LBB199_9
; %bb.8:                                ;   in Loop: Header=BB199_6 Depth=1
	v_add_u32_e32 v2, s16, v128
	v_mad_i64_i32 v[2:3], s[22:23], v2, 36, v[22:23]
	global_load_dword v2, v[2:3], off offset:4
	s_waitcnt vmcnt(0)
	ds_write_b32 v116, v2
.LBB199_9:                              ;   in Loop: Header=BB199_6 Depth=1
	s_or_b64 exec, exec, s[4:5]
	s_and_saveexec_b64 s[4:5], s[0:1]
	s_cbranch_execz .LBB199_12
; %bb.10:                               ;   in Loop: Header=BB199_6 Depth=1
	v_add_u32_e32 v2, s16, v98
	v_cmp_gt_i32_e32 vcc, s9, v2
	s_and_b64 s[22:23], s[2:3], vcc
	s_and_b64 exec, exec, s[22:23]
	s_cbranch_execz .LBB199_12
; %bb.11:                               ;   in Loop: Header=BB199_6 Depth=1
	v_add_u32_e32 v2, s16, v126
	v_mad_i64_i32 v[2:3], s[22:23], v2, 36, s[6:7]
	global_load_dword v2, v[2:3], off
	s_waitcnt vmcnt(0)
	ds_write_b32 v117, v2
.LBB199_12:                             ;   in Loop: Header=BB199_6 Depth=1
	s_or_b64 exec, exec, s[4:5]
	s_waitcnt lgkmcnt(0)
	s_barrier
	ds_read_b128 v[2:5], v119
	ds_read2_b32 v[70:71], v120 offset1:1
	ds_read_b128 v[14:17], v118
	ds_read_b128 v[18:21], v118 offset:16
	ds_read_b128 v[6:9], v118 offset:32
	;; [unrolled: 1-line block ×3, first 2 shown]
	ds_read2_b32 v[72:73], v121 offset1:1
	s_waitcnt lgkmcnt(5)
	v_and_b32_e32 v74, 0xf0f0f0f, v70
	v_lshrrev_b32_e32 v70, 4, v70
	v_mov_b32_e32 v76, 0
	v_and_b32_e32 v70, 0xf0f0f0f, v70
	s_waitcnt lgkmcnt(4)
	v_dot4c_i32_i8_e32 v76, v74, v14
	s_waitcnt lgkmcnt(3)
	v_dot4c_i32_i8_e32 v76, v70, v18
	v_and_b32_e32 v70, 0xf0f0f0f, v71
	v_lshrrev_b32_e32 v71, 4, v71
	v_and_b32_e32 v74, 0xf0f0f0f, v71
	v_dot4c_i32_i8_e32 v76, v70, v15
	ds_read2_b32 v[70:71], v120 offset0:2 offset1:3
	v_dot4c_i32_i8_e32 v76, v74, v19
	ds_read2_b32 v[88:89], v120 offset0:4 offset1:5
	ds_read2_b32 v[90:91], v120 offset0:6 offset1:7
	;; [unrolled: 1-line block ×6, first 2 shown]
	s_waitcnt lgkmcnt(7)
	v_pk_mul_f16 v135, v2, v72
	s_waitcnt lgkmcnt(6)
	v_and_b32_e32 v74, 0xf0f0f0f, v70
	v_dot4c_i32_i8_e32 v76, v74, v16
	ds_read2_b32 v[74:75], v134 offset1:1
	v_lshrrev_b32_e32 v70, 4, v70
	v_mov_b32_e32 v81, 0
	v_and_b32_e32 v70, 0xf0f0f0f, v70
	v_dot4c_i32_i8_e32 v76, v70, v20
	s_waitcnt lgkmcnt(0)
	v_and_b32_e32 v72, 0xf0f0f0f, v74
	v_lshrrev_b32_e32 v74, 4, v74
	v_and_b32_e32 v74, 0xf0f0f0f, v74
	v_dot4c_i32_i8_e32 v81, v72, v14
	v_and_b32_e32 v70, 0xf0f0f0f, v71
	v_lshrrev_b32_e32 v71, 4, v71
	v_dot4c_i32_i8_e32 v81, v74, v18
	v_and_b32_e32 v72, 0xf0f0f0f, v75
	v_lshrrev_b32_e32 v74, 4, v75
	v_and_b32_e32 v71, 0xf0f0f0f, v71
	v_dot4c_i32_i8_e32 v76, v70, v17
	v_and_b32_e32 v74, 0xf0f0f0f, v74
	v_dot4c_i32_i8_e32 v81, v72, v15
	v_add_u32_e32 v72, 0x1088, v120
	v_dot4c_i32_i8_e32 v76, v71, v21
	ds_read2_b32 v[136:137], v122 offset1:1
	ds_read2_b32 v[70:71], v124 offset0:2 offset1:3
	v_dot4c_i32_i8_e32 v81, v74, v19
	ds_read2_b32 v[74:75], v72 offset1:1
	v_cvt_f32_i32_e32 v80, v76
	v_add_u32_e32 v76, 0x2100, v120
	v_add_u32_e32 v72, 0x3180, v120
	;; [unrolled: 1-line block ×3, first 2 shown]
	ds_read2_b32 v[76:77], v76 offset1:1
	ds_read2_b32 v[138:139], v79 offset1:1
	ds_read2_b32 v[140:141], v72 offset1:1
	s_waitcnt lgkmcnt(3)
	v_and_b32_e32 v72, 0xf0f0f0f, v74
	v_lshrrev_b32_e32 v74, 4, v74
	v_and_b32_e32 v74, 0xf0f0f0f, v74
	v_dot4c_i32_i8_e32 v81, v72, v16
	v_dot4c_i32_i8_e32 v81, v74, v20
	v_and_b32_e32 v72, 0xf0f0f0f, v75
	v_lshrrev_b32_e32 v74, 4, v75
	v_and_b32_e32 v74, 0xf0f0f0f, v74
	v_dot4c_i32_i8_e32 v81, v72, v17
	v_dot4c_i32_i8_e32 v81, v74, v21
	s_waitcnt lgkmcnt(2)
	v_and_b32_e32 v72, 0xf0f0f0f, v76
	v_lshrrev_b32_e32 v74, 4, v76
	v_mov_b32_e32 v75, 0
	v_and_b32_e32 v74, 0xf0f0f0f, v74
	v_dot4c_i32_i8_e32 v75, v72, v14
	v_dot4c_i32_i8_e32 v75, v74, v18
	v_and_b32_e32 v72, 0xf0f0f0f, v77
	v_lshrrev_b32_e32 v74, 4, v77
	v_and_b32_e32 v74, 0xf0f0f0f, v74
	v_dot4c_i32_i8_e32 v75, v72, v15
	v_dot4c_i32_i8_e32 v75, v74, v19
	s_waitcnt lgkmcnt(1)
	v_and_b32_e32 v72, 0xf0f0f0f, v138
	v_lshrrev_b32_e32 v74, 4, v138
	v_and_b32_e32 v74, 0xf0f0f0f, v74
	v_dot4c_i32_i8_e32 v75, v72, v16
	v_dot4c_i32_i8_e32 v75, v74, v20
	v_and_b32_e32 v72, 0xf0f0f0f, v139
	v_lshrrev_b32_e32 v74, 4, v139
	v_and_b32_e32 v74, 0xf0f0f0f, v74
	v_dot4c_i32_i8_e32 v75, v72, v17
	v_dot4c_i32_i8_e32 v75, v74, v21
	s_waitcnt lgkmcnt(0)
	v_and_b32_e32 v72, 0xf0f0f0f, v140
	v_mov_b32_e32 v77, 0
	v_dot4c_i32_i8_e32 v77, v72, v14
	v_cvt_f32_i32_e32 v76, v75
	v_lshrrev_b32_e32 v75, 4, v140
	v_and_b32_e32 v75, 0xf0f0f0f, v75
	v_dot4c_i32_i8_e32 v77, v75, v18
	v_and_b32_e32 v14, 0xf0f0f0f, v141
	v_dot4c_i32_i8_e32 v77, v14, v15
	v_add_u32_e32 v14, 0x3188, v120
	ds_read2_b32 v[142:143], v123 offset1:1
	ds_read2_b32 v[86:87], v122 offset0:2 offset1:3
	ds_read2_b32 v[92:93], v121 offset0:2 offset1:3
	ds_read2_b32 v[14:15], v14 offset1:1
	v_lshrrev_b32_e32 v18, 4, v141
	v_and_b32_e32 v18, 0xf0f0f0f, v18
	v_dot4c_i32_i8_e32 v77, v18, v19
	v_add_u32_e32 v18, 0x1090, v120
	v_add_u32_e32 v72, 0x1098, v120
	;; [unrolled: 1-line block ×3, first 2 shown]
	ds_read2_b32 v[18:19], v18 offset1:1
	ds_read2_b32 v[138:139], v72 offset1:1
	;; [unrolled: 1-line block ×4, first 2 shown]
	s_waitcnt lgkmcnt(4)
	v_and_b32_e32 v72, 0xf0f0f0f, v14
	v_lshrrev_b32_e32 v14, 4, v14
	v_and_b32_e32 v14, 0xf0f0f0f, v14
	v_dot4c_i32_i8_e32 v77, v72, v16
	v_dot4c_i32_i8_e32 v77, v14, v20
	v_and_b32_e32 v14, 0xf0f0f0f, v15
	v_lshrrev_b32_e32 v15, 4, v15
	v_and_b32_e32 v15, 0xf0f0f0f, v15
	v_dot4c_i32_i8_e32 v77, v14, v17
	v_pk_mul_f16 v136, v2, v136
	v_pk_mul_f16 v142, v2, v142
	v_dot4c_i32_i8_e32 v77, v15, v21
	ds_read2_b32 v[14:15], v123 offset0:2 offset1:3
	s_waitcnt lgkmcnt(1)
	v_pk_mul_f16 v144, v2, v144
	v_and_b32_e32 v2, 0xf0f0f0f, v88
	v_lshrrev_b32_e32 v16, 4, v88
	v_mov_b32_e32 v88, 0
	v_and_b32_e32 v16, 0xf0f0f0f, v16
	v_dot4c_i32_i8_e32 v88, v2, v6
	v_dot4c_i32_i8_e32 v88, v16, v10
	v_and_b32_e32 v2, 0xf0f0f0f, v89
	v_lshrrev_b32_e32 v16, 4, v89
	v_and_b32_e32 v16, 0xf0f0f0f, v16
	v_dot4c_i32_i8_e32 v88, v2, v7
	v_dot4c_i32_i8_e32 v88, v16, v11
	v_and_b32_e32 v2, 0xf0f0f0f, v90
	v_lshrrev_b32_e32 v16, 4, v90
	;; [unrolled: 5-line block ×4, first 2 shown]
	v_mov_b32_e32 v90, 0
	v_and_b32_e32 v16, 0xf0f0f0f, v16
	v_dot4c_i32_i8_e32 v90, v2, v6
	v_dot4c_i32_i8_e32 v90, v16, v10
	v_and_b32_e32 v2, 0xf0f0f0f, v19
	v_lshrrev_b32_e32 v16, 4, v19
	v_and_b32_e32 v16, 0xf0f0f0f, v16
	v_dot4c_i32_i8_e32 v90, v2, v7
	v_dot4c_i32_i8_e32 v90, v16, v11
	v_and_b32_e32 v2, 0xf0f0f0f, v138
	v_lshrrev_b32_e32 v16, 4, v138
	;; [unrolled: 5-line block ×3, first 2 shown]
	v_and_b32_e32 v16, 0xf0f0f0f, v16
	v_dot4c_i32_i8_e32 v90, v2, v9
	v_dot4c_i32_i8_e32 v90, v16, v13
	v_pk_mul_f16 v91, v3, v137
	v_and_b32_e32 v2, 0xf0f0f0f, v140
	v_lshrrev_b32_e32 v16, 4, v140
	v_mov_b32_e32 v137, 0
	v_and_b32_e32 v16, 0xf0f0f0f, v16
	v_dot4c_i32_i8_e32 v137, v2, v6
	v_dot4c_i32_i8_e32 v137, v16, v10
	v_and_b32_e32 v2, 0xf0f0f0f, v141
	v_lshrrev_b32_e32 v16, 4, v141
	v_and_b32_e32 v16, 0xf0f0f0f, v16
	v_dot4c_i32_i8_e32 v137, v2, v7
	v_add_u32_e32 v2, 0x2118, v120
	v_dot4c_i32_i8_e32 v137, v16, v11
	ds_read2_b32 v[16:17], v2 offset1:1
	v_add_u32_e32 v18, 0x3190, v120
	v_add_u32_e32 v20, 0x3198, v120
	;; [unrolled: 1-line block ×3, first 2 shown]
	v_pk_mul_f16 v89, v3, v73
	ds_read2_b32 v[18:19], v18 offset1:1
	ds_read2_b32 v[20:21], v20 offset1:1
	;; [unrolled: 1-line block ×3, first 2 shown]
	s_waitcnt lgkmcnt(3)
	v_and_b32_e32 v2, 0xf0f0f0f, v16
	v_lshrrev_b32_e32 v16, 4, v16
	v_and_b32_e32 v16, 0xf0f0f0f, v16
	v_dot4c_i32_i8_e32 v137, v2, v8
	v_dot4c_i32_i8_e32 v137, v16, v12
	v_and_b32_e32 v2, 0xf0f0f0f, v17
	v_lshrrev_b32_e32 v16, 4, v17
	v_and_b32_e32 v16, 0xf0f0f0f, v16
	v_dot4c_i32_i8_e32 v137, v2, v9
	v_dot4c_i32_i8_e32 v137, v16, v13
	s_waitcnt lgkmcnt(2)
	v_and_b32_e32 v2, 0xf0f0f0f, v18
	v_lshrrev_b32_e32 v16, 4, v18
	v_mov_b32_e32 v139, 0
	v_and_b32_e32 v16, 0xf0f0f0f, v16
	v_dot4c_i32_i8_e32 v139, v2, v6
	v_dot4c_i32_i8_e32 v139, v16, v10
	v_and_b32_e32 v2, 0xf0f0f0f, v19
	v_lshrrev_b32_e32 v6, 4, v19
	v_and_b32_e32 v6, 0xf0f0f0f, v6
	v_dot4c_i32_i8_e32 v139, v2, v7
	v_dot4c_i32_i8_e32 v139, v6, v11
	s_waitcnt lgkmcnt(1)
	v_and_b32_e32 v2, 0xf0f0f0f, v20
	v_lshrrev_b32_e32 v6, 4, v20
	v_and_b32_e32 v6, 0xf0f0f0f, v6
	v_dot4c_i32_i8_e32 v139, v2, v8
	v_dot4c_i32_i8_e32 v139, v6, v12
	v_and_b32_e32 v2, 0xf0f0f0f, v21
	v_lshrrev_b32_e32 v6, 4, v21
	v_and_b32_e32 v6, 0xf0f0f0f, v6
	v_dot4c_i32_i8_e32 v139, v2, v9
	v_dot4c_i32_i8_e32 v139, v6, v13
	ds_read_b128 v[6:9], v118 offset:64
	ds_read_b128 v[10:13], v118 offset:80
	v_pk_mul_f16 v138, v3, v143
	v_pk_mul_f16 v140, v3, v145
	v_and_b32_e32 v2, 0xf0f0f0f, v94
	v_lshrrev_b32_e32 v3, 4, v94
	v_mov_b32_e32 v94, 0
	v_and_b32_e32 v3, 0xf0f0f0f, v3
	s_waitcnt lgkmcnt(1)
	v_dot4c_i32_i8_e32 v94, v2, v6
	s_waitcnt lgkmcnt(0)
	v_dot4c_i32_i8_e32 v94, v3, v10
	v_and_b32_e32 v2, 0xf0f0f0f, v95
	v_lshrrev_b32_e32 v3, 4, v95
	v_and_b32_e32 v3, 0xf0f0f0f, v3
	v_dot4c_i32_i8_e32 v94, v2, v7
	v_dot4c_i32_i8_e32 v94, v3, v11
	v_and_b32_e32 v2, 0xf0f0f0f, v96
	v_lshrrev_b32_e32 v3, 4, v96
	v_and_b32_e32 v3, 0xf0f0f0f, v3
	v_dot4c_i32_i8_e32 v94, v2, v8
	;; [unrolled: 5-line block ×3, first 2 shown]
	v_dot4c_i32_i8_e32 v94, v3, v13
	v_and_b32_e32 v2, 0xf0f0f0f, v72
	v_lshrrev_b32_e32 v3, 4, v72
	v_mov_b32_e32 v95, 0
	v_and_b32_e32 v3, 0xf0f0f0f, v3
	v_dot4c_i32_i8_e32 v95, v2, v6
	v_dot4c_i32_i8_e32 v95, v3, v10
	v_and_b32_e32 v2, 0xf0f0f0f, v73
	v_lshrrev_b32_e32 v3, 4, v73
	v_and_b32_e32 v3, 0xf0f0f0f, v3
	v_dot4c_i32_i8_e32 v95, v2, v7
	v_add_u32_e32 v2, 0x10a8, v120
	v_dot4c_i32_i8_e32 v95, v3, v11
	ds_read2_b32 v[2:3], v2 offset1:1
	v_add_u32_e32 v16, 0x2120, v120
	v_add_u32_e32 v18, 0x2128, v120
	;; [unrolled: 1-line block ×3, first 2 shown]
	ds_read2_b32 v[16:17], v16 offset1:1
	ds_read2_b32 v[18:19], v18 offset1:1
	;; [unrolled: 1-line block ×3, first 2 shown]
	s_waitcnt lgkmcnt(3)
	v_and_b32_e32 v72, 0xf0f0f0f, v2
	v_lshrrev_b32_e32 v2, 4, v2
	v_and_b32_e32 v2, 0xf0f0f0f, v2
	v_dot4c_i32_i8_e32 v95, v72, v8
	v_dot4c_i32_i8_e32 v95, v2, v12
	v_and_b32_e32 v2, 0xf0f0f0f, v3
	v_lshrrev_b32_e32 v3, 4, v3
	v_and_b32_e32 v3, 0xf0f0f0f, v3
	v_dot4c_i32_i8_e32 v95, v2, v9
	v_dot4c_i32_i8_e32 v95, v3, v13
	s_waitcnt lgkmcnt(2)
	v_and_b32_e32 v2, 0xf0f0f0f, v16
	v_lshrrev_b32_e32 v3, 4, v16
	v_mov_b32_e32 v96, 0
	v_and_b32_e32 v3, 0xf0f0f0f, v3
	v_dot4c_i32_i8_e32 v96, v2, v6
	v_dot4c_i32_i8_e32 v96, v3, v10
	v_and_b32_e32 v2, 0xf0f0f0f, v17
	v_lshrrev_b32_e32 v3, 4, v17
	v_and_b32_e32 v3, 0xf0f0f0f, v3
	v_dot4c_i32_i8_e32 v96, v2, v7
	v_dot4c_i32_i8_e32 v96, v3, v11
	s_waitcnt lgkmcnt(1)
	v_and_b32_e32 v2, 0xf0f0f0f, v18
	v_lshrrev_b32_e32 v3, 4, v18
	v_and_b32_e32 v3, 0xf0f0f0f, v3
	v_dot4c_i32_i8_e32 v96, v2, v8
	v_dot4c_i32_i8_e32 v96, v3, v12
	v_and_b32_e32 v2, 0xf0f0f0f, v19
	v_lshrrev_b32_e32 v3, 4, v19
	v_and_b32_e32 v3, 0xf0f0f0f, v3
	v_dot4c_i32_i8_e32 v96, v2, v9
	v_dot4c_i32_i8_e32 v96, v3, v13
	s_waitcnt lgkmcnt(0)
	v_and_b32_e32 v2, 0xf0f0f0f, v20
	v_lshrrev_b32_e32 v3, 4, v20
	v_mov_b32_e32 v97, 0
	v_and_b32_e32 v3, 0xf0f0f0f, v3
	v_dot4c_i32_i8_e32 v97, v2, v6
	v_dot4c_i32_i8_e32 v97, v3, v10
	v_and_b32_e32 v2, 0xf0f0f0f, v21
	v_lshrrev_b32_e32 v3, 4, v21
	v_and_b32_e32 v3, 0xf0f0f0f, v3
	v_dot4c_i32_i8_e32 v97, v2, v7
	v_add_u32_e32 v2, 0x31a8, v120
	v_dot4c_i32_i8_e32 v97, v3, v11
	ds_read2_b32 v[2:3], v2 offset1:1
	v_add_u32_e32 v6, 0x10b0, v120
	v_add_u32_e32 v7, 0x10b8, v120
	v_add_u32_e32 v10, 0x2130, v120
	ds_read2_b32 v[16:17], v6 offset1:1
	ds_read2_b32 v[18:19], v7 offset1:1
	;; [unrolled: 1-line block ×3, first 2 shown]
	s_waitcnt lgkmcnt(3)
	v_and_b32_e32 v6, 0xf0f0f0f, v2
	v_lshrrev_b32_e32 v2, 4, v2
	v_and_b32_e32 v2, 0xf0f0f0f, v2
	v_dot4c_i32_i8_e32 v97, v6, v8
	v_dot4c_i32_i8_e32 v97, v2, v12
	v_and_b32_e32 v2, 0xf0f0f0f, v3
	v_lshrrev_b32_e32 v3, 4, v3
	v_and_b32_e32 v3, 0xf0f0f0f, v3
	v_dot4c_i32_i8_e32 v97, v2, v9
	v_dot4c_i32_i8_e32 v97, v3, v13
	ds_read_b128 v[6:9], v118 offset:96
	ds_read_b128 v[10:13], v118 offset:112
	v_pk_mul_f16 v92, v4, v92
	v_pk_mul_f16 v86, v4, v86
	;; [unrolled: 1-line block ×4, first 2 shown]
	v_and_b32_e32 v2, 0xf0f0f0f, v82
	v_lshrrev_b32_e32 v3, 4, v82
	v_mov_b32_e32 v4, 0
	v_and_b32_e32 v3, 0xf0f0f0f, v3
	s_waitcnt lgkmcnt(1)
	v_dot4c_i32_i8_e32 v4, v2, v6
	s_waitcnt lgkmcnt(0)
	v_dot4c_i32_i8_e32 v4, v3, v10
	v_and_b32_e32 v2, 0xf0f0f0f, v83
	v_lshrrev_b32_e32 v3, 4, v83
	v_and_b32_e32 v3, 0xf0f0f0f, v3
	v_dot4c_i32_i8_e32 v4, v2, v7
	v_dot4c_i32_i8_e32 v4, v3, v11
	v_and_b32_e32 v2, 0xf0f0f0f, v84
	v_lshrrev_b32_e32 v3, 4, v84
	v_and_b32_e32 v3, 0xf0f0f0f, v3
	v_dot4c_i32_i8_e32 v4, v2, v8
	;; [unrolled: 5-line block ×3, first 2 shown]
	v_dot4c_i32_i8_e32 v4, v3, v13
	v_and_b32_e32 v2, 0xf0f0f0f, v16
	v_lshrrev_b32_e32 v3, 4, v16
	v_mov_b32_e32 v83, 0
	v_and_b32_e32 v3, 0xf0f0f0f, v3
	v_dot4c_i32_i8_e32 v83, v2, v6
	v_dot4c_i32_i8_e32 v83, v3, v10
	v_and_b32_e32 v2, 0xf0f0f0f, v17
	v_lshrrev_b32_e32 v3, 4, v17
	v_and_b32_e32 v3, 0xf0f0f0f, v3
	v_dot4c_i32_i8_e32 v83, v2, v7
	v_dot4c_i32_i8_e32 v83, v3, v11
	v_and_b32_e32 v2, 0xf0f0f0f, v18
	v_lshrrev_b32_e32 v3, 4, v18
	;; [unrolled: 5-line block ×3, first 2 shown]
	v_and_b32_e32 v3, 0xf0f0f0f, v3
	v_dot4c_i32_i8_e32 v83, v2, v9
	v_cvt_f32_f16_e32 v78, v135
	v_cvt_f32_f16_e32 v79, v136
	v_cvt_f32_i32_e32 v81, v81
	v_dot4c_i32_i8_e32 v83, v3, v13
	v_cvt_f32_f16_sdwa v3, v136 dst_sel:DWORD dst_unused:UNUSED_PAD src0_sel:WORD_1
	v_cvt_f32_f16_sdwa v2, v135 dst_sel:DWORD dst_unused:UNUSED_PAD src0_sel:WORD_1
	v_cvt_f32_f16_e32 v17, v91
	v_cvt_f32_f16_e32 v16, v89
	v_cvt_f32_f16_sdwa v19, v91 dst_sel:DWORD dst_unused:UNUSED_PAD src0_sel:WORD_1
	v_cvt_f32_f16_sdwa v18, v89 dst_sel:DWORD dst_unused:UNUSED_PAD src0_sel:WORD_1
	v_cvt_f32_i32_e32 v73, v90
	v_cvt_f32_i32_e32 v72, v88
	v_pk_fma_f32 v[2:3], v[78:79], v[80:81], v[2:3]
	v_pk_mul_f16 v82, v5, v93
	v_pk_mul_f16 v84, v5, v87
	v_pk_add_f32 v[2:3], v[66:67], v[2:3]
	v_pk_fma_f32 v[16:17], v[16:17], v[72:73], v[18:19]
	v_cvt_f32_f16_e32 v19, v86
	v_cvt_f32_f16_e32 v18, v92
	v_cvt_f32_f16_sdwa v67, v86 dst_sel:DWORD dst_unused:UNUSED_PAD src0_sel:WORD_1
	v_cvt_f32_f16_sdwa v66, v92 dst_sel:DWORD dst_unused:UNUSED_PAD src0_sel:WORD_1
	v_cvt_f32_i32_e32 v73, v95
	v_cvt_f32_i32_e32 v72, v94
	v_cvt_f32_f16_e32 v79, v84
	v_cvt_f32_f16_e32 v78, v82
	v_cvt_f32_f16_sdwa v81, v84 dst_sel:DWORD dst_unused:UNUSED_PAD src0_sel:WORD_1
	v_cvt_f32_f16_sdwa v80, v82 dst_sel:DWORD dst_unused:UNUSED_PAD src0_sel:WORD_1
	v_cvt_f32_i32_e32 v83, v83
	v_cvt_f32_i32_e32 v82, v4
	v_pk_add_f32 v[2:3], v[2:3], v[16:17]
	v_pk_fma_f32 v[16:17], v[18:19], v[72:73], v[66:67]
	v_pk_add_f32 v[2:3], v[2:3], v[16:17]
	v_pk_fma_f32 v[16:17], v[78:79], v[82:83], v[80:81]
	v_pk_add_f32 v[66:67], v[2:3], v[16:17]
	v_and_b32_e32 v2, 0xf0f0f0f, v20
	v_lshrrev_b32_e32 v3, 4, v20
	v_mov_b32_e32 v20, 0
	v_and_b32_e32 v3, 0xf0f0f0f, v3
	v_dot4c_i32_i8_e32 v20, v2, v6
	v_dot4c_i32_i8_e32 v20, v3, v10
	v_and_b32_e32 v2, 0xf0f0f0f, v21
	v_lshrrev_b32_e32 v3, 4, v21
	v_and_b32_e32 v3, 0xf0f0f0f, v3
	v_dot4c_i32_i8_e32 v20, v2, v7
	v_add_u32_e32 v2, 0x2138, v120
	v_dot4c_i32_i8_e32 v20, v3, v11
	ds_read2_b32 v[2:3], v2 offset1:1
	v_add_u32_e32 v4, 0x31b0, v120
	v_add_u32_e32 v18, 0x31b8, v120
	ds_read2_b32 v[16:17], v4 offset1:1
	ds_read2_b32 v[18:19], v18 offset1:1
	v_cvt_f32_f16_e32 v74, v142
	s_waitcnt lgkmcnt(2)
	v_and_b32_e32 v4, 0xf0f0f0f, v2
	v_lshrrev_b32_e32 v2, 4, v2
	v_and_b32_e32 v2, 0xf0f0f0f, v2
	v_dot4c_i32_i8_e32 v20, v4, v8
	v_dot4c_i32_i8_e32 v20, v2, v12
	v_and_b32_e32 v2, 0xf0f0f0f, v3
	v_lshrrev_b32_e32 v3, 4, v3
	v_and_b32_e32 v3, 0xf0f0f0f, v3
	v_dot4c_i32_i8_e32 v20, v2, v9
	v_dot4c_i32_i8_e32 v20, v3, v13
	s_waitcnt lgkmcnt(1)
	v_and_b32_e32 v2, 0xf0f0f0f, v16
	v_lshrrev_b32_e32 v3, 4, v16
	v_mov_b32_e32 v16, 0
	v_and_b32_e32 v3, 0xf0f0f0f, v3
	v_dot4c_i32_i8_e32 v16, v2, v6
	v_dot4c_i32_i8_e32 v16, v3, v10
	v_and_b32_e32 v2, 0xf0f0f0f, v17
	v_lshrrev_b32_e32 v3, 4, v17
	v_and_b32_e32 v3, 0xf0f0f0f, v3
	v_dot4c_i32_i8_e32 v16, v2, v7
	v_dot4c_i32_i8_e32 v16, v3, v11
	s_waitcnt lgkmcnt(0)
	v_and_b32_e32 v2, 0xf0f0f0f, v18
	v_lshrrev_b32_e32 v3, 4, v18
	v_and_b32_e32 v3, 0xf0f0f0f, v3
	v_dot4c_i32_i8_e32 v16, v2, v8
	v_dot4c_i32_i8_e32 v16, v3, v12
	v_and_b32_e32 v2, 0xf0f0f0f, v19
	v_lshrrev_b32_e32 v3, 4, v19
	v_dot4c_i32_i8_e32 v16, v2, v9
	v_cvt_f32_f16_e32 v7, v140
	v_cvt_f32_f16_e32 v6, v138
	v_cvt_f32_f16_sdwa v9, v140 dst_sel:DWORD dst_unused:UNUSED_PAD src0_sel:WORD_1
	v_cvt_f32_f16_sdwa v8, v138 dst_sel:DWORD dst_unused:UNUSED_PAD src0_sel:WORD_1
	v_cvt_f32_i32_e32 v11, v139
	v_cvt_f32_i32_e32 v10, v137
	v_and_b32_e32 v3, 0xf0f0f0f, v3
	v_cvt_f32_f16_e32 v75, v144
	v_cvt_f32_i32_e32 v77, v77
	v_dot4c_i32_i8_e32 v16, v3, v13
	v_cvt_f32_f16_sdwa v3, v144 dst_sel:DWORD dst_unused:UNUSED_PAD src0_sel:WORD_1
	v_cvt_f32_f16_sdwa v2, v142 dst_sel:DWORD dst_unused:UNUSED_PAD src0_sel:WORD_1
	v_pk_mul_f16 v21, v5, v15
	v_pk_mul_f16 v15, v5, v71
	v_pk_fma_f32 v[4:5], v[6:7], v[10:11], v[8:9]
	v_cvt_f32_f16_e32 v7, v70
	v_cvt_f32_f16_e32 v6, v14
	v_cvt_f32_f16_sdwa v9, v70 dst_sel:DWORD dst_unused:UNUSED_PAD src0_sel:WORD_1
	v_cvt_f32_f16_sdwa v8, v14 dst_sel:DWORD dst_unused:UNUSED_PAD src0_sel:WORD_1
	v_cvt_f32_i32_e32 v11, v97
	v_cvt_f32_i32_e32 v10, v96
	v_cvt_f32_f16_e32 v13, v15
	v_cvt_f32_f16_e32 v12, v21
	v_cvt_f32_f16_sdwa v15, v15 dst_sel:DWORD dst_unused:UNUSED_PAD src0_sel:WORD_1
	v_cvt_f32_f16_sdwa v14, v21 dst_sel:DWORD dst_unused:UNUSED_PAD src0_sel:WORD_1
	v_cvt_f32_i32_e32 v17, v16
	v_cvt_f32_i32_e32 v16, v20
	v_pk_fma_f32 v[2:3], v[74:75], v[76:77], v[2:3]
	v_pk_add_f32 v[2:3], v[68:69], v[2:3]
	v_pk_add_f32 v[2:3], v[2:3], v[4:5]
	v_pk_fma_f32 v[4:5], v[6:7], v[10:11], v[8:9]
	v_pk_add_f32 v[2:3], v[2:3], v[4:5]
	v_pk_fma_f32 v[4:5], v[12:13], v[16:17], v[14:15]
	v_pk_add_f32 v[68:69], v[2:3], v[4:5]
	s_cmp_ge_i32 s20, s15
	s_barrier
	s_cbranch_scc1 .LBB199_5
; %bb.13:                               ;   in Loop: Header=BB199_6 Depth=1
	v_add_u32_e32 v2, s16, v125
	v_cmp_gt_i32_e32 vcc, s9, v2
	s_and_b64 s[22:23], s[2:3], vcc
	s_and_saveexec_b64 s[4:5], s[22:23]
	s_cbranch_execz .LBB199_15
; %bb.14:                               ;   in Loop: Header=BB199_6 Depth=1
	v_add_u32_e32 v2, s16, v127
	v_mad_i64_i32 v[2:3], s[22:23], v2, 36, v[22:23]
	global_load_dword v2, v[2:3], off offset:4
	s_waitcnt vmcnt(0)
	ds_write_b32 v116, v2
.LBB199_15:                             ;   in Loop: Header=BB199_6 Depth=1
	s_or_b64 exec, exec, s[4:5]
	s_and_saveexec_b64 s[4:5], s[0:1]
	s_cbranch_execz .LBB199_4
; %bb.16:                               ;   in Loop: Header=BB199_6 Depth=1
	v_add3_u32 v2, v98, s16, 4
	v_cmp_gt_i32_e32 vcc, s9, v2
	s_and_b64 s[22:23], s[2:3], vcc
	s_and_b64 exec, exec, s[22:23]
	s_cbranch_execz .LBB199_4
; %bb.17:                               ;   in Loop: Header=BB199_6 Depth=1
	global_load_dword v2, v[24:25], off
	s_waitcnt vmcnt(0)
	ds_write_b32 v117, v2
	s_branch .LBB199_4
.LBB199_18:
	v_mov_b32_e32 v1, 0
	v_mov_b32_e32 v2, 0
	;; [unrolled: 1-line block ×3, first 2 shown]
	s_mul_i32 s0, s11, s8
	s_waitcnt vmcnt(0)
	v_cmp_gt_i32_e32 vcc, s0, v65
	s_and_saveexec_b64 s[0:1], vcc
	s_cbranch_execnz .LBB199_21
.LBB199_19:
	s_endpgm
.LBB199_20:
	v_cvt_f16_f32_e32 v5, v66
	v_cvt_f16_f32_e32 v2, v67
	;; [unrolled: 1-line block ×4, first 2 shown]
	s_mul_i32 s0, s11, s8
	v_cmp_gt_i32_e32 vcc, s0, v65
	s_and_saveexec_b64 s[0:1], vcc
	s_cbranch_execz .LBB199_19
.LBB199_21:
	v_and_b32_e32 v0, 0x3ff, v0
	v_add_u32_e32 v4, s18, v0
	v_mul_lo_u32 v0, v65, s10
	v_cmp_gt_u32_e32 vcc, s10, v4
	s_and_saveexec_b64 s[0:1], vcc
	s_cbranch_execz .LBB199_23
; %bb.22:
	v_add_u32_e32 v6, v0, v4
	v_mov_b32_e32 v7, 0
	v_lshlrev_b64 v[6:7], 1, v[6:7]
	v_mov_b32_e32 v8, s13
	v_add_co_u32_e32 v6, vcc, s12, v6
	v_addc_co_u32_e32 v7, vcc, v8, v7, vcc
	global_store_short v[6:7], v5, off
.LBB199_23:
	s_or_b64 exec, exec, s[0:1]
	v_add_u32_e32 v5, 32, v4
	v_cmp_gt_u32_e32 vcc, s10, v5
	s_and_saveexec_b64 s[0:1], vcc
	s_cbranch_execz .LBB199_25
; %bb.24:
	v_add_u32_e32 v6, v0, v5
	v_mov_b32_e32 v7, 0
	v_lshlrev_b64 v[6:7], 1, v[6:7]
	v_mov_b32_e32 v5, s13
	v_add_co_u32_e32 v6, vcc, s12, v6
	v_addc_co_u32_e32 v7, vcc, v5, v7, vcc
	global_store_short v[6:7], v2, off
.LBB199_25:
	s_or_b64 exec, exec, s[0:1]
	v_add_u32_e32 v2, 64, v4
	;; [unrolled: 14-line block ×3, first 2 shown]
	v_cmp_gt_u32_e32 vcc, s10, v1
	s_and_b64 exec, exec, vcc
	s_cbranch_execz .LBB199_19
; %bb.28:
	v_add_u32_e32 v0, v0, v1
	v_mov_b32_e32 v1, 0
	v_lshlrev_b64 v[0:1], 1, v[0:1]
	v_mov_b32_e32 v2, s13
	v_add_co_u32_e32 v0, vcc, s12, v0
	v_addc_co_u32_e32 v1, vcc, v2, v1, vcc
	global_store_short v[0:1], v3, off
	s_endpgm
	.section	.rodata,"a",@progbits
	.p2align	6, 0x0
	.amdhsa_kernel _ZL8moe_q4_1IN3c104HalfELb0EEvPKvS3_PT_PKiS7_S7_iiiiiii
		.amdhsa_group_segment_fixed_size 22272
		.amdhsa_private_segment_fixed_size 0
		.amdhsa_kernarg_size 76
		.amdhsa_user_sgpr_count 6
		.amdhsa_user_sgpr_private_segment_buffer 1
		.amdhsa_user_sgpr_dispatch_ptr 0
		.amdhsa_user_sgpr_queue_ptr 0
		.amdhsa_user_sgpr_kernarg_segment_ptr 1
		.amdhsa_user_sgpr_dispatch_id 0
		.amdhsa_user_sgpr_flat_scratch_init 0
		.amdhsa_user_sgpr_kernarg_preload_length 0
		.amdhsa_user_sgpr_kernarg_preload_offset 0
		.amdhsa_user_sgpr_private_segment_size 0
		.amdhsa_uses_dynamic_stack 0
		.amdhsa_system_sgpr_private_segment_wavefront_offset 0
		.amdhsa_system_sgpr_workgroup_id_x 1
		.amdhsa_system_sgpr_workgroup_id_y 1
		.amdhsa_system_sgpr_workgroup_id_z 0
		.amdhsa_system_sgpr_workgroup_info 0
		.amdhsa_system_vgpr_workitem_id 1
		.amdhsa_next_free_vgpr 146
		.amdhsa_next_free_sgpr 24
		.amdhsa_accum_offset 148
		.amdhsa_reserve_vcc 1
		.amdhsa_reserve_flat_scratch 0
		.amdhsa_float_round_mode_32 0
		.amdhsa_float_round_mode_16_64 0
		.amdhsa_float_denorm_mode_32 3
		.amdhsa_float_denorm_mode_16_64 3
		.amdhsa_dx10_clamp 1
		.amdhsa_ieee_mode 1
		.amdhsa_fp16_overflow 0
		.amdhsa_tg_split 0
		.amdhsa_exception_fp_ieee_invalid_op 0
		.amdhsa_exception_fp_denorm_src 0
		.amdhsa_exception_fp_ieee_div_zero 0
		.amdhsa_exception_fp_ieee_overflow 0
		.amdhsa_exception_fp_ieee_underflow 0
		.amdhsa_exception_fp_ieee_inexact 0
		.amdhsa_exception_int_div_zero 0
	.end_amdhsa_kernel
	.section	.text._ZL8moe_q4_1IN3c104HalfELb0EEvPKvS3_PT_PKiS7_S7_iiiiiii,"axG",@progbits,_ZL8moe_q4_1IN3c104HalfELb0EEvPKvS3_PT_PKiS7_S7_iiiiiii,comdat
.Lfunc_end199:
	.size	_ZL8moe_q4_1IN3c104HalfELb0EEvPKvS3_PT_PKiS7_S7_iiiiiii, .Lfunc_end199-_ZL8moe_q4_1IN3c104HalfELb0EEvPKvS3_PT_PKiS7_S7_iiiiiii
                                        ; -- End function
	.section	.AMDGPU.csdata,"",@progbits
; Kernel info:
; codeLenInByte = 9252
; NumSgprs: 28
; NumVgprs: 146
; NumAgprs: 0
; TotalNumVgprs: 146
; ScratchSize: 0
; MemoryBound: 0
; FloatMode: 240
; IeeeMode: 1
; LDSByteSize: 22272 bytes/workgroup (compile time only)
; SGPRBlocks: 3
; VGPRBlocks: 18
; NumSGPRsForWavesPerEU: 28
; NumVGPRsForWavesPerEU: 146
; AccumOffset: 148
; Occupancy: 2
; WaveLimiterHint : 1
; COMPUTE_PGM_RSRC2:SCRATCH_EN: 0
; COMPUTE_PGM_RSRC2:USER_SGPR: 6
; COMPUTE_PGM_RSRC2:TRAP_HANDLER: 0
; COMPUTE_PGM_RSRC2:TGID_X_EN: 1
; COMPUTE_PGM_RSRC2:TGID_Y_EN: 1
; COMPUTE_PGM_RSRC2:TGID_Z_EN: 0
; COMPUTE_PGM_RSRC2:TIDIG_COMP_CNT: 1
; COMPUTE_PGM_RSRC3_GFX90A:ACCUM_OFFSET: 36
; COMPUTE_PGM_RSRC3_GFX90A:TG_SPLIT: 0
	.section	.text._ZL8moe_q4_1IN3c104HalfELb1EEvPKvS3_PT_PKiS7_S7_iiiiiii,"axG",@progbits,_ZL8moe_q4_1IN3c104HalfELb1EEvPKvS3_PT_PKiS7_S7_iiiiiii,comdat
	.globl	_ZL8moe_q4_1IN3c104HalfELb1EEvPKvS3_PT_PKiS7_S7_iiiiiii ; -- Begin function _ZL8moe_q4_1IN3c104HalfELb1EEvPKvS3_PT_PKiS7_S7_iiiiiii
	.p2align	8
	.type	_ZL8moe_q4_1IN3c104HalfELb1EEvPKvS3_PT_PKiS7_S7_iiiiiii,@function
_ZL8moe_q4_1IN3c104HalfELb1EEvPKvS3_PT_PKiS7_S7_iiiiiii: ; @_ZL8moe_q4_1IN3c104HalfELb1EEvPKvS3_PT_PKiS7_S7_iiiiiii
; %bb.0:
	s_load_dwordx4 s[0:3], s[4:5], 0x18
	s_mov_b32 s8, s7
	s_mov_b32 s9, 0
	s_lshl_b64 s[10:11], s[8:9], 2
	s_waitcnt lgkmcnt(0)
	s_add_u32 s2, s2, s10
	s_addc_u32 s3, s3, s11
	s_load_dword s2, s[2:3], 0x0
	s_waitcnt lgkmcnt(0)
	s_cmpk_gt_u32 s2, 0xff
	s_cbranch_scc1 .LBB200_19
; %bb.1:
	s_load_dwordx2 s[10:11], s[4:5], 0x28
	s_lshl_b32 s3, s8, 3
	s_waitcnt lgkmcnt(0)
	s_load_dword s7, s[10:11], 0x0
	s_waitcnt lgkmcnt(0)
	s_cmp_gt_u32 s3, s7
	s_cbranch_scc1 .LBB200_19
; %bb.2:
	v_bfe_u32 v1, v0, 10, 10
	v_add_u32_e32 v2, s3, v1
	v_mov_b32_e32 v3, 0
	v_lshlrev_b64 v[4:5], 2, v[2:3]
	v_mov_b32_e32 v2, s1
	v_add_co_u32_e32 v4, vcc, s0, v4
	v_addc_co_u32_e32 v5, vcc, v2, v5, vcc
	global_load_dword v65, v[4:5], off
	s_load_dwordx8 s[8:15], s[4:5], 0x30
	s_load_dwordx2 s[16:17], s[4:5], 0x10
	s_waitcnt lgkmcnt(0)
	s_lshl_b32 s15, s6, 7
	s_cmp_lt_i32 s9, 32
	s_cbranch_scc1 .LBB200_18
; %bb.3:
	s_ashr_i32 s0, s9, 31
	s_lshr_b32 s0, s0, 27
	s_add_i32 s0, s9, s0
	s_ashr_i32 s20, s0, 5
	s_ashr_i32 s0, s12, 31
	s_lshr_b32 s0, s0, 27
	s_add_i32 s0, s12, s0
	s_ashr_i32 s12, s0, 5
	s_not_b32 s0, s15
	s_mul_i32 s8, s2, s8
	s_add_i32 s2, s0, s10
	v_and_b32_e32 v67, 0x3ff, v0
	v_lshlrev_b32_e32 v2, 2, v67
	v_min_i32_e32 v3, s2, v1
	s_movk_i32 s3, 0x84
	v_mul_lo_u32 v5, v3, s20
	v_mad_u64_u32 v[22:23], s[0:1], v3, s3, v[2:3]
	v_add_u32_e32 v3, 8, v1
	v_min_i32_e32 v3, s2, v3
	v_mul_lo_u32 v7, v3, s20
	v_mad_u64_u32 v[24:25], s[0:1], v3, s3, v[2:3]
	v_add_u32_e32 v3, 16, v1
	v_min_i32_e32 v3, s2, v3
	;; [unrolled: 4-line block ×15, first 2 shown]
	v_mul_lo_u32 v21, v3, s20
	v_mad_u64_u32 v[52:53], s[0:1], v3, s3, v[2:3]
	v_lshlrev_b32_e32 v3, 2, v1
	v_lshrrev_b32_e32 v69, 3, v67
	v_add_u32_e32 v23, v69, v3
	v_min_i32_e32 v25, s2, v23
	v_ashrrev_i32_e32 v27, 31, v25
	v_lshrrev_b32_e32 v27, 30, v27
	v_and_b32_e32 v63, 7, v67
	v_mul_lo_u32 v53, v25, s20
	v_add_u32_e32 v27, v25, v27
	v_lshlrev_b32_e32 v100, 5, v25
	v_add_u32_e32 v25, 32, v23
	v_and_b32_e32 v27, -4, v27
	v_lshlrev_b32_e32 v29, 2, v63
	s_movk_i32 s3, 0x4200
	v_min_i32_e32 v25, s2, v25
	v_add3_u32 v97, v27, v29, s3
	v_ashrrev_i32_e32 v27, 31, v25
	v_lshrrev_b32_e32 v27, 30, v27
	v_mul_lo_u32 v59, v25, s20
	v_add_u32_e32 v27, v25, v27
	v_lshlrev_b32_e32 v102, 5, v25
	v_add_u32_e32 v25, 64, v23
	s_load_dwordx4 s[4:7], s[4:5], 0x0
	v_and_b32_e32 v27, -4, v27
	v_min_i32_e32 v25, s2, v25
	v_add3_u32 v101, v27, v29, s3
	v_ashrrev_i32_e32 v27, 31, v25
	v_add_u32_e32 v23, 0x60, v23
	v_lshrrev_b32_e32 v27, 30, v27
	v_min_i32_e32 v23, s2, v23
	v_mul_lo_u32 v61, v25, s20
	v_add_u32_e32 v27, v25, v27
	v_lshlrev_b32_e32 v104, 5, v25
	v_ashrrev_i32_e32 v25, 31, v23
	v_and_b32_e32 v6, 12, v2
	v_lshrrev_b32_e32 v25, 30, v25
	v_and_b32_e32 v2, 28, v2
	v_mul_lo_u32 v96, v23, s20
	v_add_u32_e32 v25, v23, v25
	v_lshlrev_b32_e32 v106, 5, v23
	v_and_b32_e32 v23, 31, v67
	s_waitcnt lgkmcnt(0)
	v_add_co_u32_e32 v54, vcc, s6, v2
	v_lshlrev_b32_e32 v2, 7, v1
	v_lshl_or_b32 v23, v23, 2, v2
	v_add_u32_e32 v71, 0x5280, v23
	v_mov_b32_e32 v23, 0x5680
	v_add_u32_e32 v75, 0x5280, v2
	v_lshl_add_u32 v77, v1, 4, v23
	v_and_b32_e32 v1, 0xfc, v67
	v_lshlrev_b32_e32 v2, 5, v67
	v_or_b32_e32 v3, v3, v67
	v_add3_u32 v81, v2, v1, s3
	v_add_u32_e32 v1, 32, v67
	v_lshl_add_u32 v73, v3, 2, v23
	v_and_b32_e32 v2, 0x1fc, v1
	v_lshlrev_b32_e32 v3, 5, v1
	v_add3_u32 v83, v3, v2, s3
	v_add_u32_e32 v2, 64, v67
	v_and_b32_e32 v3, 0x1fc, v2
	v_lshlrev_b32_e32 v2, 5, v2
	s_abs_i32 s2, s14
	v_add3_u32 v85, v2, v3, s3
	v_cvt_f32_u32_e32 v3, s2
	v_add_u32_e32 v2, 0x60, v67
	v_and_b32_e32 v23, 0x1fc, v2
	v_lshlrev_b32_e32 v2, 5, v2
	v_add3_u32 v87, v2, v23, s3
	v_rcp_iflag_f32_e32 v2, v3
	v_and_b32_e32 v27, -4, v27
	v_and_b32_e32 v25, -4, v25
	v_add3_u32 v103, v27, v29, s3
	v_mul_f32_e32 v2, 0x4f7ffffe, v2
	v_cvt_u32_f32_e32 v2, v2
	v_add3_u32 v105, v25, v29, s3
	s_sub_i32 s3, 0, s2
	s_waitcnt vmcnt(0)
	v_sub_u32_e32 v3, 0, v65
	v_mul_lo_u32 v23, s3, v2
	v_mul_hi_u32 v23, v2, v23
	v_max_i32_e32 v3, v65, v3
	v_add_u32_e32 v2, v2, v23
	v_mul_hi_u32 v2, v3, v2
	v_mov_b32_e32 v25, s7
	v_mul_lo_u32 v23, v2, s2
	v_addc_co_u32_e32 v55, vcc, 0, v25, vcc
	v_sub_u32_e32 v3, v3, v23
	v_add_u32_e32 v23, 1, v2
	v_cmp_le_u32_e32 vcc, s2, v3
	v_cndmask_b32_e32 v2, v2, v23, vcc
	v_subrev_u32_e32 v23, s2, v3
	v_cndmask_b32_e32 v3, v3, v23, vcc
	v_lshrrev_b32_e32 v89, 3, v1
	v_xor_b32_e32 v1, s14, v65
	v_add_u32_e32 v23, 1, v2
	v_cmp_le_u32_e32 vcc, s2, v3
	v_ashrrev_i32_e32 v1, 31, v1
	v_cndmask_b32_e32 v2, v2, v23, vcc
	v_xor_b32_e32 v2, v2, v1
	v_sub_u32_e32 v1, v2, v1
	v_cmp_gt_i32_e64 s[2:3], s11, v1
	v_mul_lo_u32 v1, v1, s12
	v_ashrrev_i32_e32 v2, 31, v1
	v_add_co_u32_e32 v3, vcc, v1, v67
	s_mul_i32 s19, s20, s15
	v_addc_co_u32_e32 v23, vcc, 0, v2, vcc
	v_mad_u64_u32 v[2:3], s[22:23], v3, 36, s[6:7]
	s_movk_i32 s10, 0x90
	v_mad_i32_i24 v3, v23, 36, v3
	v_add_co_u32_e32 v56, vcc, s10, v2
	s_mul_hi_i32 s10, s19, 20
	s_mul_i32 s22, s19, 20
	v_lshrrev_b32_e32 v4, 2, v67
	v_addc_co_u32_e32 v57, vcc, 0, v3, vcc
	v_mov_b32_e32 v2, s22
	v_mov_b32_e32 v3, s10
	v_mad_u64_u32 v[2:3], s[22:23], v4, 20, v[2:3]
	v_mad_i64_i32 v[4:5], s[22:23], v5, 20, v[2:3]
	v_add_u32_e32 v91, v67, v1
	v_add_u32_e32 v93, v89, v1
	;; [unrolled: 1-line block ×3, first 2 shown]
	v_add_co_u32_e32 v1, vcc, v4, v6
	v_addc_co_u32_e32 v4, vcc, 0, v5, vcc
	v_mov_b32_e32 v51, s5
	v_add_co_u32_e32 v1, vcc, s4, v1
	v_addc_co_u32_e32 v4, vcc, v4, v51, vcc
	v_add_co_u32_e32 v58, vcc, 4, v1
	v_addc_co_u32_e32 v1, vcc, 0, v4, vcc
	v_mad_i64_i32 v[4:5], s[22:23], v7, 20, v[2:3]
	v_add_co_u32_e32 v4, vcc, v4, v6
	v_addc_co_u32_e32 v5, vcc, 0, v5, vcc
	v_add_co_u32_e32 v4, vcc, s4, v4
	v_addc_co_u32_e32 v5, vcc, v5, v51, vcc
	v_add_co_u32_e32 v60, vcc, 4, v4
	v_addc_co_u32_e32 v23, vcc, 0, v5, vcc
	v_mad_i64_i32 v[4:5], s[22:23], v8, 20, v[2:3]
	v_add_co_u32_e32 v4, vcc, v4, v6
	v_addc_co_u32_e32 v5, vcc, 0, v5, vcc
	;; [unrolled: 7-line block ×15, first 2 shown]
	v_add_co_u32_e32 v2, vcc, s4, v2
	v_addc_co_u32_e32 v3, vcc, v3, v51, vcc
	v_add_co_u32_e32 v88, vcc, 4, v2
	v_addc_co_u32_e32 v51, vcc, 0, v3, vcc
	v_mad_i64_i32 v[2:3], s[22:23], v53, 20, 0
	v_mad_i64_i32 v[2:3], s[22:23], s19, 20, v[2:3]
	v_mad_u64_u32 v[2:3], s[22:23], v63, 20, v[2:3]
	v_mov_b32_e32 v4, s5
	v_add_co_u32_e32 v90, vcc, s4, v2
	v_addc_co_u32_e32 v53, vcc, v4, v3, vcc
	v_mad_i64_i32 v[2:3], s[22:23], v59, 20, 0
	v_mad_i64_i32 v[2:3], s[22:23], s19, 20, v[2:3]
	v_mad_u64_u32 v[2:3], s[22:23], v63, 20, v[2:3]
	v_add_co_u32_e32 v92, vcc, s4, v2
	v_addc_co_u32_e32 v59, vcc, v4, v3, vcc
	v_mad_i64_i32 v[2:3], s[22:23], v61, 20, 0
	v_mad_i64_i32 v[2:3], s[22:23], s19, 20, v[2:3]
	v_mad_u64_u32 v[2:3], s[22:23], v63, 20, v[2:3]
	v_add_co_u32_e32 v94, vcc, s4, v2
	v_addc_co_u32_e32 v61, vcc, v4, v3, vcc
	v_mad_i64_i32 v[2:3], s[22:23], v96, 20, 0
	v_mad_i64_i32 v[2:3], s[22:23], s19, 20, v[2:3]
	s_mov_b32 s18, 0
	v_mad_u64_u32 v[2:3], s[22:23], v63, 20, v[2:3]
	s_ashr_i32 s21, s8, 31
	v_add_co_u32_e32 v96, vcc, s4, v2
	s_mov_b32 s19, s18
	v_cmp_gt_u32_e64 s[0:1], 4, v67
	v_mul_u32_u24_e32 v79, 0x84, v67
	v_addc_co_u32_e32 v63, vcc, v4, v3, vcc
	s_movk_i32 s10, 0x80
	v_pk_mov_b32 v[98:99], s[18:19], s[18:19] op_sel:[0,1]
	v_add_u32_e32 v97, v97, v100
	v_add_u32_e32 v130, v101, v102
	;; [unrolled: 1-line block ×4, first 2 shown]
	v_mov_b32_e32 v133, s21
	v_pk_mov_b32 v[100:101], s[18:19], s[18:19] op_sel:[0,1]
	s_branch .LBB200_6
.LBB200_4:                              ;   in Loop: Header=BB200_6 Depth=1
	s_or_b64 exec, exec, s[4:5]
	s_waitcnt lgkmcnt(0)
	s_barrier
	ds_read_b128 v[2:5], v77
	ds_read2_b32 v[102:103], v79 offset0:16 offset1:17
	ds_read_b128 v[14:17], v75
	ds_read_b128 v[18:21], v75 offset:16
	ds_read_b128 v[6:9], v75 offset:32
	;; [unrolled: 1-line block ×3, first 2 shown]
	ds_read2_b32 v[104:105], v81 offset0:4 offset1:5
	s_waitcnt lgkmcnt(5)
	v_and_b32_e32 v106, 0xf0f0f0f, v102
	v_lshrrev_b32_e32 v102, 4, v102
	v_mov_b32_e32 v122, 0
	v_and_b32_e32 v102, 0xf0f0f0f, v102
	s_waitcnt lgkmcnt(4)
	v_dot4c_i32_i8_e32 v122, v106, v14
	s_waitcnt lgkmcnt(3)
	v_dot4c_i32_i8_e32 v122, v102, v18
	v_and_b32_e32 v102, 0xf0f0f0f, v103
	v_lshrrev_b32_e32 v103, 4, v103
	v_and_b32_e32 v106, 0xf0f0f0f, v103
	v_dot4c_i32_i8_e32 v122, v102, v15
	ds_read2_b32 v[102:103], v79 offset0:18 offset1:19
	v_dot4c_i32_i8_e32 v122, v106, v19
	ds_read2_b32 v[112:113], v79 offset0:20 offset1:21
	ds_read2_b32 v[114:115], v79 offset0:22 offset1:23
	;; [unrolled: 1-line block ×3, first 2 shown]
	s_waitcnt lgkmcnt(4)
	v_pk_mul_f16 v123, v2, v104
	v_mov_b32_e32 v138, 0
	s_waitcnt lgkmcnt(3)
	v_and_b32_e32 v106, 0xf0f0f0f, v102
	v_lshrrev_b32_e32 v102, 4, v102
	v_and_b32_e32 v102, 0xf0f0f0f, v102
	v_dot4c_i32_i8_e32 v122, v106, v16
	v_dot4c_i32_i8_e32 v122, v102, v20
	v_and_b32_e32 v102, 0xf0f0f0f, v103
	v_dot4c_i32_i8_e32 v122, v102, v17
	v_add_u32_e32 v102, 0x10c0, v79
	ds_read2_b32 v[108:109], v102 offset1:1
	ds_read2_b32 v[120:121], v79 offset0:26 offset1:27
	ds_read2_b32 v[106:107], v79 offset0:28 offset1:29
	;; [unrolled: 1-line block ×3, first 2 shown]
	v_lshrrev_b32_e32 v103, 4, v103
	s_waitcnt lgkmcnt(3)
	v_and_b32_e32 v104, 0xf0f0f0f, v108
	v_lshrrev_b32_e32 v108, 4, v108
	v_and_b32_e32 v108, 0xf0f0f0f, v108
	v_dot4c_i32_i8_e32 v138, v104, v14
	v_dot4c_i32_i8_e32 v138, v108, v18
	v_and_b32_e32 v104, 0xf0f0f0f, v109
	v_lshrrev_b32_e32 v108, 4, v109
	v_and_b32_e32 v103, 0xf0f0f0f, v103
	v_and_b32_e32 v108, 0xf0f0f0f, v108
	v_dot4c_i32_i8_e32 v138, v104, v15
	v_add_u32_e32 v104, 0x10c8, v79
	v_dot4c_i32_i8_e32 v122, v103, v21
	ds_read2_b32 v[124:125], v83 offset0:4 offset1:5
	ds_read2_b32 v[102:103], v87 offset0:6 offset1:7
	v_dot4c_i32_i8_e32 v138, v108, v19
	ds_read2_b32 v[108:109], v104 offset1:1
	v_add_u32_e32 v116, 0x2140, v79
	v_add_u32_e32 v104, 0x31c0, v79
	;; [unrolled: 1-line block ×3, first 2 shown]
	ds_read2_b32 v[126:127], v116 offset1:1
	ds_read2_b32 v[128:129], v117 offset1:1
	;; [unrolled: 1-line block ×3, first 2 shown]
	s_waitcnt lgkmcnt(3)
	v_and_b32_e32 v104, 0xf0f0f0f, v108
	v_lshrrev_b32_e32 v108, 4, v108
	v_and_b32_e32 v108, 0xf0f0f0f, v108
	v_dot4c_i32_i8_e32 v138, v104, v16
	v_dot4c_i32_i8_e32 v138, v108, v20
	v_and_b32_e32 v104, 0xf0f0f0f, v109
	v_dot4c_i32_i8_e32 v138, v104, v17
	s_waitcnt lgkmcnt(2)
	v_lshrrev_b32_e32 v104, 4, v126
	v_and_b32_e32 v139, 0xf0f0f0f, v126
	v_and_b32_e32 v126, 0xf0f0f0f, v104
	v_mov_b32_e32 v104, 0
	v_dot4c_i32_i8_e32 v104, v139, v14
	v_dot4c_i32_i8_e32 v104, v126, v18
	v_and_b32_e32 v126, 0xf0f0f0f, v127
	v_lshrrev_b32_e32 v127, 4, v127
	v_and_b32_e32 v127, 0xf0f0f0f, v127
	v_dot4c_i32_i8_e32 v104, v126, v15
	v_dot4c_i32_i8_e32 v104, v127, v19
	s_waitcnt lgkmcnt(1)
	v_and_b32_e32 v126, 0xf0f0f0f, v128
	v_lshrrev_b32_e32 v127, 4, v128
	v_and_b32_e32 v127, 0xf0f0f0f, v127
	v_dot4c_i32_i8_e32 v104, v126, v16
	v_dot4c_i32_i8_e32 v104, v127, v20
	v_and_b32_e32 v126, 0xf0f0f0f, v129
	v_lshrrev_b32_e32 v127, 4, v129
	v_and_b32_e32 v127, 0xf0f0f0f, v127
	v_dot4c_i32_i8_e32 v104, v126, v17
	v_dot4c_i32_i8_e32 v104, v127, v21
	s_waitcnt lgkmcnt(0)
	v_and_b32_e32 v126, 0xf0f0f0f, v134
	v_lshrrev_b32_e32 v127, 4, v134
	v_mov_b32_e32 v139, 0
	v_and_b32_e32 v127, 0xf0f0f0f, v127
	v_dot4c_i32_i8_e32 v139, v126, v14
	v_lshrrev_b32_e32 v108, 4, v109
	v_dot4c_i32_i8_e32 v139, v127, v18
	v_and_b32_e32 v14, 0xf0f0f0f, v135
	v_and_b32_e32 v108, 0xf0f0f0f, v108
	v_dot4c_i32_i8_e32 v139, v14, v15
	v_add_u32_e32 v14, 0x31c8, v79
	v_dot4c_i32_i8_e32 v138, v108, v21
	ds_read2_b32 v[136:137], v85 offset0:4 offset1:5
	ds_read2_b32 v[108:109], v83 offset0:6 offset1:7
	;; [unrolled: 1-line block ×3, first 2 shown]
	ds_read2_b32 v[14:15], v14 offset1:1
	v_lshrrev_b32_e32 v18, 4, v135
	v_and_b32_e32 v18, 0xf0f0f0f, v18
	v_dot4c_i32_i8_e32 v139, v18, v19
	v_add_u32_e32 v18, 0x10d0, v79
	v_add_u32_e32 v126, 0x10d8, v79
	v_add_u32_e32 v128, 0x2150, v79
	s_waitcnt lgkmcnt(0)
	v_and_b32_e32 v134, 0xf0f0f0f, v14
	ds_read2_b32 v[18:19], v18 offset1:1
	ds_read2_b32 v[126:127], v126 offset1:1
	;; [unrolled: 1-line block ×3, first 2 shown]
	v_dot4c_i32_i8_e32 v139, v134, v16
	ds_read2_b32 v[134:135], v87 offset0:4 offset1:5
	v_lshrrev_b32_e32 v14, 4, v14
	v_and_b32_e32 v14, 0xf0f0f0f, v14
	v_dot4c_i32_i8_e32 v139, v14, v20
	v_and_b32_e32 v14, 0xf0f0f0f, v15
	v_lshrrev_b32_e32 v15, 4, v15
	v_and_b32_e32 v15, 0xf0f0f0f, v15
	v_dot4c_i32_i8_e32 v139, v14, v17
	v_pk_mul_f16 v124, v2, v124
	v_pk_mul_f16 v136, v2, v136
	v_dot4c_i32_i8_e32 v139, v15, v21
	ds_read2_b32 v[14:15], v85 offset0:6 offset1:7
	s_waitcnt lgkmcnt(1)
	v_pk_mul_f16 v134, v2, v134
	v_and_b32_e32 v2, 0xf0f0f0f, v112
	v_lshrrev_b32_e32 v16, 4, v112
	v_mov_b32_e32 v140, 0
	v_and_b32_e32 v16, 0xf0f0f0f, v16
	v_dot4c_i32_i8_e32 v140, v2, v6
	v_dot4c_i32_i8_e32 v140, v16, v10
	v_and_b32_e32 v2, 0xf0f0f0f, v113
	v_lshrrev_b32_e32 v16, 4, v113
	v_and_b32_e32 v16, 0xf0f0f0f, v16
	v_dot4c_i32_i8_e32 v140, v2, v7
	v_dot4c_i32_i8_e32 v140, v16, v11
	v_and_b32_e32 v2, 0xf0f0f0f, v114
	v_lshrrev_b32_e32 v16, 4, v114
	;; [unrolled: 5-line block ×4, first 2 shown]
	v_mov_b32_e32 v114, 0
	v_and_b32_e32 v16, 0xf0f0f0f, v16
	v_dot4c_i32_i8_e32 v114, v2, v6
	v_dot4c_i32_i8_e32 v114, v16, v10
	v_and_b32_e32 v2, 0xf0f0f0f, v19
	v_lshrrev_b32_e32 v16, 4, v19
	v_and_b32_e32 v16, 0xf0f0f0f, v16
	v_dot4c_i32_i8_e32 v114, v2, v7
	v_dot4c_i32_i8_e32 v114, v16, v11
	v_and_b32_e32 v2, 0xf0f0f0f, v126
	v_lshrrev_b32_e32 v16, 4, v126
	;; [unrolled: 5-line block ×3, first 2 shown]
	v_and_b32_e32 v16, 0xf0f0f0f, v16
	v_dot4c_i32_i8_e32 v114, v2, v9
	v_dot4c_i32_i8_e32 v114, v16, v13
	v_pk_mul_f16 v115, v3, v125
	v_and_b32_e32 v2, 0xf0f0f0f, v128
	v_lshrrev_b32_e32 v16, 4, v128
	v_mov_b32_e32 v125, 0
	v_and_b32_e32 v16, 0xf0f0f0f, v16
	v_dot4c_i32_i8_e32 v125, v2, v6
	v_dot4c_i32_i8_e32 v125, v16, v10
	v_and_b32_e32 v2, 0xf0f0f0f, v129
	v_lshrrev_b32_e32 v16, 4, v129
	v_and_b32_e32 v16, 0xf0f0f0f, v16
	v_dot4c_i32_i8_e32 v125, v2, v7
	v_add_u32_e32 v2, 0x2158, v79
	v_dot4c_i32_i8_e32 v125, v16, v11
	ds_read2_b32 v[16:17], v2 offset1:1
	v_add_u32_e32 v18, 0x31d0, v79
	v_add_u32_e32 v20, 0x31d8, v79
	;; [unrolled: 1-line block ×3, first 2 shown]
	ds_read2_b32 v[18:19], v18 offset1:1
	ds_read2_b32 v[20:21], v20 offset1:1
	;; [unrolled: 1-line block ×3, first 2 shown]
	s_waitcnt lgkmcnt(3)
	v_and_b32_e32 v2, 0xf0f0f0f, v16
	v_lshrrev_b32_e32 v16, 4, v16
	v_and_b32_e32 v16, 0xf0f0f0f, v16
	v_dot4c_i32_i8_e32 v125, v2, v8
	v_dot4c_i32_i8_e32 v125, v16, v12
	v_and_b32_e32 v2, 0xf0f0f0f, v17
	v_lshrrev_b32_e32 v16, 4, v17
	v_and_b32_e32 v16, 0xf0f0f0f, v16
	v_dot4c_i32_i8_e32 v125, v2, v9
	v_dot4c_i32_i8_e32 v125, v16, v13
	s_waitcnt lgkmcnt(2)
	v_and_b32_e32 v2, 0xf0f0f0f, v18
	v_lshrrev_b32_e32 v16, 4, v18
	v_mov_b32_e32 v127, 0
	v_and_b32_e32 v16, 0xf0f0f0f, v16
	v_dot4c_i32_i8_e32 v127, v2, v6
	v_dot4c_i32_i8_e32 v127, v16, v10
	v_and_b32_e32 v2, 0xf0f0f0f, v19
	v_lshrrev_b32_e32 v6, 4, v19
	v_and_b32_e32 v6, 0xf0f0f0f, v6
	v_dot4c_i32_i8_e32 v127, v2, v7
	v_dot4c_i32_i8_e32 v127, v6, v11
	s_waitcnt lgkmcnt(1)
	v_and_b32_e32 v2, 0xf0f0f0f, v20
	v_lshrrev_b32_e32 v6, 4, v20
	v_and_b32_e32 v6, 0xf0f0f0f, v6
	v_dot4c_i32_i8_e32 v127, v2, v8
	v_dot4c_i32_i8_e32 v127, v6, v12
	v_and_b32_e32 v2, 0xf0f0f0f, v21
	v_lshrrev_b32_e32 v6, 4, v21
	v_and_b32_e32 v6, 0xf0f0f0f, v6
	v_dot4c_i32_i8_e32 v127, v2, v9
	v_dot4c_i32_i8_e32 v127, v6, v13
	ds_read_b128 v[6:9], v75 offset:64
	ds_read_b128 v[10:13], v75 offset:80
	v_pk_mul_f16 v105, v3, v105
	v_pk_mul_f16 v126, v3, v137
	v_pk_mul_f16 v128, v3, v135
	v_and_b32_e32 v2, 0xf0f0f0f, v118
	v_lshrrev_b32_e32 v3, 4, v118
	v_mov_b32_e32 v118, 0
	v_and_b32_e32 v3, 0xf0f0f0f, v3
	s_waitcnt lgkmcnt(1)
	v_dot4c_i32_i8_e32 v118, v2, v6
	s_waitcnt lgkmcnt(0)
	v_dot4c_i32_i8_e32 v118, v3, v10
	v_and_b32_e32 v2, 0xf0f0f0f, v119
	v_lshrrev_b32_e32 v3, 4, v119
	v_and_b32_e32 v3, 0xf0f0f0f, v3
	v_dot4c_i32_i8_e32 v118, v2, v7
	v_dot4c_i32_i8_e32 v118, v3, v11
	v_and_b32_e32 v2, 0xf0f0f0f, v120
	v_lshrrev_b32_e32 v3, 4, v120
	v_and_b32_e32 v3, 0xf0f0f0f, v3
	v_dot4c_i32_i8_e32 v118, v2, v8
	;; [unrolled: 5-line block ×3, first 2 shown]
	v_dot4c_i32_i8_e32 v118, v3, v13
	v_and_b32_e32 v2, 0xf0f0f0f, v112
	v_lshrrev_b32_e32 v3, 4, v112
	v_mov_b32_e32 v119, 0
	v_and_b32_e32 v3, 0xf0f0f0f, v3
	v_dot4c_i32_i8_e32 v119, v2, v6
	v_dot4c_i32_i8_e32 v119, v3, v10
	v_and_b32_e32 v2, 0xf0f0f0f, v113
	v_lshrrev_b32_e32 v3, 4, v113
	v_and_b32_e32 v3, 0xf0f0f0f, v3
	v_dot4c_i32_i8_e32 v119, v2, v7
	v_add_u32_e32 v2, 0x10e8, v79
	v_dot4c_i32_i8_e32 v119, v3, v11
	ds_read2_b32 v[2:3], v2 offset1:1
	v_add_u32_e32 v16, 0x2160, v79
	v_add_u32_e32 v18, 0x2168, v79
	;; [unrolled: 1-line block ×3, first 2 shown]
	ds_read2_b32 v[16:17], v16 offset1:1
	ds_read2_b32 v[18:19], v18 offset1:1
	;; [unrolled: 1-line block ×3, first 2 shown]
	s_waitcnt lgkmcnt(3)
	v_and_b32_e32 v112, 0xf0f0f0f, v2
	v_lshrrev_b32_e32 v2, 4, v2
	v_and_b32_e32 v2, 0xf0f0f0f, v2
	v_dot4c_i32_i8_e32 v119, v112, v8
	v_dot4c_i32_i8_e32 v119, v2, v12
	v_and_b32_e32 v2, 0xf0f0f0f, v3
	v_lshrrev_b32_e32 v3, 4, v3
	v_and_b32_e32 v3, 0xf0f0f0f, v3
	v_dot4c_i32_i8_e32 v119, v2, v9
	v_dot4c_i32_i8_e32 v119, v3, v13
	s_waitcnt lgkmcnt(2)
	v_and_b32_e32 v2, 0xf0f0f0f, v16
	v_lshrrev_b32_e32 v3, 4, v16
	v_mov_b32_e32 v120, 0
	v_and_b32_e32 v3, 0xf0f0f0f, v3
	v_dot4c_i32_i8_e32 v120, v2, v6
	v_dot4c_i32_i8_e32 v120, v3, v10
	v_and_b32_e32 v2, 0xf0f0f0f, v17
	v_lshrrev_b32_e32 v3, 4, v17
	v_and_b32_e32 v3, 0xf0f0f0f, v3
	v_dot4c_i32_i8_e32 v120, v2, v7
	v_dot4c_i32_i8_e32 v120, v3, v11
	s_waitcnt lgkmcnt(1)
	v_and_b32_e32 v2, 0xf0f0f0f, v18
	v_lshrrev_b32_e32 v3, 4, v18
	v_and_b32_e32 v3, 0xf0f0f0f, v3
	v_dot4c_i32_i8_e32 v120, v2, v8
	v_dot4c_i32_i8_e32 v120, v3, v12
	v_and_b32_e32 v2, 0xf0f0f0f, v19
	v_lshrrev_b32_e32 v3, 4, v19
	v_and_b32_e32 v3, 0xf0f0f0f, v3
	v_dot4c_i32_i8_e32 v120, v2, v9
	v_dot4c_i32_i8_e32 v120, v3, v13
	s_waitcnt lgkmcnt(0)
	v_and_b32_e32 v2, 0xf0f0f0f, v20
	v_lshrrev_b32_e32 v3, 4, v20
	v_mov_b32_e32 v129, 0
	v_and_b32_e32 v3, 0xf0f0f0f, v3
	v_dot4c_i32_i8_e32 v129, v2, v6
	v_dot4c_i32_i8_e32 v129, v3, v10
	v_and_b32_e32 v2, 0xf0f0f0f, v21
	v_lshrrev_b32_e32 v3, 4, v21
	v_and_b32_e32 v3, 0xf0f0f0f, v3
	v_dot4c_i32_i8_e32 v129, v2, v7
	v_add_u32_e32 v2, 0x31e8, v79
	v_dot4c_i32_i8_e32 v129, v3, v11
	ds_read2_b32 v[2:3], v2 offset1:1
	v_add_u32_e32 v6, 0x10f0, v79
	v_add_u32_e32 v7, 0x10f8, v79
	;; [unrolled: 1-line block ×3, first 2 shown]
	ds_read2_b32 v[16:17], v6 offset1:1
	ds_read2_b32 v[18:19], v7 offset1:1
	;; [unrolled: 1-line block ×3, first 2 shown]
	s_waitcnt lgkmcnt(3)
	v_and_b32_e32 v6, 0xf0f0f0f, v2
	v_lshrrev_b32_e32 v2, 4, v2
	v_and_b32_e32 v2, 0xf0f0f0f, v2
	v_dot4c_i32_i8_e32 v129, v6, v8
	v_dot4c_i32_i8_e32 v129, v2, v12
	v_and_b32_e32 v2, 0xf0f0f0f, v3
	v_lshrrev_b32_e32 v3, 4, v3
	v_and_b32_e32 v3, 0xf0f0f0f, v3
	v_dot4c_i32_i8_e32 v129, v2, v9
	v_dot4c_i32_i8_e32 v129, v3, v13
	ds_read_b128 v[6:9], v75 offset:96
	ds_read_b128 v[10:13], v75 offset:112
	v_pk_mul_f16 v116, v4, v116
	v_pk_mul_f16 v108, v4, v108
	;; [unrolled: 1-line block ×4, first 2 shown]
	v_and_b32_e32 v2, 0xf0f0f0f, v106
	v_lshrrev_b32_e32 v3, 4, v106
	v_mov_b32_e32 v4, 0
	v_and_b32_e32 v3, 0xf0f0f0f, v3
	s_waitcnt lgkmcnt(1)
	v_dot4c_i32_i8_e32 v4, v2, v6
	s_waitcnt lgkmcnt(0)
	v_dot4c_i32_i8_e32 v4, v3, v10
	v_and_b32_e32 v2, 0xf0f0f0f, v107
	v_lshrrev_b32_e32 v3, 4, v107
	v_and_b32_e32 v3, 0xf0f0f0f, v3
	v_dot4c_i32_i8_e32 v4, v2, v7
	v_dot4c_i32_i8_e32 v4, v3, v11
	v_and_b32_e32 v2, 0xf0f0f0f, v110
	v_lshrrev_b32_e32 v3, 4, v110
	v_and_b32_e32 v3, 0xf0f0f0f, v3
	v_dot4c_i32_i8_e32 v4, v2, v8
	;; [unrolled: 5-line block ×3, first 2 shown]
	v_dot4c_i32_i8_e32 v4, v3, v13
	v_pk_mul_f16 v14, v5, v117
	v_and_b32_e32 v2, 0xf0f0f0f, v16
	v_lshrrev_b32_e32 v3, 4, v16
	v_mov_b32_e32 v117, 0
	v_and_b32_e32 v3, 0xf0f0f0f, v3
	v_dot4c_i32_i8_e32 v117, v2, v6
	v_dot4c_i32_i8_e32 v117, v3, v10
	v_and_b32_e32 v2, 0xf0f0f0f, v17
	v_lshrrev_b32_e32 v3, 4, v17
	v_and_b32_e32 v3, 0xf0f0f0f, v3
	v_dot4c_i32_i8_e32 v117, v2, v7
	v_dot4c_i32_i8_e32 v117, v3, v11
	v_and_b32_e32 v2, 0xf0f0f0f, v18
	v_lshrrev_b32_e32 v3, 4, v18
	;; [unrolled: 5-line block ×3, first 2 shown]
	v_and_b32_e32 v3, 0xf0f0f0f, v3
	v_dot4c_i32_i8_e32 v117, v2, v9
	v_dot4c_i32_i8_e32 v117, v3, v13
	v_cvt_f32_f16_e32 v3, v124
	v_cvt_f32_f16_e32 v2, v123
	v_cvt_f32_f16_sdwa v17, v124 dst_sel:DWORD dst_unused:UNUSED_PAD src0_sel:WORD_1
	v_cvt_f32_f16_sdwa v16, v123 dst_sel:DWORD dst_unused:UNUSED_PAD src0_sel:WORD_1
	v_cvt_f32_i32_e32 v19, v138
	v_cvt_f32_i32_e32 v18, v122
	v_cvt_f32_f16_e32 v107, v115
	v_cvt_f32_f16_e32 v106, v105
	v_cvt_f32_f16_sdwa v111, v115 dst_sel:DWORD dst_unused:UNUSED_PAD src0_sel:WORD_1
	v_cvt_f32_f16_sdwa v110, v105 dst_sel:DWORD dst_unused:UNUSED_PAD src0_sel:WORD_1
	v_cvt_f32_i32_e32 v113, v114
	v_cvt_f32_i32_e32 v112, v140
	v_pk_fma_f32 v[2:3], v[2:3], v[18:19], v[16:17]
	v_pk_mul_f16 v105, v5, v109
	v_pk_add_f32 v[2:3], v[98:99], v[2:3]
	v_pk_fma_f32 v[16:17], v[106:107], v[112:113], v[110:111]
	v_cvt_f32_f16_e32 v19, v108
	v_cvt_f32_f16_e32 v18, v116
	v_cvt_f32_f16_sdwa v99, v108 dst_sel:DWORD dst_unused:UNUSED_PAD src0_sel:WORD_1
	v_cvt_f32_f16_sdwa v98, v116 dst_sel:DWORD dst_unused:UNUSED_PAD src0_sel:WORD_1
	v_cvt_f32_i32_e32 v107, v119
	v_cvt_f32_i32_e32 v106, v118
	v_cvt_f32_f16_e32 v109, v105
	v_cvt_f32_f16_e32 v108, v14
	v_cvt_f32_f16_sdwa v111, v105 dst_sel:DWORD dst_unused:UNUSED_PAD src0_sel:WORD_1
	v_cvt_f32_f16_sdwa v110, v14 dst_sel:DWORD dst_unused:UNUSED_PAD src0_sel:WORD_1
	v_cvt_f32_i32_e32 v113, v117
	v_cvt_f32_i32_e32 v112, v4
	v_pk_add_f32 v[2:3], v[2:3], v[16:17]
	v_pk_fma_f32 v[16:17], v[18:19], v[106:107], v[98:99]
	v_pk_add_f32 v[2:3], v[2:3], v[16:17]
	v_pk_fma_f32 v[16:17], v[108:109], v[112:113], v[110:111]
	v_pk_add_f32 v[98:99], v[2:3], v[16:17]
	v_and_b32_e32 v2, 0xf0f0f0f, v20
	v_lshrrev_b32_e32 v3, 4, v20
	v_mov_b32_e32 v20, 0
	v_and_b32_e32 v3, 0xf0f0f0f, v3
	v_dot4c_i32_i8_e32 v20, v2, v6
	v_dot4c_i32_i8_e32 v20, v3, v10
	v_and_b32_e32 v2, 0xf0f0f0f, v21
	v_lshrrev_b32_e32 v3, 4, v21
	v_and_b32_e32 v3, 0xf0f0f0f, v3
	v_dot4c_i32_i8_e32 v20, v2, v7
	v_add_u32_e32 v2, 0x2178, v79
	v_dot4c_i32_i8_e32 v20, v3, v11
	ds_read2_b32 v[2:3], v2 offset1:1
	v_add_u32_e32 v4, 0x31f0, v79
	v_add_u32_e32 v14, 0x31f8, v79
	ds_read2_b32 v[16:17], v4 offset1:1
	ds_read2_b32 v[18:19], v14 offset1:1
	v_pk_mul_f16 v21, v5, v15
	s_waitcnt lgkmcnt(2)
	v_and_b32_e32 v4, 0xf0f0f0f, v2
	v_lshrrev_b32_e32 v2, 4, v2
	v_and_b32_e32 v2, 0xf0f0f0f, v2
	v_dot4c_i32_i8_e32 v20, v4, v8
	v_dot4c_i32_i8_e32 v20, v2, v12
	v_and_b32_e32 v2, 0xf0f0f0f, v3
	v_lshrrev_b32_e32 v3, 4, v3
	v_and_b32_e32 v3, 0xf0f0f0f, v3
	v_dot4c_i32_i8_e32 v20, v2, v9
	v_dot4c_i32_i8_e32 v20, v3, v13
	s_waitcnt lgkmcnt(1)
	v_and_b32_e32 v2, 0xf0f0f0f, v16
	v_lshrrev_b32_e32 v3, 4, v16
	v_mov_b32_e32 v16, 0
	v_and_b32_e32 v3, 0xf0f0f0f, v3
	v_dot4c_i32_i8_e32 v16, v2, v6
	v_dot4c_i32_i8_e32 v16, v3, v10
	v_and_b32_e32 v2, 0xf0f0f0f, v17
	v_lshrrev_b32_e32 v3, 4, v17
	v_and_b32_e32 v3, 0xf0f0f0f, v3
	v_dot4c_i32_i8_e32 v16, v2, v7
	v_dot4c_i32_i8_e32 v16, v3, v11
	s_waitcnt lgkmcnt(0)
	v_and_b32_e32 v2, 0xf0f0f0f, v18
	v_lshrrev_b32_e32 v3, 4, v18
	v_and_b32_e32 v3, 0xf0f0f0f, v3
	v_dot4c_i32_i8_e32 v16, v2, v8
	v_dot4c_i32_i8_e32 v16, v3, v12
	v_and_b32_e32 v2, 0xf0f0f0f, v19
	v_lshrrev_b32_e32 v3, 4, v19
	v_and_b32_e32 v3, 0xf0f0f0f, v3
	v_dot4c_i32_i8_e32 v16, v2, v9
	v_dot4c_i32_i8_e32 v16, v3, v13
	v_cvt_f32_f16_e32 v3, v134
	v_cvt_f32_f16_e32 v2, v136
	v_cvt_f32_f16_sdwa v7, v134 dst_sel:DWORD dst_unused:UNUSED_PAD src0_sel:WORD_1
	v_cvt_f32_f16_sdwa v6, v136 dst_sel:DWORD dst_unused:UNUSED_PAD src0_sel:WORD_1
	v_cvt_f32_i32_e32 v9, v139
	v_cvt_f32_i32_e32 v8, v104
	v_cvt_f32_f16_e32 v11, v128
	v_cvt_f32_f16_e32 v10, v126
	v_cvt_f32_f16_sdwa v13, v128 dst_sel:DWORD dst_unused:UNUSED_PAD src0_sel:WORD_1
	v_cvt_f32_f16_sdwa v12, v126 dst_sel:DWORD dst_unused:UNUSED_PAD src0_sel:WORD_1
	v_cvt_f32_i32_e32 v15, v127
	v_cvt_f32_i32_e32 v14, v125
	v_pk_mul_f16 v17, v5, v103
	v_pk_fma_f32 v[2:3], v[2:3], v[8:9], v[6:7]
	v_cvt_f32_f16_e32 v7, v102
	v_pk_fma_f32 v[4:5], v[10:11], v[14:15], v[12:13]
	v_cvt_f32_f16_e32 v6, v121
	v_cvt_f32_f16_sdwa v9, v102 dst_sel:DWORD dst_unused:UNUSED_PAD src0_sel:WORD_1
	v_cvt_f32_f16_sdwa v8, v121 dst_sel:DWORD dst_unused:UNUSED_PAD src0_sel:WORD_1
	v_cvt_f32_i32_e32 v11, v129
	v_cvt_f32_i32_e32 v10, v120
	v_cvt_f32_f16_e32 v13, v17
	v_cvt_f32_f16_e32 v12, v21
	v_cvt_f32_f16_sdwa v15, v17 dst_sel:DWORD dst_unused:UNUSED_PAD src0_sel:WORD_1
	v_cvt_f32_f16_sdwa v14, v21 dst_sel:DWORD dst_unused:UNUSED_PAD src0_sel:WORD_1
	v_cvt_f32_i32_e32 v17, v16
	v_cvt_f32_i32_e32 v16, v20
	v_pk_add_f32 v[2:3], v[100:101], v[2:3]
	v_pk_add_f32 v[2:3], v[2:3], v[4:5]
	v_pk_fma_f32 v[4:5], v[6:7], v[10:11], v[8:9]
	v_pk_add_f32 v[2:3], v[2:3], v[4:5]
	v_pk_fma_f32 v[4:5], v[12:13], v[16:17], v[14:15]
	v_pk_add_f32 v[100:101], v[2:3], v[4:5]
	s_barrier
.LBB200_5:                              ;   in Loop: Header=BB200_6 Depth=1
	v_add_co_u32_e32 v56, vcc, 0x120, v56
	v_addc_co_u32_e32 v57, vcc, 0, v57, vcc
	v_add_co_u32_e32 v58, vcc, 0xa0, v58
	v_addc_co_u32_e32 v1, vcc, 0, v1, vcc
	;; [unrolled: 2-line block ×20, first 2 shown]
	s_add_i32 s18, s18, 8
	s_addk_i32 s10, 0x100
	v_add_co_u32_e32 v96, vcc, 0xa0, v96
	s_cmp_ge_i32 s18, s20
	v_addc_co_u32_e32 v63, vcc, 0, v63, vcc
	s_cbranch_scc1 .LBB200_20
.LBB200_6:                              ; =>This Inner Loop Header: Depth=1
	v_add_co_u32_e32 v2, vcc, s8, v58
	v_addc_co_u32_e32 v3, vcc, v1, v133, vcc
	global_load_dword v4, v[2:3], off
	v_add_co_u32_e32 v2, vcc, s8, v60
	v_addc_co_u32_e32 v3, vcc, v23, v133, vcc
	global_load_dword v5, v[2:3], off
	;; [unrolled: 3-line block ×20, first 2 shown]
	s_add_i32 s4, s10, 0xffffff80
	s_cmp_lt_i32 s4, s9
	s_waitcnt vmcnt(19)
	ds_write_b32 v22, v4
	s_waitcnt vmcnt(18)
	ds_write_b32 v24, v5
	;; [unrolled: 2-line block ×20, first 2 shown]
	s_cbranch_scc0 .LBB200_5
; %bb.7:                                ;   in Loop: Header=BB200_6 Depth=1
	v_add_u32_e32 v2, s18, v69
	v_cmp_gt_i32_e32 vcc, s12, v2
	s_and_b64 s[22:23], s[2:3], vcc
	s_and_saveexec_b64 s[4:5], s[22:23]
	s_cbranch_execz .LBB200_9
; %bb.8:                                ;   in Loop: Header=BB200_6 Depth=1
	v_add_u32_e32 v2, s18, v95
	v_mad_i64_i32 v[2:3], s[22:23], v2, 36, v[54:55]
	global_load_dword v2, v[2:3], off offset:4
	s_waitcnt vmcnt(0)
	ds_write_b32 v71, v2
.LBB200_9:                              ;   in Loop: Header=BB200_6 Depth=1
	s_or_b64 exec, exec, s[4:5]
	s_and_saveexec_b64 s[4:5], s[0:1]
	s_cbranch_execz .LBB200_12
; %bb.10:                               ;   in Loop: Header=BB200_6 Depth=1
	v_add_u32_e32 v2, s18, v67
	v_cmp_gt_i32_e32 vcc, s12, v2
	s_and_b64 s[22:23], s[2:3], vcc
	s_and_b64 exec, exec, s[22:23]
	s_cbranch_execz .LBB200_12
; %bb.11:                               ;   in Loop: Header=BB200_6 Depth=1
	v_add_u32_e32 v2, s18, v91
	v_mad_i64_i32 v[2:3], s[22:23], v2, 36, s[6:7]
	global_load_dword v2, v[2:3], off
	s_waitcnt vmcnt(0)
	ds_write_b32 v73, v2
.LBB200_12:                             ;   in Loop: Header=BB200_6 Depth=1
	s_or_b64 exec, exec, s[4:5]
	s_waitcnt lgkmcnt(0)
	s_barrier
	ds_read_b128 v[2:5], v77
	ds_read2_b32 v[102:103], v79 offset1:1
	ds_read_b128 v[14:17], v75
	ds_read_b128 v[18:21], v75 offset:16
	ds_read_b128 v[6:9], v75 offset:32
	;; [unrolled: 1-line block ×3, first 2 shown]
	ds_read2_b32 v[104:105], v81 offset1:1
	s_waitcnt lgkmcnt(5)
	v_and_b32_e32 v106, 0xf0f0f0f, v102
	v_lshrrev_b32_e32 v102, 4, v102
	v_mov_b32_e32 v108, 0
	v_and_b32_e32 v102, 0xf0f0f0f, v102
	s_waitcnt lgkmcnt(4)
	v_dot4c_i32_i8_e32 v108, v106, v14
	s_waitcnt lgkmcnt(3)
	v_dot4c_i32_i8_e32 v108, v102, v18
	v_and_b32_e32 v102, 0xf0f0f0f, v103
	v_lshrrev_b32_e32 v103, 4, v103
	v_and_b32_e32 v106, 0xf0f0f0f, v103
	v_dot4c_i32_i8_e32 v108, v102, v15
	ds_read2_b32 v[102:103], v79 offset0:2 offset1:3
	v_dot4c_i32_i8_e32 v108, v106, v19
	ds_read2_b32 v[120:121], v79 offset0:4 offset1:5
	ds_read2_b32 v[122:123], v79 offset0:6 offset1:7
	;; [unrolled: 1-line block ×6, first 2 shown]
	s_waitcnt lgkmcnt(7)
	v_pk_mul_f16 v144, v2, v104
	s_waitcnt lgkmcnt(6)
	v_and_b32_e32 v106, 0xf0f0f0f, v102
	v_lshrrev_b32_e32 v102, 4, v102
	v_and_b32_e32 v102, 0xf0f0f0f, v102
	v_dot4c_i32_i8_e32 v108, v106, v16
	v_dot4c_i32_i8_e32 v108, v102, v20
	v_and_b32_e32 v102, 0xf0f0f0f, v103
	v_dot4c_i32_i8_e32 v108, v102, v17
	v_add_u32_e32 v102, 0x1080, v79
	ds_read2_b32 v[106:107], v102 offset1:1
	v_mov_b32_e32 v113, 0
	v_lshrrev_b32_e32 v103, 4, v103
	v_and_b32_e32 v103, 0xf0f0f0f, v103
	v_dot4c_i32_i8_e32 v108, v103, v21
	s_waitcnt lgkmcnt(0)
	v_and_b32_e32 v104, 0xf0f0f0f, v106
	v_lshrrev_b32_e32 v106, 4, v106
	v_and_b32_e32 v106, 0xf0f0f0f, v106
	v_dot4c_i32_i8_e32 v113, v104, v14
	v_dot4c_i32_i8_e32 v113, v106, v18
	v_and_b32_e32 v104, 0xf0f0f0f, v107
	v_lshrrev_b32_e32 v106, 4, v107
	v_and_b32_e32 v106, 0xf0f0f0f, v106
	v_dot4c_i32_i8_e32 v113, v104, v15
	v_add_u32_e32 v104, 0x1088, v79
	ds_read2_b32 v[134:135], v83 offset1:1
	ds_read2_b32 v[102:103], v87 offset0:2 offset1:3
	v_dot4c_i32_i8_e32 v113, v106, v19
	ds_read2_b32 v[106:107], v104 offset1:1
	v_cvt_f32_i32_e32 v112, v108
	v_add_u32_e32 v108, 0x2100, v79
	v_add_u32_e32 v104, 0x3180, v79
	;; [unrolled: 1-line block ×3, first 2 shown]
	ds_read2_b32 v[108:109], v108 offset1:1
	ds_read2_b32 v[136:137], v111 offset1:1
	;; [unrolled: 1-line block ×3, first 2 shown]
	s_waitcnt lgkmcnt(3)
	v_and_b32_e32 v104, 0xf0f0f0f, v106
	v_lshrrev_b32_e32 v106, 4, v106
	v_and_b32_e32 v106, 0xf0f0f0f, v106
	v_dot4c_i32_i8_e32 v113, v104, v16
	v_dot4c_i32_i8_e32 v113, v106, v20
	v_and_b32_e32 v104, 0xf0f0f0f, v107
	v_lshrrev_b32_e32 v106, 4, v107
	v_and_b32_e32 v106, 0xf0f0f0f, v106
	v_dot4c_i32_i8_e32 v113, v104, v17
	v_dot4c_i32_i8_e32 v113, v106, v21
	s_waitcnt lgkmcnt(2)
	v_and_b32_e32 v104, 0xf0f0f0f, v108
	v_lshrrev_b32_e32 v106, 4, v108
	v_mov_b32_e32 v107, 0
	v_and_b32_e32 v106, 0xf0f0f0f, v106
	v_dot4c_i32_i8_e32 v107, v104, v14
	v_dot4c_i32_i8_e32 v107, v106, v18
	v_and_b32_e32 v104, 0xf0f0f0f, v109
	v_lshrrev_b32_e32 v106, 4, v109
	v_and_b32_e32 v106, 0xf0f0f0f, v106
	v_dot4c_i32_i8_e32 v107, v104, v15
	v_dot4c_i32_i8_e32 v107, v106, v19
	s_waitcnt lgkmcnt(1)
	v_and_b32_e32 v104, 0xf0f0f0f, v136
	v_lshrrev_b32_e32 v106, 4, v136
	v_and_b32_e32 v106, 0xf0f0f0f, v106
	v_dot4c_i32_i8_e32 v107, v104, v16
	v_dot4c_i32_i8_e32 v107, v106, v20
	v_and_b32_e32 v104, 0xf0f0f0f, v137
	v_lshrrev_b32_e32 v106, 4, v137
	v_and_b32_e32 v106, 0xf0f0f0f, v106
	v_dot4c_i32_i8_e32 v107, v104, v17
	v_dot4c_i32_i8_e32 v107, v106, v21
	s_waitcnt lgkmcnt(0)
	v_and_b32_e32 v104, 0xf0f0f0f, v138
	v_mov_b32_e32 v109, 0
	v_dot4c_i32_i8_e32 v109, v104, v14
	v_cvt_f32_i32_e32 v108, v107
	v_lshrrev_b32_e32 v107, 4, v138
	v_and_b32_e32 v107, 0xf0f0f0f, v107
	v_dot4c_i32_i8_e32 v109, v107, v18
	v_and_b32_e32 v14, 0xf0f0f0f, v139
	v_dot4c_i32_i8_e32 v109, v14, v15
	v_add_u32_e32 v14, 0x3188, v79
	ds_read2_b32 v[140:141], v85 offset1:1
	ds_read2_b32 v[118:119], v83 offset0:2 offset1:3
	ds_read2_b32 v[124:125], v81 offset0:2 offset1:3
	ds_read2_b32 v[14:15], v14 offset1:1
	v_lshrrev_b32_e32 v18, 4, v139
	v_and_b32_e32 v18, 0xf0f0f0f, v18
	v_dot4c_i32_i8_e32 v109, v18, v19
	v_add_u32_e32 v18, 0x1090, v79
	v_add_u32_e32 v104, 0x1098, v79
	;; [unrolled: 1-line block ×3, first 2 shown]
	ds_read2_b32 v[18:19], v18 offset1:1
	ds_read2_b32 v[136:137], v104 offset1:1
	;; [unrolled: 1-line block ×4, first 2 shown]
	s_waitcnt lgkmcnt(4)
	v_and_b32_e32 v104, 0xf0f0f0f, v14
	v_lshrrev_b32_e32 v14, 4, v14
	v_and_b32_e32 v14, 0xf0f0f0f, v14
	v_dot4c_i32_i8_e32 v109, v104, v16
	v_dot4c_i32_i8_e32 v109, v14, v20
	v_and_b32_e32 v14, 0xf0f0f0f, v15
	v_lshrrev_b32_e32 v15, 4, v15
	v_and_b32_e32 v15, 0xf0f0f0f, v15
	v_dot4c_i32_i8_e32 v109, v14, v17
	v_pk_mul_f16 v134, v2, v134
	v_pk_mul_f16 v140, v2, v140
	v_dot4c_i32_i8_e32 v109, v15, v21
	ds_read2_b32 v[14:15], v85 offset0:2 offset1:3
	s_waitcnt lgkmcnt(1)
	v_pk_mul_f16 v142, v2, v142
	v_and_b32_e32 v2, 0xf0f0f0f, v120
	v_lshrrev_b32_e32 v16, 4, v120
	v_mov_b32_e32 v120, 0
	v_and_b32_e32 v16, 0xf0f0f0f, v16
	v_dot4c_i32_i8_e32 v120, v2, v6
	v_dot4c_i32_i8_e32 v120, v16, v10
	v_and_b32_e32 v2, 0xf0f0f0f, v121
	v_lshrrev_b32_e32 v16, 4, v121
	v_and_b32_e32 v16, 0xf0f0f0f, v16
	v_dot4c_i32_i8_e32 v120, v2, v7
	v_dot4c_i32_i8_e32 v120, v16, v11
	v_and_b32_e32 v2, 0xf0f0f0f, v122
	v_lshrrev_b32_e32 v16, 4, v122
	;; [unrolled: 5-line block ×4, first 2 shown]
	v_mov_b32_e32 v122, 0
	v_and_b32_e32 v16, 0xf0f0f0f, v16
	v_dot4c_i32_i8_e32 v122, v2, v6
	v_dot4c_i32_i8_e32 v122, v16, v10
	v_and_b32_e32 v2, 0xf0f0f0f, v19
	v_lshrrev_b32_e32 v16, 4, v19
	v_and_b32_e32 v16, 0xf0f0f0f, v16
	v_dot4c_i32_i8_e32 v122, v2, v7
	v_dot4c_i32_i8_e32 v122, v16, v11
	v_and_b32_e32 v2, 0xf0f0f0f, v136
	v_lshrrev_b32_e32 v16, 4, v136
	;; [unrolled: 5-line block ×3, first 2 shown]
	v_and_b32_e32 v16, 0xf0f0f0f, v16
	v_dot4c_i32_i8_e32 v122, v2, v9
	v_dot4c_i32_i8_e32 v122, v16, v13
	v_pk_mul_f16 v123, v3, v135
	v_and_b32_e32 v2, 0xf0f0f0f, v138
	v_lshrrev_b32_e32 v16, 4, v138
	v_mov_b32_e32 v135, 0
	v_and_b32_e32 v16, 0xf0f0f0f, v16
	v_dot4c_i32_i8_e32 v135, v2, v6
	v_dot4c_i32_i8_e32 v135, v16, v10
	v_and_b32_e32 v2, 0xf0f0f0f, v139
	v_lshrrev_b32_e32 v16, 4, v139
	v_and_b32_e32 v16, 0xf0f0f0f, v16
	v_dot4c_i32_i8_e32 v135, v2, v7
	v_add_u32_e32 v2, 0x2118, v79
	v_dot4c_i32_i8_e32 v135, v16, v11
	ds_read2_b32 v[16:17], v2 offset1:1
	v_add_u32_e32 v18, 0x3190, v79
	v_add_u32_e32 v20, 0x3198, v79
	;; [unrolled: 1-line block ×3, first 2 shown]
	v_pk_mul_f16 v121, v3, v105
	ds_read2_b32 v[18:19], v18 offset1:1
	ds_read2_b32 v[20:21], v20 offset1:1
	;; [unrolled: 1-line block ×3, first 2 shown]
	s_waitcnt lgkmcnt(3)
	v_and_b32_e32 v2, 0xf0f0f0f, v16
	v_lshrrev_b32_e32 v16, 4, v16
	v_and_b32_e32 v16, 0xf0f0f0f, v16
	v_dot4c_i32_i8_e32 v135, v2, v8
	v_dot4c_i32_i8_e32 v135, v16, v12
	v_and_b32_e32 v2, 0xf0f0f0f, v17
	v_lshrrev_b32_e32 v16, 4, v17
	v_and_b32_e32 v16, 0xf0f0f0f, v16
	v_dot4c_i32_i8_e32 v135, v2, v9
	v_dot4c_i32_i8_e32 v135, v16, v13
	s_waitcnt lgkmcnt(2)
	v_and_b32_e32 v2, 0xf0f0f0f, v18
	v_lshrrev_b32_e32 v16, 4, v18
	v_mov_b32_e32 v137, 0
	v_and_b32_e32 v16, 0xf0f0f0f, v16
	v_dot4c_i32_i8_e32 v137, v2, v6
	v_dot4c_i32_i8_e32 v137, v16, v10
	v_and_b32_e32 v2, 0xf0f0f0f, v19
	v_lshrrev_b32_e32 v6, 4, v19
	v_and_b32_e32 v6, 0xf0f0f0f, v6
	v_dot4c_i32_i8_e32 v137, v2, v7
	v_dot4c_i32_i8_e32 v137, v6, v11
	s_waitcnt lgkmcnt(1)
	v_and_b32_e32 v2, 0xf0f0f0f, v20
	v_lshrrev_b32_e32 v6, 4, v20
	v_and_b32_e32 v6, 0xf0f0f0f, v6
	v_dot4c_i32_i8_e32 v137, v2, v8
	v_dot4c_i32_i8_e32 v137, v6, v12
	v_and_b32_e32 v2, 0xf0f0f0f, v21
	v_lshrrev_b32_e32 v6, 4, v21
	v_and_b32_e32 v6, 0xf0f0f0f, v6
	v_dot4c_i32_i8_e32 v137, v2, v9
	v_dot4c_i32_i8_e32 v137, v6, v13
	ds_read_b128 v[6:9], v75 offset:64
	ds_read_b128 v[10:13], v75 offset:80
	v_pk_mul_f16 v136, v3, v141
	v_pk_mul_f16 v138, v3, v143
	v_and_b32_e32 v2, 0xf0f0f0f, v126
	v_lshrrev_b32_e32 v3, 4, v126
	v_mov_b32_e32 v126, 0
	v_and_b32_e32 v3, 0xf0f0f0f, v3
	s_waitcnt lgkmcnt(1)
	v_dot4c_i32_i8_e32 v126, v2, v6
	s_waitcnt lgkmcnt(0)
	v_dot4c_i32_i8_e32 v126, v3, v10
	v_and_b32_e32 v2, 0xf0f0f0f, v127
	v_lshrrev_b32_e32 v3, 4, v127
	v_and_b32_e32 v3, 0xf0f0f0f, v3
	v_dot4c_i32_i8_e32 v126, v2, v7
	v_dot4c_i32_i8_e32 v126, v3, v11
	v_and_b32_e32 v2, 0xf0f0f0f, v128
	v_lshrrev_b32_e32 v3, 4, v128
	v_and_b32_e32 v3, 0xf0f0f0f, v3
	v_dot4c_i32_i8_e32 v126, v2, v8
	;; [unrolled: 5-line block ×3, first 2 shown]
	v_dot4c_i32_i8_e32 v126, v3, v13
	v_and_b32_e32 v2, 0xf0f0f0f, v104
	v_lshrrev_b32_e32 v3, 4, v104
	v_mov_b32_e32 v127, 0
	v_and_b32_e32 v3, 0xf0f0f0f, v3
	v_dot4c_i32_i8_e32 v127, v2, v6
	v_dot4c_i32_i8_e32 v127, v3, v10
	v_and_b32_e32 v2, 0xf0f0f0f, v105
	v_lshrrev_b32_e32 v3, 4, v105
	v_and_b32_e32 v3, 0xf0f0f0f, v3
	v_dot4c_i32_i8_e32 v127, v2, v7
	v_add_u32_e32 v2, 0x10a8, v79
	v_dot4c_i32_i8_e32 v127, v3, v11
	ds_read2_b32 v[2:3], v2 offset1:1
	v_add_u32_e32 v16, 0x2120, v79
	v_add_u32_e32 v18, 0x2128, v79
	;; [unrolled: 1-line block ×3, first 2 shown]
	ds_read2_b32 v[16:17], v16 offset1:1
	ds_read2_b32 v[18:19], v18 offset1:1
	;; [unrolled: 1-line block ×3, first 2 shown]
	s_waitcnt lgkmcnt(3)
	v_and_b32_e32 v104, 0xf0f0f0f, v2
	v_lshrrev_b32_e32 v2, 4, v2
	v_and_b32_e32 v2, 0xf0f0f0f, v2
	v_dot4c_i32_i8_e32 v127, v104, v8
	v_dot4c_i32_i8_e32 v127, v2, v12
	v_and_b32_e32 v2, 0xf0f0f0f, v3
	v_lshrrev_b32_e32 v3, 4, v3
	v_and_b32_e32 v3, 0xf0f0f0f, v3
	v_dot4c_i32_i8_e32 v127, v2, v9
	v_dot4c_i32_i8_e32 v127, v3, v13
	s_waitcnt lgkmcnt(2)
	v_and_b32_e32 v2, 0xf0f0f0f, v16
	v_lshrrev_b32_e32 v3, 4, v16
	v_mov_b32_e32 v128, 0
	v_and_b32_e32 v3, 0xf0f0f0f, v3
	v_dot4c_i32_i8_e32 v128, v2, v6
	v_dot4c_i32_i8_e32 v128, v3, v10
	v_and_b32_e32 v2, 0xf0f0f0f, v17
	v_lshrrev_b32_e32 v3, 4, v17
	v_and_b32_e32 v3, 0xf0f0f0f, v3
	v_dot4c_i32_i8_e32 v128, v2, v7
	v_dot4c_i32_i8_e32 v128, v3, v11
	s_waitcnt lgkmcnt(1)
	v_and_b32_e32 v2, 0xf0f0f0f, v18
	v_lshrrev_b32_e32 v3, 4, v18
	v_and_b32_e32 v3, 0xf0f0f0f, v3
	v_dot4c_i32_i8_e32 v128, v2, v8
	v_dot4c_i32_i8_e32 v128, v3, v12
	v_and_b32_e32 v2, 0xf0f0f0f, v19
	v_lshrrev_b32_e32 v3, 4, v19
	v_and_b32_e32 v3, 0xf0f0f0f, v3
	v_dot4c_i32_i8_e32 v128, v2, v9
	v_dot4c_i32_i8_e32 v128, v3, v13
	s_waitcnt lgkmcnt(0)
	v_and_b32_e32 v2, 0xf0f0f0f, v20
	v_lshrrev_b32_e32 v3, 4, v20
	v_mov_b32_e32 v129, 0
	v_and_b32_e32 v3, 0xf0f0f0f, v3
	v_dot4c_i32_i8_e32 v129, v2, v6
	v_dot4c_i32_i8_e32 v129, v3, v10
	v_and_b32_e32 v2, 0xf0f0f0f, v21
	v_lshrrev_b32_e32 v3, 4, v21
	v_and_b32_e32 v3, 0xf0f0f0f, v3
	v_dot4c_i32_i8_e32 v129, v2, v7
	v_add_u32_e32 v2, 0x31a8, v79
	v_dot4c_i32_i8_e32 v129, v3, v11
	ds_read2_b32 v[2:3], v2 offset1:1
	v_add_u32_e32 v6, 0x10b0, v79
	v_add_u32_e32 v7, 0x10b8, v79
	v_add_u32_e32 v10, 0x2130, v79
	ds_read2_b32 v[16:17], v6 offset1:1
	ds_read2_b32 v[18:19], v7 offset1:1
	ds_read2_b32 v[20:21], v10 offset1:1
	s_waitcnt lgkmcnt(3)
	v_and_b32_e32 v6, 0xf0f0f0f, v2
	v_lshrrev_b32_e32 v2, 4, v2
	v_and_b32_e32 v2, 0xf0f0f0f, v2
	v_dot4c_i32_i8_e32 v129, v6, v8
	v_dot4c_i32_i8_e32 v129, v2, v12
	v_and_b32_e32 v2, 0xf0f0f0f, v3
	v_lshrrev_b32_e32 v3, 4, v3
	v_and_b32_e32 v3, 0xf0f0f0f, v3
	v_dot4c_i32_i8_e32 v129, v2, v9
	v_dot4c_i32_i8_e32 v129, v3, v13
	ds_read_b128 v[6:9], v75 offset:96
	ds_read_b128 v[10:13], v75 offset:112
	v_pk_mul_f16 v124, v4, v124
	v_pk_mul_f16 v118, v4, v118
	;; [unrolled: 1-line block ×4, first 2 shown]
	v_and_b32_e32 v2, 0xf0f0f0f, v114
	v_lshrrev_b32_e32 v3, 4, v114
	v_mov_b32_e32 v4, 0
	v_and_b32_e32 v3, 0xf0f0f0f, v3
	s_waitcnt lgkmcnt(1)
	v_dot4c_i32_i8_e32 v4, v2, v6
	s_waitcnt lgkmcnt(0)
	v_dot4c_i32_i8_e32 v4, v3, v10
	v_and_b32_e32 v2, 0xf0f0f0f, v115
	v_lshrrev_b32_e32 v3, 4, v115
	v_and_b32_e32 v3, 0xf0f0f0f, v3
	v_dot4c_i32_i8_e32 v4, v2, v7
	v_dot4c_i32_i8_e32 v4, v3, v11
	v_and_b32_e32 v2, 0xf0f0f0f, v116
	v_lshrrev_b32_e32 v3, 4, v116
	v_and_b32_e32 v3, 0xf0f0f0f, v3
	v_dot4c_i32_i8_e32 v4, v2, v8
	;; [unrolled: 5-line block ×3, first 2 shown]
	v_dot4c_i32_i8_e32 v4, v3, v13
	v_and_b32_e32 v2, 0xf0f0f0f, v16
	v_lshrrev_b32_e32 v3, 4, v16
	v_mov_b32_e32 v115, 0
	v_and_b32_e32 v3, 0xf0f0f0f, v3
	v_dot4c_i32_i8_e32 v115, v2, v6
	v_dot4c_i32_i8_e32 v115, v3, v10
	v_and_b32_e32 v2, 0xf0f0f0f, v17
	v_lshrrev_b32_e32 v3, 4, v17
	v_and_b32_e32 v3, 0xf0f0f0f, v3
	v_dot4c_i32_i8_e32 v115, v2, v7
	v_dot4c_i32_i8_e32 v115, v3, v11
	v_and_b32_e32 v2, 0xf0f0f0f, v18
	v_lshrrev_b32_e32 v3, 4, v18
	;; [unrolled: 5-line block ×3, first 2 shown]
	v_and_b32_e32 v3, 0xf0f0f0f, v3
	v_dot4c_i32_i8_e32 v115, v2, v9
	v_cvt_f32_f16_e32 v110, v144
	v_cvt_f32_f16_e32 v111, v134
	v_cvt_f32_i32_e32 v113, v113
	v_dot4c_i32_i8_e32 v115, v3, v13
	v_cvt_f32_f16_sdwa v3, v134 dst_sel:DWORD dst_unused:UNUSED_PAD src0_sel:WORD_1
	v_cvt_f32_f16_sdwa v2, v144 dst_sel:DWORD dst_unused:UNUSED_PAD src0_sel:WORD_1
	v_cvt_f32_f16_e32 v17, v123
	v_cvt_f32_f16_e32 v16, v121
	v_cvt_f32_f16_sdwa v19, v123 dst_sel:DWORD dst_unused:UNUSED_PAD src0_sel:WORD_1
	v_cvt_f32_f16_sdwa v18, v121 dst_sel:DWORD dst_unused:UNUSED_PAD src0_sel:WORD_1
	v_cvt_f32_i32_e32 v105, v122
	v_cvt_f32_i32_e32 v104, v120
	v_pk_fma_f32 v[2:3], v[110:111], v[112:113], v[2:3]
	v_pk_mul_f16 v114, v5, v125
	v_pk_mul_f16 v116, v5, v119
	v_pk_add_f32 v[2:3], v[98:99], v[2:3]
	v_pk_fma_f32 v[16:17], v[16:17], v[104:105], v[18:19]
	v_cvt_f32_f16_e32 v19, v118
	v_cvt_f32_f16_e32 v18, v124
	v_cvt_f32_f16_sdwa v99, v118 dst_sel:DWORD dst_unused:UNUSED_PAD src0_sel:WORD_1
	v_cvt_f32_f16_sdwa v98, v124 dst_sel:DWORD dst_unused:UNUSED_PAD src0_sel:WORD_1
	v_cvt_f32_i32_e32 v105, v127
	v_cvt_f32_i32_e32 v104, v126
	v_cvt_f32_f16_e32 v111, v116
	v_cvt_f32_f16_e32 v110, v114
	v_cvt_f32_f16_sdwa v113, v116 dst_sel:DWORD dst_unused:UNUSED_PAD src0_sel:WORD_1
	v_cvt_f32_f16_sdwa v112, v114 dst_sel:DWORD dst_unused:UNUSED_PAD src0_sel:WORD_1
	v_cvt_f32_i32_e32 v115, v115
	v_cvt_f32_i32_e32 v114, v4
	v_pk_add_f32 v[2:3], v[2:3], v[16:17]
	v_pk_fma_f32 v[16:17], v[18:19], v[104:105], v[98:99]
	v_pk_add_f32 v[2:3], v[2:3], v[16:17]
	v_pk_fma_f32 v[16:17], v[110:111], v[114:115], v[112:113]
	v_pk_add_f32 v[98:99], v[2:3], v[16:17]
	v_and_b32_e32 v2, 0xf0f0f0f, v20
	v_lshrrev_b32_e32 v3, 4, v20
	v_mov_b32_e32 v20, 0
	v_and_b32_e32 v3, 0xf0f0f0f, v3
	v_dot4c_i32_i8_e32 v20, v2, v6
	v_dot4c_i32_i8_e32 v20, v3, v10
	v_and_b32_e32 v2, 0xf0f0f0f, v21
	v_lshrrev_b32_e32 v3, 4, v21
	v_and_b32_e32 v3, 0xf0f0f0f, v3
	v_dot4c_i32_i8_e32 v20, v2, v7
	v_add_u32_e32 v2, 0x2138, v79
	v_dot4c_i32_i8_e32 v20, v3, v11
	ds_read2_b32 v[2:3], v2 offset1:1
	v_add_u32_e32 v4, 0x31b0, v79
	v_add_u32_e32 v18, 0x31b8, v79
	ds_read2_b32 v[16:17], v4 offset1:1
	ds_read2_b32 v[18:19], v18 offset1:1
	v_cvt_f32_f16_e32 v106, v140
	s_waitcnt lgkmcnt(2)
	v_and_b32_e32 v4, 0xf0f0f0f, v2
	v_lshrrev_b32_e32 v2, 4, v2
	v_and_b32_e32 v2, 0xf0f0f0f, v2
	v_dot4c_i32_i8_e32 v20, v4, v8
	v_dot4c_i32_i8_e32 v20, v2, v12
	v_and_b32_e32 v2, 0xf0f0f0f, v3
	v_lshrrev_b32_e32 v3, 4, v3
	v_and_b32_e32 v3, 0xf0f0f0f, v3
	v_dot4c_i32_i8_e32 v20, v2, v9
	v_dot4c_i32_i8_e32 v20, v3, v13
	s_waitcnt lgkmcnt(1)
	v_and_b32_e32 v2, 0xf0f0f0f, v16
	v_lshrrev_b32_e32 v3, 4, v16
	v_mov_b32_e32 v16, 0
	v_and_b32_e32 v3, 0xf0f0f0f, v3
	v_dot4c_i32_i8_e32 v16, v2, v6
	v_dot4c_i32_i8_e32 v16, v3, v10
	v_and_b32_e32 v2, 0xf0f0f0f, v17
	v_lshrrev_b32_e32 v3, 4, v17
	v_and_b32_e32 v3, 0xf0f0f0f, v3
	v_dot4c_i32_i8_e32 v16, v2, v7
	v_dot4c_i32_i8_e32 v16, v3, v11
	s_waitcnt lgkmcnt(0)
	v_and_b32_e32 v2, 0xf0f0f0f, v18
	v_lshrrev_b32_e32 v3, 4, v18
	v_and_b32_e32 v3, 0xf0f0f0f, v3
	v_dot4c_i32_i8_e32 v16, v2, v8
	v_dot4c_i32_i8_e32 v16, v3, v12
	v_and_b32_e32 v2, 0xf0f0f0f, v19
	v_lshrrev_b32_e32 v3, 4, v19
	v_dot4c_i32_i8_e32 v16, v2, v9
	v_cvt_f32_f16_e32 v7, v138
	v_cvt_f32_f16_e32 v6, v136
	v_cvt_f32_f16_sdwa v9, v138 dst_sel:DWORD dst_unused:UNUSED_PAD src0_sel:WORD_1
	v_cvt_f32_f16_sdwa v8, v136 dst_sel:DWORD dst_unused:UNUSED_PAD src0_sel:WORD_1
	v_cvt_f32_i32_e32 v11, v137
	v_cvt_f32_i32_e32 v10, v135
	v_and_b32_e32 v3, 0xf0f0f0f, v3
	v_cvt_f32_f16_e32 v107, v142
	v_cvt_f32_i32_e32 v109, v109
	v_dot4c_i32_i8_e32 v16, v3, v13
	v_cvt_f32_f16_sdwa v3, v142 dst_sel:DWORD dst_unused:UNUSED_PAD src0_sel:WORD_1
	v_cvt_f32_f16_sdwa v2, v140 dst_sel:DWORD dst_unused:UNUSED_PAD src0_sel:WORD_1
	v_pk_mul_f16 v21, v5, v15
	v_pk_mul_f16 v15, v5, v103
	v_pk_fma_f32 v[4:5], v[6:7], v[10:11], v[8:9]
	v_cvt_f32_f16_e32 v7, v102
	v_cvt_f32_f16_e32 v6, v14
	v_cvt_f32_f16_sdwa v9, v102 dst_sel:DWORD dst_unused:UNUSED_PAD src0_sel:WORD_1
	v_cvt_f32_f16_sdwa v8, v14 dst_sel:DWORD dst_unused:UNUSED_PAD src0_sel:WORD_1
	v_cvt_f32_i32_e32 v11, v129
	v_cvt_f32_i32_e32 v10, v128
	v_cvt_f32_f16_e32 v13, v15
	v_cvt_f32_f16_e32 v12, v21
	v_cvt_f32_f16_sdwa v15, v15 dst_sel:DWORD dst_unused:UNUSED_PAD src0_sel:WORD_1
	v_cvt_f32_f16_sdwa v14, v21 dst_sel:DWORD dst_unused:UNUSED_PAD src0_sel:WORD_1
	v_cvt_f32_i32_e32 v17, v16
	v_cvt_f32_i32_e32 v16, v20
	v_pk_fma_f32 v[2:3], v[106:107], v[108:109], v[2:3]
	v_pk_add_f32 v[2:3], v[100:101], v[2:3]
	v_pk_add_f32 v[2:3], v[2:3], v[4:5]
	v_pk_fma_f32 v[4:5], v[6:7], v[10:11], v[8:9]
	v_pk_add_f32 v[2:3], v[2:3], v[4:5]
	v_pk_fma_f32 v[4:5], v[12:13], v[16:17], v[14:15]
	v_pk_add_f32 v[100:101], v[2:3], v[4:5]
	s_cmp_ge_i32 s10, s9
	s_barrier
	s_cbranch_scc1 .LBB200_5
; %bb.13:                               ;   in Loop: Header=BB200_6 Depth=1
	v_add_u32_e32 v2, s18, v89
	v_cmp_gt_i32_e32 vcc, s12, v2
	s_and_b64 s[22:23], s[2:3], vcc
	s_and_saveexec_b64 s[4:5], s[22:23]
	s_cbranch_execz .LBB200_15
; %bb.14:                               ;   in Loop: Header=BB200_6 Depth=1
	v_add_u32_e32 v2, s18, v93
	v_mad_i64_i32 v[2:3], s[22:23], v2, 36, v[54:55]
	global_load_dword v2, v[2:3], off offset:4
	s_waitcnt vmcnt(0)
	ds_write_b32 v71, v2
.LBB200_15:                             ;   in Loop: Header=BB200_6 Depth=1
	s_or_b64 exec, exec, s[4:5]
	s_and_saveexec_b64 s[4:5], s[0:1]
	s_cbranch_execz .LBB200_4
; %bb.16:                               ;   in Loop: Header=BB200_6 Depth=1
	v_add3_u32 v2, v67, s18, 4
	v_cmp_gt_i32_e32 vcc, s12, v2
	s_and_b64 s[22:23], s[2:3], vcc
	s_and_b64 exec, exec, s[22:23]
	s_cbranch_execz .LBB200_4
; %bb.17:                               ;   in Loop: Header=BB200_6 Depth=1
	global_load_dword v2, v[56:57], off
	s_waitcnt vmcnt(0)
	ds_write_b32 v73, v2
	s_branch .LBB200_4
.LBB200_18:
	v_mov_b32_e32 v1, 0
	v_mov_b32_e32 v2, 0
	;; [unrolled: 1-line block ×3, first 2 shown]
	s_mul_i32 s0, s14, s11
	s_waitcnt vmcnt(0)
	v_cmp_gt_i32_e32 vcc, s0, v65
	s_and_saveexec_b64 s[0:1], vcc
	s_cbranch_execnz .LBB200_21
.LBB200_19:
	s_endpgm
.LBB200_20:
	v_cvt_f16_f32_e32 v5, v98
	v_cvt_f16_f32_e32 v2, v99
	v_cvt_f16_f32_e32 v1, v100
	v_cvt_f16_f32_e32 v3, v101
	s_mul_i32 s0, s14, s11
	v_cmp_gt_i32_e32 vcc, s0, v65
	s_and_saveexec_b64 s[0:1], vcc
	s_cbranch_execz .LBB200_19
.LBB200_21:
	v_and_b32_e32 v0, 0x3ff, v0
	v_add_u32_e32 v4, s15, v0
	v_mul_lo_u32 v0, v65, s13
	v_cmp_gt_u32_e32 vcc, s13, v4
	s_and_saveexec_b64 s[0:1], vcc
	s_cbranch_execz .LBB200_23
; %bb.22:
	v_add_u32_e32 v6, v0, v4
	v_mov_b32_e32 v7, 0
	v_lshlrev_b64 v[6:7], 1, v[6:7]
	v_mov_b32_e32 v8, s17
	v_add_co_u32_e32 v6, vcc, s16, v6
	v_addc_co_u32_e32 v7, vcc, v8, v7, vcc
	global_store_short v[6:7], v5, off
.LBB200_23:
	s_or_b64 exec, exec, s[0:1]
	v_add_u32_e32 v5, 32, v4
	v_cmp_gt_u32_e32 vcc, s13, v5
	s_and_saveexec_b64 s[0:1], vcc
	s_cbranch_execz .LBB200_25
; %bb.24:
	v_add_u32_e32 v6, v0, v5
	v_mov_b32_e32 v7, 0
	v_lshlrev_b64 v[6:7], 1, v[6:7]
	v_mov_b32_e32 v5, s17
	v_add_co_u32_e32 v6, vcc, s16, v6
	v_addc_co_u32_e32 v7, vcc, v5, v7, vcc
	global_store_short v[6:7], v2, off
.LBB200_25:
	s_or_b64 exec, exec, s[0:1]
	v_add_u32_e32 v2, 64, v4
	;; [unrolled: 14-line block ×3, first 2 shown]
	v_cmp_gt_u32_e32 vcc, s13, v1
	s_and_b64 exec, exec, vcc
	s_cbranch_execz .LBB200_19
; %bb.28:
	v_add_u32_e32 v0, v0, v1
	v_mov_b32_e32 v1, 0
	v_lshlrev_b64 v[0:1], 1, v[0:1]
	v_mov_b32_e32 v2, s17
	v_add_co_u32_e32 v0, vcc, s16, v0
	v_addc_co_u32_e32 v1, vcc, v2, v1, vcc
	global_store_short v[0:1], v3, off
	s_endpgm
	.section	.rodata,"a",@progbits
	.p2align	6, 0x0
	.amdhsa_kernel _ZL8moe_q4_1IN3c104HalfELb1EEvPKvS3_PT_PKiS7_S7_iiiiiii
		.amdhsa_group_segment_fixed_size 22272
		.amdhsa_private_segment_fixed_size 0
		.amdhsa_kernarg_size 76
		.amdhsa_user_sgpr_count 6
		.amdhsa_user_sgpr_private_segment_buffer 1
		.amdhsa_user_sgpr_dispatch_ptr 0
		.amdhsa_user_sgpr_queue_ptr 0
		.amdhsa_user_sgpr_kernarg_segment_ptr 1
		.amdhsa_user_sgpr_dispatch_id 0
		.amdhsa_user_sgpr_flat_scratch_init 0
		.amdhsa_user_sgpr_kernarg_preload_length 0
		.amdhsa_user_sgpr_kernarg_preload_offset 0
		.amdhsa_user_sgpr_private_segment_size 0
		.amdhsa_uses_dynamic_stack 0
		.amdhsa_system_sgpr_private_segment_wavefront_offset 0
		.amdhsa_system_sgpr_workgroup_id_x 1
		.amdhsa_system_sgpr_workgroup_id_y 1
		.amdhsa_system_sgpr_workgroup_id_z 0
		.amdhsa_system_sgpr_workgroup_info 0
		.amdhsa_system_vgpr_workitem_id 1
		.amdhsa_next_free_vgpr 145
		.amdhsa_next_free_sgpr 24
		.amdhsa_accum_offset 148
		.amdhsa_reserve_vcc 1
		.amdhsa_reserve_flat_scratch 0
		.amdhsa_float_round_mode_32 0
		.amdhsa_float_round_mode_16_64 0
		.amdhsa_float_denorm_mode_32 3
		.amdhsa_float_denorm_mode_16_64 3
		.amdhsa_dx10_clamp 1
		.amdhsa_ieee_mode 1
		.amdhsa_fp16_overflow 0
		.amdhsa_tg_split 0
		.amdhsa_exception_fp_ieee_invalid_op 0
		.amdhsa_exception_fp_denorm_src 0
		.amdhsa_exception_fp_ieee_div_zero 0
		.amdhsa_exception_fp_ieee_overflow 0
		.amdhsa_exception_fp_ieee_underflow 0
		.amdhsa_exception_fp_ieee_inexact 0
		.amdhsa_exception_int_div_zero 0
	.end_amdhsa_kernel
	.section	.text._ZL8moe_q4_1IN3c104HalfELb1EEvPKvS3_PT_PKiS7_S7_iiiiiii,"axG",@progbits,_ZL8moe_q4_1IN3c104HalfELb1EEvPKvS3_PT_PKiS7_S7_iiiiiii,comdat
.Lfunc_end200:
	.size	_ZL8moe_q4_1IN3c104HalfELb1EEvPKvS3_PT_PKiS7_S7_iiiiiii, .Lfunc_end200-_ZL8moe_q4_1IN3c104HalfELb1EEvPKvS3_PT_PKiS7_S7_iiiiiii
                                        ; -- End function
	.section	.AMDGPU.csdata,"",@progbits
; Kernel info:
; codeLenInByte = 9516
; NumSgprs: 28
; NumVgprs: 145
; NumAgprs: 0
; TotalNumVgprs: 145
; ScratchSize: 0
; MemoryBound: 0
; FloatMode: 240
; IeeeMode: 1
; LDSByteSize: 22272 bytes/workgroup (compile time only)
; SGPRBlocks: 3
; VGPRBlocks: 18
; NumSGPRsForWavesPerEU: 28
; NumVGPRsForWavesPerEU: 145
; AccumOffset: 148
; Occupancy: 2
; WaveLimiterHint : 1
; COMPUTE_PGM_RSRC2:SCRATCH_EN: 0
; COMPUTE_PGM_RSRC2:USER_SGPR: 6
; COMPUTE_PGM_RSRC2:TRAP_HANDLER: 0
; COMPUTE_PGM_RSRC2:TGID_X_EN: 1
; COMPUTE_PGM_RSRC2:TGID_Y_EN: 1
; COMPUTE_PGM_RSRC2:TGID_Z_EN: 0
; COMPUTE_PGM_RSRC2:TIDIG_COMP_CNT: 1
; COMPUTE_PGM_RSRC3_GFX90A:ACCUM_OFFSET: 36
; COMPUTE_PGM_RSRC3_GFX90A:TG_SPLIT: 0
	.section	.text._ZL8moe_q5_0IN3c104HalfELb0EEvPKvS3_PT_PKiS7_S7_iiiiiii,"axG",@progbits,_ZL8moe_q5_0IN3c104HalfELb0EEvPKvS3_PT_PKiS7_S7_iiiiiii,comdat
	.globl	_ZL8moe_q5_0IN3c104HalfELb0EEvPKvS3_PT_PKiS7_S7_iiiiiii ; -- Begin function _ZL8moe_q5_0IN3c104HalfELb0EEvPKvS3_PT_PKiS7_S7_iiiiiii
	.p2align	8
	.type	_ZL8moe_q5_0IN3c104HalfELb0EEvPKvS3_PT_PKiS7_S7_iiiiiii,@function
_ZL8moe_q5_0IN3c104HalfELb0EEvPKvS3_PT_PKiS7_S7_iiiiiii: ; @_ZL8moe_q5_0IN3c104HalfELb0EEvPKvS3_PT_PKiS7_S7_iiiiiii
; %bb.0:
	s_load_dwordx4 s[0:3], s[4:5], 0x18
	s_mov_b32 s8, s7
	s_mov_b32 s9, 0
	s_lshl_b64 s[10:11], s[8:9], 2
	s_waitcnt lgkmcnt(0)
	s_add_u32 s2, s2, s10
	s_addc_u32 s3, s3, s11
	s_load_dword s2, s[2:3], 0x0
	s_waitcnt lgkmcnt(0)
	s_cmpk_gt_u32 s2, 0xff
	s_cbranch_scc1 .LBB201_19
; %bb.1:
	s_load_dwordx2 s[10:11], s[4:5], 0x28
	s_lshl_b32 s3, s8, 3
	s_waitcnt lgkmcnt(0)
	s_load_dword s7, s[10:11], 0x0
	s_waitcnt lgkmcnt(0)
	s_cmp_gt_u32 s3, s7
	s_cbranch_scc1 .LBB201_19
; %bb.2:
	v_bfe_u32 v1, v0, 10, 10
	v_add_u32_e32 v2, s3, v1
	v_mov_b32_e32 v3, 0
	v_lshlrev_b64 v[4:5], 2, v[2:3]
	v_mov_b32_e32 v2, s1
	v_add_co_u32_e32 v4, vcc, s0, v4
	v_addc_co_u32_e32 v5, vcc, v2, v5, vcc
	global_load_dword v97, v[4:5], off
	s_load_dwordx2 s[14:15], s[4:5], 0x30
	s_load_dwordx2 s[12:13], s[4:5], 0x10
	s_load_dwordx4 s[8:11], s[4:5], 0x3c
	s_lshl_b32 s18, s6, 7
	s_waitcnt lgkmcnt(0)
	s_cmp_lt_i32 s15, 32
	s_cbranch_scc1 .LBB201_18
; %bb.3:
	s_ashr_i32 s1, s9, 31
	s_lshr_b32 s1, s1, 27
	s_add_i32 s1, s9, s1
	v_and_b32_e32 v116, 0x3ff, v0
	s_ashr_i32 s9, s1, 5
	v_lshlrev_b32_e32 v3, 3, v116
	s_movk_i32 s1, 0x104
	s_ashr_i32 s0, s15, 31
	v_mad_u32_u24 v118, v1, s1, v3
	v_lshlrev_b32_e32 v3, 2, v1
	v_lshrrev_b32_e32 v134, 3, v116
	s_load_dwordx4 s[4:7], s[4:5], 0x0
	s_lshr_b32 s0, s0, 27
	v_and_b32_e32 v21, 7, v116
	v_add_u32_e32 v22, v134, v3
	s_add_i32 s0, s15, s0
	s_mul_i32 s14, s2, s14
	v_and_b32_e32 v23, 0x1ffc, v22
	v_lshlrev_b32_e32 v24, 2, v21
	s_mov_b32 s2, 0x8200
	s_ashr_i32 s19, s0, 5
	v_add3_u32 v100, v23, v24, s2
	v_add_u32_e32 v23, 32, v22
	v_lshlrev_b32_e32 v2, 2, v116
	v_mul_lo_u32 v89, s19, v22
	v_lshlrev_b32_e32 v101, 5, v22
	v_and_b32_e32 v25, 0x3ffc, v23
	v_lshlrev_b32_e32 v103, 5, v23
	v_add_u32_e32 v23, 64, v22
	v_add_u32_e32 v22, 0x60, v22
	v_and_b32_e32 v117, 12, v2
	v_add3_u32 v102, v25, v24, s2
	v_and_b32_e32 v25, 0x3ffc, v23
	v_lshlrev_b32_e32 v105, 5, v23
	v_and_b32_e32 v23, 0x3ffc, v22
	v_and_b32_e32 v2, 28, v2
	v_add3_u32 v104, v25, v24, s2
	v_add3_u32 v106, v23, v24, s2
	v_lshlrev_b32_e32 v107, 5, v22
	v_and_b32_e32 v24, 31, v116
	s_waitcnt lgkmcnt(0)
	v_add_co_u32_e32 v22, vcc, s6, v2
	v_lshlrev_b32_e32 v2, 7, v1
	v_lshl_or_b32 v24, v24, 2, v2
	v_add_u32_e32 v135, 0x9280, v24
	v_mov_b32_e32 v24, 0x9680
	v_mul_lo_u32 v5, s19, v1
	v_add_u32_e32 v137, 0x9280, v2
	v_lshl_add_u32 v138, v1, 4, v24
	v_and_b32_e32 v1, 0xfc, v116
	v_lshlrev_b32_e32 v2, 5, v116
	v_or_b32_e32 v3, v3, v116
	v_add3_u32 v140, v2, v1, s2
	v_add_u32_e32 v1, 32, v116
	v_lshl_add_u32 v136, v3, 2, v24
	v_and_b32_e32 v2, 0x1fc, v1
	v_lshlrev_b32_e32 v3, 5, v1
	v_add3_u32 v141, v3, v2, s2
	v_add_u32_e32 v2, 64, v116
	v_and_b32_e32 v3, 0x1fc, v2
	v_lshlrev_b32_e32 v2, 5, v2
	s_abs_i32 s3, s11
	v_add3_u32 v142, v2, v3, s2
	v_cvt_f32_u32_e32 v3, s3
	v_add_u32_e32 v2, 0x60, v116
	v_and_b32_e32 v24, 0x1fc, v2
	v_lshlrev_b32_e32 v2, 5, v2
	v_add3_u32 v143, v2, v24, s2
	v_rcp_iflag_f32_e32 v2, v3
	s_sub_i32 s2, 0, s3
	s_waitcnt vmcnt(0)
	v_sub_u32_e32 v3, 0, v97
	v_max_i32_e32 v3, v97, v3
	v_mul_f32_e32 v2, 0x4f7ffffe, v2
	v_cvt_u32_f32_e32 v2, v2
	v_mov_b32_e32 v23, s7
	v_addc_co_u32_e32 v23, vcc, 0, v23, vcc
	v_mul_lo_u32 v24, s2, v2
	v_mul_hi_u32 v24, v2, v24
	v_add_u32_e32 v2, v2, v24
	v_mul_hi_u32 v2, v3, v2
	v_mul_lo_u32 v24, v2, s3
	v_sub_u32_e32 v3, v3, v24
	v_add_u32_e32 v24, 1, v2
	v_cmp_le_u32_e32 vcc, s3, v3
	v_cndmask_b32_e32 v2, v2, v24, vcc
	v_subrev_u32_e32 v24, s3, v3
	v_cndmask_b32_e32 v3, v3, v24, vcc
	v_lshrrev_b32_e32 v144, 3, v1
	v_xor_b32_e32 v1, s11, v97
	v_add_u32_e32 v24, 1, v2
	v_cmp_le_u32_e32 vcc, s3, v3
	v_ashrrev_i32_e32 v1, 31, v1
	v_cndmask_b32_e32 v2, v2, v24, vcc
	v_xor_b32_e32 v2, v2, v1
	v_sub_u32_e32 v1, v2, v1
	v_cmp_gt_i32_e64 s[2:3], s8, v1
	v_mul_lo_u32 v1, v1, s9
	v_ashrrev_i32_e32 v2, 31, v1
	v_add_co_u32_e32 v3, vcc, v1, v116
	s_mul_i32 s17, s19, s18
	v_addc_co_u32_e32 v24, vcc, 0, v2, vcc
	v_mad_u64_u32 v[2:3], s[22:23], v3, 36, s[6:7]
	s_movk_i32 s21, 0x90
	v_mad_i32_i24 v3, v24, 36, v3
	v_add_co_u32_e32 v24, vcc, s21, v2
	s_mul_hi_i32 s21, s17, 22
	s_mul_i32 s22, s17, 22
	v_lshrrev_b32_e32 v4, 2, v116
	v_addc_co_u32_e32 v25, vcc, 0, v3, vcc
	v_mov_b32_e32 v2, s22
	v_mov_b32_e32 v3, s21
	s_lshl_b32 s1, s19, 3
	v_mad_u64_u32 v[2:3], s[22:23], v4, 22, v[2:3]
	v_add_u32_e32 v6, s1, v5
	v_mad_u64_u32 v[4:5], s[22:23], v5, 22, v[2:3]
	v_add_u32_e32 v145, v116, v1
	v_add_u32_e32 v146, v144, v1
	;; [unrolled: 1-line block ×3, first 2 shown]
	v_add_co_u32_e32 v1, vcc, v4, v117
	v_addc_co_u32_e32 v27, vcc, 0, v5, vcc
	v_mov_b32_e32 v98, s5
	v_add_co_u32_e32 v26, vcc, s4, v1
	v_addc_co_u32_e32 v1, vcc, v98, v27, vcc
	v_add_co_u32_e32 v28, vcc, s4, v4
	v_addc_co_u32_e32 v27, vcc, v98, v5, vcc
	v_mad_u64_u32 v[4:5], s[22:23], v6, 22, v[2:3]
	v_add_u32_e32 v7, s1, v6
	v_mov_b32_e32 v6, s5
	v_add_co_u32_e32 v4, vcc, s4, v4
	v_addc_co_u32_e32 v5, vcc, v5, v6, vcc
	v_add_co_u32_e32 v30, vcc, v4, v117
	v_addc_co_u32_e32 v29, vcc, 0, v5, vcc
	;; [unrolled: 2-line block ×3, first 2 shown]
	v_mad_u64_u32 v[4:5], s[22:23], v7, 22, v[2:3]
	v_add_co_u32_e32 v4, vcc, s4, v4
	v_addc_co_u32_e32 v5, vcc, v5, v6, vcc
	v_add_co_u32_e32 v34, vcc, v4, v117
	v_addc_co_u32_e32 v33, vcc, 0, v5, vcc
	v_add_u32_e32 v8, s1, v7
	v_add_co_u32_e32 v36, vcc, 2, v4
	v_addc_co_u32_e32 v35, vcc, 0, v5, vcc
	v_mad_u64_u32 v[4:5], s[22:23], v8, 22, v[2:3]
	v_add_co_u32_e32 v4, vcc, s4, v4
	v_addc_co_u32_e32 v5, vcc, v5, v6, vcc
	v_add_co_u32_e32 v38, vcc, v4, v117
	v_addc_co_u32_e32 v37, vcc, 0, v5, vcc
	v_add_u32_e32 v9, s1, v8
	v_add_co_u32_e32 v40, vcc, 2, v4
	v_addc_co_u32_e32 v39, vcc, 0, v5, vcc
	;; [unrolled: 8-line block ×13, first 2 shown]
	v_mad_u64_u32 v[2:3], s[22:23], v20, 22, v[2:3]
	v_mov_b32_e32 v4, s5
	v_add_co_u32_e32 v2, vcc, s4, v2
	v_addc_co_u32_e32 v3, vcc, v3, v4, vcc
	v_add_co_u32_e32 v86, vcc, v2, v117
	v_addc_co_u32_e32 v85, vcc, 0, v3, vcc
	;; [unrolled: 2-line block ×3, first 2 shown]
	v_mad_u64_u32 v[2:3], s[22:23], v89, 22, 0
	v_mad_i64_i32 v[2:3], s[22:23], s17, 22, v[2:3]
	s_andn2_b32 s0, s0, 31
	v_mad_u64_u32 v[2:3], s[22:23], v21, 22, v[2:3]
	v_add_u32_e32 v91, s0, v89
	v_add_co_u32_e32 v90, vcc, s4, v2
	v_addc_co_u32_e32 v89, vcc, v98, v3, vcc
	v_mad_u64_u32 v[2:3], s[22:23], v91, 22, 0
	v_mad_i64_i32 v[2:3], s[22:23], s17, 22, v[2:3]
	v_mad_u64_u32 v[2:3], s[22:23], v21, 22, v[2:3]
	v_add_u32_e32 v93, s0, v91
	v_add_co_u32_e32 v92, vcc, s4, v2
	v_addc_co_u32_e32 v91, vcc, v98, v3, vcc
	v_mad_u64_u32 v[2:3], s[22:23], v93, 22, 0
	v_mad_i64_i32 v[2:3], s[22:23], s17, 22, v[2:3]
	;; [unrolled: 6-line block ×3, first 2 shown]
	s_mov_b32 s16, 0
	v_mad_u64_u32 v[2:3], s[22:23], v21, 22, v[2:3]
	v_add_co_u32_e32 v96, vcc, s4, v2
	s_mov_b32 s17, s16
	v_addc_co_u32_e32 v95, vcc, v98, v3, vcc
	v_pk_mov_b32 v[98:99], s[16:17], s[16:17] op_sel:[0,1]
	s_ashr_i32 s20, s14, 31
	v_add_u32_e32 v119, 0x820, v118
	v_add_u32_e32 v120, 0x1040, v118
	;; [unrolled: 1-line block ×15, first 2 shown]
	v_cmp_gt_u32_e64 s[0:1], 4, v116
	v_mul_u32_u24_e32 v139, 0x104, v116
	s_movk_i32 s21, 0x80
	s_movk_i32 s17, 0x1f00
	;; [unrolled: 1-line block ×4, first 2 shown]
	v_add_u32_e32 v148, v100, v101
	v_add_u32_e32 v149, v102, v103
	;; [unrolled: 1-line block ×4, first 2 shown]
	v_mov_b32_e32 v152, 8
	v_pk_mov_b32 v[100:101], v[98:99], v[98:99] op_sel:[0,1]
	s_branch .LBB201_6
.LBB201_4:                              ;   in Loop: Header=BB201_6 Depth=1
	s_or_b64 exec, exec, s[4:5]
	s_waitcnt lgkmcnt(0)
	s_barrier
	ds_read_b128 v[2:5], v138
	ds_read2_b32 v[102:103], v139 offset0:32 offset1:33
	ds_read_b128 v[14:17], v137
	ds_read_b128 v[18:21], v137 offset:16
	ds_read_b128 v[6:9], v137 offset:32
	;; [unrolled: 1-line block ×3, first 2 shown]
	ds_read2_b32 v[106:107], v139 offset0:34 offset1:35
	v_mov_b32_e32 v104, 0
	s_waitcnt lgkmcnt(4)
	v_dot4c_i32_i8_e32 v104, v102, v14
	s_waitcnt lgkmcnt(3)
	v_dot4c_i32_i8_e32 v104, v103, v18
	ds_read2_b32 v[102:103], v139 offset0:36 offset1:37
	ds_read2_b32 v[108:109], v139 offset0:38 offset1:39
	;; [unrolled: 1-line block ×3, first 2 shown]
	s_waitcnt lgkmcnt(3)
	v_dot4c_i32_i8_e32 v104, v106, v15
	v_dot4c_i32_i8_e32 v104, v107, v19
	s_waitcnt lgkmcnt(2)
	v_dot4c_i32_i8_e32 v104, v102, v16
	v_add_u32_e32 v102, 0x2100, v139
	ds_read2_b32 v[106:107], v102 offset1:1
	v_mov_b32_e32 v105, 0
	v_dot4c_i32_i8_e32 v104, v103, v20
	ds_read2_b32 v[102:103], v143 offset0:6 offset1:7
	s_waitcnt lgkmcnt(3)
	v_dot4c_i32_i8_e32 v104, v108, v17
	s_waitcnt lgkmcnt(1)
	v_dot4c_i32_i8_e32 v105, v106, v14
	v_add_u32_e32 v106, 0x2108, v139
	v_dot4c_i32_i8_e32 v105, v107, v18
	ds_read2_b32 v[106:107], v106 offset1:1
	v_add_u32_e32 v108, 0x2110, v139
	v_add_u32_e32 v112, 0x2118, v139
	;; [unrolled: 1-line block ×3, first 2 shown]
	v_dot4c_i32_i8_e32 v104, v109, v21
	ds_read2_b32 v[108:109], v108 offset1:1
	ds_read2_b32 v[112:113], v112 offset1:1
	;; [unrolled: 1-line block ×3, first 2 shown]
	s_waitcnt lgkmcnt(3)
	v_dot4c_i32_i8_e32 v105, v106, v15
	v_dot4c_i32_i8_e32 v105, v107, v19
	s_waitcnt lgkmcnt(2)
	v_dot4c_i32_i8_e32 v105, v108, v16
	v_dot4c_i32_i8_e32 v105, v109, v20
	v_mov_b32_e32 v153, 0
	s_waitcnt lgkmcnt(1)
	v_dot4c_i32_i8_e32 v105, v112, v17
	s_waitcnt lgkmcnt(0)
	v_dot4c_i32_i8_e32 v153, v114, v14
	v_add_u32_e32 v106, 0x4188, v139
	v_add_u32_e32 v108, 0x4190, v139
	;; [unrolled: 1-line block ×4, first 2 shown]
	v_dot4c_i32_i8_e32 v105, v113, v21
	v_dot4c_i32_i8_e32 v153, v115, v18
	ds_read2_b32 v[106:107], v106 offset1:1
	ds_read2_b32 v[108:109], v108 offset1:1
	;; [unrolled: 1-line block ×4, first 2 shown]
	v_mov_b32_e32 v158, 0
	v_mov_b32_e32 v159, 0
	v_dot4c_i32_i8_e32 v159, v110, v6
	s_waitcnt lgkmcnt(3)
	v_dot4c_i32_i8_e32 v153, v106, v15
	s_waitcnt lgkmcnt(0)
	v_dot4c_i32_i8_e32 v158, v114, v14
	v_add_u32_e32 v14, 0x6208, v139
	v_dot4c_i32_i8_e32 v153, v107, v19
	ds_read2_b32 v[106:107], v14 offset1:1
	v_dot4c_i32_i8_e32 v153, v108, v16
	v_dot4c_i32_i8_e32 v153, v109, v20
	;; [unrolled: 1-line block ×4, first 2 shown]
	v_add_u32_e32 v18, 0x6210, v139
	v_add_u32_e32 v112, 0x6218, v139
	v_dot4c_i32_i8_e32 v153, v113, v21
	v_add_u32_e32 v14, 0x2120, v139
	ds_read2_b32 v[108:109], v18 offset1:1
	ds_read2_b32 v[112:113], v112 offset1:1
	;; [unrolled: 1-line block ×3, first 2 shown]
	s_waitcnt lgkmcnt(3)
	v_dot4c_i32_i8_e32 v158, v106, v15
	v_dot4c_i32_i8_e32 v158, v107, v19
	ds_read2_b32 v[14:15], v139 offset0:42 offset1:43
	s_waitcnt lgkmcnt(3)
	v_dot4c_i32_i8_e32 v158, v108, v16
	v_dot4c_i32_i8_e32 v158, v109, v20
	s_waitcnt lgkmcnt(2)
	v_dot4c_i32_i8_e32 v158, v112, v17
	v_dot4c_i32_i8_e32 v158, v113, v21
	;; [unrolled: 1-line block ×3, first 2 shown]
	ds_read2_b32 v[16:17], v139 offset0:44 offset1:45
	ds_read2_b32 v[18:19], v139 offset0:46 offset1:47
	;; [unrolled: 1-line block ×3, first 2 shown]
	s_waitcnt lgkmcnt(3)
	v_dot4c_i32_i8_e32 v159, v14, v7
	v_add_u32_e32 v14, 0x2128, v139
	v_dot4c_i32_i8_e32 v159, v15, v11
	ds_read2_b32 v[14:15], v14 offset1:1
	s_waitcnt lgkmcnt(3)
	v_dot4c_i32_i8_e32 v159, v16, v8
	v_dot4c_i32_i8_e32 v159, v17, v12
	v_mov_b32_e32 v160, 0
	s_waitcnt lgkmcnt(2)
	v_dot4c_i32_i8_e32 v159, v18, v9
	v_dot4c_i32_i8_e32 v160, v114, v6
	v_add_u32_e32 v16, 0x2130, v139
	v_add_u32_e32 v18, 0x2138, v139
	;; [unrolled: 1-line block ×3, first 2 shown]
	v_dot4c_i32_i8_e32 v159, v19, v13
	v_dot4c_i32_i8_e32 v160, v115, v10
	ds_read2_b32 v[16:17], v16 offset1:1
	ds_read2_b32 v[18:19], v18 offset1:1
	;; [unrolled: 1-line block ×3, first 2 shown]
	s_waitcnt lgkmcnt(3)
	v_dot4c_i32_i8_e32 v160, v14, v7
	v_dot4c_i32_i8_e32 v160, v15, v11
	s_waitcnt lgkmcnt(2)
	v_dot4c_i32_i8_e32 v160, v16, v8
	v_dot4c_i32_i8_e32 v160, v17, v12
	v_mov_b32_e32 v161, 0
	s_waitcnt lgkmcnt(1)
	v_dot4c_i32_i8_e32 v160, v18, v9
	s_waitcnt lgkmcnt(0)
	v_dot4c_i32_i8_e32 v161, v106, v6
	v_add_u32_e32 v14, 0x41a8, v139
	v_add_u32_e32 v16, 0x41b0, v139
	;; [unrolled: 1-line block ×4, first 2 shown]
	v_dot4c_i32_i8_e32 v160, v19, v13
	v_dot4c_i32_i8_e32 v161, v107, v10
	ds_read2_b32 v[14:15], v14 offset1:1
	ds_read2_b32 v[16:17], v16 offset1:1
	;; [unrolled: 1-line block ×4, first 2 shown]
	v_mov_b32_e32 v162, 0
	v_mov_b32_e32 v163, 0
	;; [unrolled: 1-line block ×3, first 2 shown]
	s_waitcnt lgkmcnt(3)
	v_dot4c_i32_i8_e32 v161, v14, v7
	s_waitcnt lgkmcnt(0)
	v_dot4c_i32_i8_e32 v162, v106, v6
	v_add_u32_e32 v6, 0x6228, v139
	v_dot4c_i32_i8_e32 v161, v15, v11
	ds_read2_b32 v[14:15], v6 offset1:1
	v_dot4c_i32_i8_e32 v161, v16, v8
	v_dot4c_i32_i8_e32 v161, v17, v12
	;; [unrolled: 1-line block ×4, first 2 shown]
	v_add_u32_e32 v10, 0x6230, v139
	v_add_u32_e32 v18, 0x6238, v139
	v_dot4c_i32_i8_e32 v161, v19, v13
	v_add_u32_e32 v6, 0x2140, v139
	ds_read2_b32 v[16:17], v10 offset1:1
	ds_read2_b32 v[18:19], v18 offset1:1
	ds_read2_b32 v[106:107], v6 offset1:1
	s_waitcnt lgkmcnt(3)
	v_dot4c_i32_i8_e32 v162, v14, v7
	v_dot4c_i32_i8_e32 v162, v15, v11
	s_waitcnt lgkmcnt(2)
	v_dot4c_i32_i8_e32 v162, v16, v8
	v_dot4c_i32_i8_e32 v162, v17, v12
	;; [unrolled: 3-line block ×3, first 2 shown]
	ds_read_b128 v[8:11], v137 offset:64
	ds_read_b128 v[12:15], v137 offset:80
	ds_read2_b32 v[6:7], v142 offset0:4 offset1:5
	ds_read2_b32 v[108:109], v141 offset0:6 offset1:7
	;; [unrolled: 1-line block ×5, first 2 shown]
	s_waitcnt lgkmcnt(6)
	v_dot4c_i32_i8_e32 v163, v20, v8
	s_waitcnt lgkmcnt(5)
	v_dot4c_i32_i8_e32 v163, v21, v12
	ds_read2_b32 v[18:19], v139 offset0:52 offset1:53
	ds_read2_b32 v[20:21], v139 offset0:54 offset1:55
	;; [unrolled: 1-line block ×3, first 2 shown]
	v_dot4c_i32_i8_e32 v164, v106, v8
	s_waitcnt lgkmcnt(3)
	v_dot4c_i32_i8_e32 v163, v16, v9
	v_add_u32_e32 v16, 0x2148, v139
	v_dot4c_i32_i8_e32 v163, v17, v13
	ds_read2_b32 v[16:17], v16 offset1:1
	s_waitcnt lgkmcnt(3)
	v_dot4c_i32_i8_e32 v163, v18, v10
	v_dot4c_i32_i8_e32 v163, v19, v14
	s_waitcnt lgkmcnt(2)
	v_dot4c_i32_i8_e32 v163, v20, v11
	v_add_u32_e32 v18, 0x2150, v139
	v_add_u32_e32 v20, 0x2158, v139
	;; [unrolled: 1-line block ×3, first 2 shown]
	v_dot4c_i32_i8_e32 v163, v21, v15
	v_dot4c_i32_i8_e32 v164, v107, v12
	ds_read2_b32 v[18:19], v18 offset1:1
	ds_read2_b32 v[20:21], v20 offset1:1
	;; [unrolled: 1-line block ×3, first 2 shown]
	s_waitcnt lgkmcnt(3)
	v_dot4c_i32_i8_e32 v164, v16, v9
	v_dot4c_i32_i8_e32 v164, v17, v13
	s_waitcnt lgkmcnt(2)
	v_dot4c_i32_i8_e32 v164, v18, v10
	v_dot4c_i32_i8_e32 v164, v19, v14
	v_mov_b32_e32 v165, 0
	s_waitcnt lgkmcnt(1)
	v_dot4c_i32_i8_e32 v164, v20, v11
	s_waitcnt lgkmcnt(0)
	v_dot4c_i32_i8_e32 v165, v106, v8
	v_add_u32_e32 v16, 0x41c8, v139
	v_add_u32_e32 v18, 0x41d0, v139
	;; [unrolled: 1-line block ×4, first 2 shown]
	v_dot4c_i32_i8_e32 v164, v21, v15
	ds_read2_b32 v[20:21], v143 offset0:4 offset1:5
	ds_read2_b32 v[154:155], v142 offset0:6 offset1:7
	v_dot4c_i32_i8_e32 v165, v107, v12
	ds_read2_b32 v[16:17], v16 offset1:1
	ds_read2_b32 v[18:19], v18 offset1:1
	;; [unrolled: 1-line block ×4, first 2 shown]
	v_mov_b32_e32 v166, 0
	v_mov_b32_e32 v167, 0
	;; [unrolled: 1-line block ×3, first 2 shown]
	s_waitcnt lgkmcnt(3)
	v_dot4c_i32_i8_e32 v165, v16, v9
	s_waitcnt lgkmcnt(0)
	v_dot4c_i32_i8_e32 v166, v156, v8
	v_add_u32_e32 v8, 0x6248, v139
	v_dot4c_i32_i8_e32 v165, v17, v13
	ds_read2_b32 v[16:17], v8 offset1:1
	v_dot4c_i32_i8_e32 v165, v18, v10
	v_dot4c_i32_i8_e32 v165, v19, v14
	;; [unrolled: 1-line block ×4, first 2 shown]
	v_add_u32_e32 v12, 0x6250, v139
	v_add_u32_e32 v106, 0x6258, v139
	v_dot4c_i32_i8_e32 v165, v107, v15
	v_add_u32_e32 v8, 0x2160, v139
	ds_read2_b32 v[18:19], v12 offset1:1
	ds_read2_b32 v[106:107], v106 offset1:1
	;; [unrolled: 1-line block ×3, first 2 shown]
	s_waitcnt lgkmcnt(3)
	v_dot4c_i32_i8_e32 v166, v16, v9
	v_dot4c_i32_i8_e32 v166, v17, v13
	s_waitcnt lgkmcnt(2)
	v_dot4c_i32_i8_e32 v166, v18, v10
	v_dot4c_i32_i8_e32 v166, v19, v14
	ds_read_b128 v[16:19], v137 offset:96
	s_waitcnt lgkmcnt(2)
	v_dot4c_i32_i8_e32 v166, v106, v11
	ds_read_b128 v[8:11], v137 offset:112
	ds_read2_b32 v[12:13], v139 offset0:58 offset1:59
	v_dot4c_i32_i8_e32 v166, v107, v15
	s_waitcnt lgkmcnt(2)
	v_dot4c_i32_i8_e32 v167, v114, v16
	v_dot4c_i32_i8_e32 v168, v156, v16
	s_waitcnt lgkmcnt(1)
	v_dot4c_i32_i8_e32 v167, v115, v8
	ds_read2_b32 v[14:15], v139 offset0:60 offset1:61
	ds_read2_b32 v[106:107], v140 offset0:4 offset1:5
	;; [unrolled: 1-line block ×3, first 2 shown]
	s_waitcnt lgkmcnt(3)
	v_dot4c_i32_i8_e32 v167, v12, v17
	v_add_u32_e32 v12, 0x2168, v139
	v_dot4c_i32_i8_e32 v167, v13, v9
	ds_read2_b32 v[12:13], v12 offset1:1
	s_waitcnt lgkmcnt(3)
	v_dot4c_i32_i8_e32 v167, v14, v18
	v_dot4c_i32_i8_e32 v167, v15, v10
	s_waitcnt lgkmcnt(1)
	v_dot4c_i32_i8_e32 v167, v114, v19
	v_add_u32_e32 v14, 0x2170, v139
	v_add_u32_e32 v114, 0x2178, v139
	;; [unrolled: 1-line block ×3, first 2 shown]
	v_dot4c_i32_i8_e32 v167, v115, v11
	v_dot4c_i32_i8_e32 v168, v157, v8
	ds_read2_b32 v[14:15], v14 offset1:1
	ds_read2_b32 v[114:115], v114 offset1:1
	;; [unrolled: 1-line block ×3, first 2 shown]
	s_waitcnt lgkmcnt(3)
	v_dot4c_i32_i8_e32 v168, v12, v17
	v_dot4c_i32_i8_e32 v168, v13, v9
	s_waitcnt lgkmcnt(2)
	v_dot4c_i32_i8_e32 v168, v14, v18
	v_dot4c_i32_i8_e32 v168, v15, v10
	v_cvt_f32_i32_e32 v15, v105
	v_cvt_f32_i32_e32 v14, v104
	;; [unrolled: 1-line block ×4, first 2 shown]
	v_mov_b32_e32 v12, v106
	v_mov_b32_e32 v13, v110
	v_pk_mul_f32 v[12:13], v[2:3], v[12:13] op_sel_hi:[0,1]
	v_mov_b32_e32 v110, v107
	v_pk_fma_f32 v[12:13], v[12:13], v[14:15], v[98:99]
	v_pk_mul_f32 v[14:15], v[2:3], v[110:111] op_sel:[1,0]
	v_pk_fma_f32 v[12:13], v[14:15], v[104:105], v[12:13]
	v_cvt_f32_i32_e32 v15, v164
	v_cvt_f32_i32_e32 v14, v163
	s_waitcnt lgkmcnt(1)
	v_dot4c_i32_i8_e32 v168, v114, v19
	v_mov_b32_e32 v98, v112
	v_mov_b32_e32 v99, v108
	v_dot4c_i32_i8_e32 v168, v115, v11
	v_pk_mul_f32 v[98:99], v[4:5], v[98:99] op_sel_hi:[0,1]
	v_pk_fma_f32 v[12:13], v[98:99], v[14:15], v[12:13]
	v_cvt_f32_i32_e32 v14, v167
	v_cvt_f32_i32_e32 v15, v168
	v_mov_b32_e32 v104, v5
	v_mov_b32_e32 v108, v113
	v_pk_mul_f32 v[98:99], v[104:105], v[108:109] op_sel_hi:[0,1]
	v_add_u32_e32 v5, 0x41e8, v139
	v_pk_fma_f32 v[98:99], v[98:99], v[14:15], v[12:13]
	ds_read2_b32 v[12:13], v5 offset1:1
	v_mov_b32_e32 v105, 0
	s_waitcnt lgkmcnt(1)
	v_dot4c_i32_i8_e32 v105, v156, v16
	v_add_u32_e32 v14, 0x41f0, v139
	v_add_u32_e32 v106, 0x41f8, v139
	v_dot4c_i32_i8_e32 v105, v157, v8
	v_add_u32_e32 v5, 0x6260, v139
	ds_read2_b32 v[14:15], v14 offset1:1
	ds_read2_b32 v[106:107], v106 offset1:1
	ds_read2_b32 v[108:109], v5 offset1:1
	s_waitcnt lgkmcnt(3)
	v_dot4c_i32_i8_e32 v105, v12, v17
	v_add_u32_e32 v5, 0x6268, v139
	v_dot4c_i32_i8_e32 v105, v13, v9
	ds_read2_b32 v[12:13], v5 offset1:1
	s_waitcnt lgkmcnt(3)
	v_dot4c_i32_i8_e32 v105, v14, v18
	v_add_u32_e32 v5, 0x6270, v139
	v_dot4c_i32_i8_e32 v105, v15, v10
	v_mov_b32_e32 v110, 0
	ds_read2_b32 v[14:15], v5 offset1:1
	s_waitcnt lgkmcnt(3)
	v_dot4c_i32_i8_e32 v105, v106, v19
	s_waitcnt lgkmcnt(2)
	v_dot4c_i32_i8_e32 v110, v108, v16
	v_add_u32_e32 v5, 0x6278, v139
	v_dot4c_i32_i8_e32 v105, v107, v11
	v_dot4c_i32_i8_e32 v110, v109, v8
	ds_read2_b32 v[106:107], v5 offset1:1
	s_waitcnt lgkmcnt(2)
	v_dot4c_i32_i8_e32 v110, v12, v17
	v_dot4c_i32_i8_e32 v110, v13, v9
	s_waitcnt lgkmcnt(1)
	v_dot4c_i32_i8_e32 v110, v14, v18
	v_dot4c_i32_i8_e32 v110, v15, v10
	s_waitcnt lgkmcnt(0)
	v_dot4c_i32_i8_e32 v110, v106, v19
	v_dot4c_i32_i8_e32 v110, v107, v11
	v_cvt_f32_i32_e32 v11, v158
	v_cvt_f32_i32_e32 v10, v153
	;; [unrolled: 1-line block ×4, first 2 shown]
	v_mov_b32_e32 v8, v6
	v_mov_b32_e32 v9, v20
	v_pk_mul_f32 v[8:9], v[2:3], v[8:9] op_sel_hi:[0,1]
	v_mov_b32_e32 v20, v7
	v_pk_fma_f32 v[8:9], v[8:9], v[10:11], v[100:101]
	v_pk_mul_f32 v[2:3], v[2:3], v[20:21] op_sel:[1,0]
	v_pk_fma_f32 v[2:3], v[2:3], v[12:13], v[8:9]
	v_mov_b32_e32 v6, v154
	v_mov_b32_e32 v7, v102
	v_cvt_f32_i32_e32 v9, v166
	v_cvt_f32_i32_e32 v8, v165
	v_pk_mul_f32 v[4:5], v[4:5], v[6:7] op_sel_hi:[0,1]
	v_cvt_f32_i32_e32 v7, v110
	v_cvt_f32_i32_e32 v6, v105
	v_mov_b32_e32 v102, v155
	v_pk_fma_f32 v[2:3], v[4:5], v[8:9], v[2:3]
	v_pk_mul_f32 v[4:5], v[104:105], v[102:103] op_sel_hi:[0,1]
	v_pk_fma_f32 v[100:101], v[4:5], v[6:7], v[2:3]
	s_barrier
.LBB201_5:                              ;   in Loop: Header=BB201_6 Depth=1
	v_add_co_u32_e32 v24, vcc, 0x120, v24
	v_addc_co_u32_e32 v25, vcc, 0, v25, vcc
	v_add_co_u32_e32 v26, vcc, 0xb0, v26
	v_addc_co_u32_e32 v1, vcc, 0, v1, vcc
	;; [unrolled: 2-line block ×36, first 2 shown]
	s_add_i32 s16, s16, 8
	s_addk_i32 s21, 0x100
	v_add_co_u32_e32 v96, vcc, 0xb0, v96
	s_cmp_ge_i32 s16, s19
	v_addc_co_u32_e32 v95, vcc, 0, v95, vcc
	s_cbranch_scc1 .LBB201_20
.LBB201_6:                              ; =>This Inner Loop Header: Depth=1
	v_mov_b32_e32 v2, s20
	v_add_co_u32_e32 v4, vcc, s14, v26
	v_addc_co_u32_e32 v5, vcc, v1, v2, vcc
	global_load_dword v3, v[4:5], off offset:6
	v_add_co_u32_e32 v4, vcc, s14, v28
	v_addc_co_u32_e32 v5, vcc, v27, v2, vcc
	global_load_dword v8, v[4:5], off offset:2
	v_add_co_u32_e32 v4, vcc, s14, v30
	v_addc_co_u32_e32 v5, vcc, v29, v2, vcc
	v_add_co_u32_e32 v6, vcc, s14, v32
	v_addc_co_u32_e32 v7, vcc, v31, v2, vcc
	global_load_dword v9, v[6:7], off
	global_load_dword v10, v[4:5], off offset:6
	v_add_co_u32_e32 v4, vcc, s14, v34
	v_addc_co_u32_e32 v5, vcc, v33, v2, vcc
	v_add_co_u32_e32 v6, vcc, s14, v36
	v_addc_co_u32_e32 v7, vcc, v35, v2, vcc
	global_load_dword v11, v[4:5], off offset:6
	global_load_dword v12, v[6:7], off
	s_add_i32 s4, s21, 0xffffff80
	s_cmp_lt_i32 s4, s15
	s_waitcnt vmcnt(5)
	v_and_b32_e32 v5, 0xf0f0f0f, v3
	v_lshrrev_b32_e32 v3, 4, v3
	v_and_b32_e32 v3, 0xf0f0f0f, v3
	s_waitcnt vmcnt(4)
	v_ashrrev_i32_e32 v4, v117, v8
	v_lshlrev_b32_e32 v7, 4, v4
	v_lshlrev_b32_e32 v13, 18, v4
	;; [unrolled: 1-line block ×3, first 2 shown]
	v_lshrrev_b32_e32 v15, 12, v4
	v_lshrrev_b32_e32 v16, 5, v4
	v_lshlrev_b32_e32 v17, 2, v4
	v_and_b32_e32 v7, 16, v7
	s_waitcnt vmcnt(3)
	v_ashrrev_i32_e32 v8, v117, v9
	v_lshlrev_b32_e32 v9, 11, v4
	v_lshlrev_b32_e32 v4, 9, v4
	v_and_b32_e32 v9, 0x1000, v9
	v_and_b32_e32 v13, 0x100000, v13
	;; [unrolled: 1-line block ×6, first 2 shown]
	v_lshlrev_b32_e32 v18, 4, v8
	v_lshlrev_b32_e32 v19, 11, v8
	v_and_b32_e32 v4, 0x10000000, v4
	v_or3_b32 v7, v7, v5, v9
	v_or3_b32 v5, v5, v13, v14
	v_or3_b32 v9, v16, v15, v17
	s_waitcnt vmcnt(2)
	v_and_b32_e32 v6, 0xf0f0f0f, v10
	v_and_b32_e32 v18, 16, v18
	;; [unrolled: 1-line block ×4, first 2 shown]
	v_lshlrev_b16_e32 v7, 8, v7
	v_and_b32_sdwa v15, v5, s17 dst_sel:DWORD dst_unused:UNUSED_PAD src0_sel:WORD_1 src1_sel:DWORD
	v_lshlrev_b16_sdwa v5, v152, v5 dst_sel:DWORD dst_unused:UNUSED_PAD src0_sel:DWORD src1_sel:WORD_1
	v_or3_b32 v3, v9, v4, v3
	v_or3_b32 v13, v18, v6, v19
	v_add_u16_e32 v7, 0xf000, v7
	v_add_u16_e32 v5, 0xf000, v5
	v_lshlrev_b16_e32 v16, 8, v3
	v_and_b32_sdwa v17, v3, s23 dst_sel:DWORD dst_unused:UNUSED_PAD src0_sel:WORD_1 src1_sel:DWORD
	v_and_b32_e32 v4, 0x1f00, v13
	v_lshlrev_b16_e32 v9, 8, v13
	v_and_b32_e32 v13, 0x1f00, v3
	v_lshlrev_b16_sdwa v3, v152, v3 dst_sel:DWORD dst_unused:UNUSED_PAD src0_sel:DWORD src1_sel:WORD_1
	v_or_b32_sdwa v7, v14, v7 dst_sel:DWORD dst_unused:UNUSED_PAD src0_sel:DWORD src1_sel:BYTE_1
	v_or_b32_sdwa v5, v15, v5 dst_sel:DWORD dst_unused:UNUSED_PAD src0_sel:DWORD src1_sel:BYTE_1
	v_add_i16 v14, v16, s22 clamp
	v_add_i16 v15, v17, s22 clamp
	v_lshlrev_b32_e32 v20, 18, v8
	v_lshlrev_b32_e32 v21, 25, v8
	v_add_i16 v3, v3, s22 clamp
	v_add_u16_e32 v7, 0xf000, v7
	v_add_u16_sdwa v5, v5, s22 dst_sel:WORD_1 dst_unused:UNUSED_PAD src0_sel:DWORD src1_sel:DWORD
	v_or_b32_sdwa v13, v13, v14 dst_sel:DWORD dst_unused:UNUSED_PAD src0_sel:DWORD src1_sel:BYTE_1
	v_and_b32_e32 v14, 0xffffff00, v15
	v_and_b32_e32 v20, 0x100000, v20
	;; [unrolled: 1-line block ×3, first 2 shown]
	v_or_b32_e32 v5, v7, v5
	v_add_u16_e32 v7, 0xf000, v13
	v_or_b32_sdwa v3, v3, v14 dst_sel:WORD_1 dst_unused:UNUSED_PAD src0_sel:BYTE_1 src1_sel:DWORD
	v_or3_b32 v6, v6, v20, v21
	v_or_b32_e32 v3, v7, v3
	ds_write2_b32 v118, v5, v3 offset1:1
	v_add_u16_e32 v3, 0xf000, v9
	v_lshlrev_b16_sdwa v5, v152, v6 dst_sel:DWORD dst_unused:UNUSED_PAD src0_sel:DWORD src1_sel:WORD_1
	v_or_b32_sdwa v3, v4, v3 dst_sel:DWORD dst_unused:UNUSED_PAD src0_sel:DWORD src1_sel:BYTE_1
	v_and_b32_sdwa v4, v6, s17 dst_sel:DWORD dst_unused:UNUSED_PAD src0_sel:WORD_1 src1_sel:DWORD
	v_add_u16_e32 v5, 0xf000, v5
	v_or_b32_sdwa v4, v4, v5 dst_sel:DWORD dst_unused:UNUSED_PAD src0_sel:DWORD src1_sel:BYTE_1
	v_add_u16_e32 v3, 0xf000, v3
	v_add_u16_sdwa v4, v4, s22 dst_sel:WORD_1 dst_unused:UNUSED_PAD src0_sel:DWORD src1_sel:DWORD
	v_or_b32_e32 v3, v3, v4
	v_lshrrev_b32_e32 v4, 4, v10
	v_and_b32_e32 v9, 0xf0f0f0f, v4
	v_lshrrev_b32_e32 v4, 12, v8
	v_and_b32_e32 v10, 16, v4
	v_add_co_u32_e32 v4, vcc, s14, v38
	v_addc_co_u32_e32 v5, vcc, v37, v2, vcc
	v_add_co_u32_e32 v6, vcc, s14, v40
	v_addc_co_u32_e32 v7, vcc, v39, v2, vcc
	v_lshrrev_b32_e32 v13, 5, v8
	global_load_dword v14, v[6:7], off
	global_load_dword v15, v[4:5], off offset:6
	v_lshlrev_b32_e32 v5, 2, v8
	v_and_b32_e32 v4, 0x1000, v13
	v_and_b32_e32 v5, 0x100000, v5
	v_lshlrev_b32_e32 v6, 9, v8
	v_and_b32_e32 v6, 0x10000000, v6
	v_or3_b32 v4, v4, v10, v5
	v_or3_b32 v4, v4, v6, v9
	v_lshlrev_b16_e32 v6, 8, v4
	v_and_b32_e32 v5, 0x1f00, v4
	v_add_i16 v6, v6, s22 clamp
	v_or_b32_sdwa v5, v5, v6 dst_sel:DWORD dst_unused:UNUSED_PAD src0_sel:DWORD src1_sel:BYTE_1
	v_and_b32_sdwa v6, v4, s23 dst_sel:DWORD dst_unused:UNUSED_PAD src0_sel:WORD_1 src1_sel:DWORD
	v_add_i16 v6, v6, s22 clamp
	v_lshlrev_b16_sdwa v4, v152, v4 dst_sel:DWORD dst_unused:UNUSED_PAD src0_sel:DWORD src1_sel:WORD_1
	v_and_b32_e32 v6, 0xffffff00, v6
	v_add_i16 v4, v4, s22 clamp
	v_add_u16_e32 v5, 0xf000, v5
	v_or_b32_sdwa v4, v4, v6 dst_sel:WORD_1 dst_unused:UNUSED_PAD src0_sel:BYTE_1 src1_sel:DWORD
	v_or_b32_e32 v4, v5, v4
	ds_write2_b32 v119, v3, v4 offset1:1
	s_waitcnt vmcnt(2)
	v_ashrrev_i32_e32 v3, v117, v12
	v_lshlrev_b32_e32 v5, 4, v3
	v_lshlrev_b32_e32 v6, 11, v3
	v_and_b32_e32 v4, 0xf0f0f0f, v11
	v_and_b32_e32 v5, 16, v5
	;; [unrolled: 1-line block ×3, first 2 shown]
	v_or3_b32 v5, v5, v4, v6
	v_lshlrev_b32_e32 v6, 18, v3
	v_lshlrev_b32_e32 v7, 25, v3
	v_and_b32_e32 v6, 0x100000, v6
	v_and_b32_e32 v7, 0x10000000, v7
	v_or3_b32 v4, v4, v6, v7
	v_and_b32_e32 v6, 0x1f00, v5
	v_lshlrev_b16_e32 v5, 8, v5
	v_add_u16_e32 v5, 0xf000, v5
	v_or_b32_sdwa v5, v6, v5 dst_sel:DWORD dst_unused:UNUSED_PAD src0_sel:DWORD src1_sel:BYTE_1
	v_and_b32_sdwa v6, v4, s17 dst_sel:DWORD dst_unused:UNUSED_PAD src0_sel:WORD_1 src1_sel:DWORD
	v_lshlrev_b16_sdwa v4, v152, v4 dst_sel:DWORD dst_unused:UNUSED_PAD src0_sel:DWORD src1_sel:WORD_1
	v_add_u16_e32 v4, 0xf000, v4
	v_or_b32_sdwa v4, v6, v4 dst_sel:DWORD dst_unused:UNUSED_PAD src0_sel:DWORD src1_sel:BYTE_1
	v_add_u16_e32 v5, 0xf000, v5
	v_add_u16_sdwa v4, v4, s22 dst_sel:WORD_1 dst_unused:UNUSED_PAD src0_sel:DWORD src1_sel:DWORD
	v_or_b32_e32 v8, v5, v4
	v_lshrrev_b32_e32 v4, 4, v11
	v_and_b32_e32 v9, 0xf0f0f0f, v4
	v_lshrrev_b32_e32 v4, 12, v3
	v_and_b32_e32 v10, 16, v4
	v_add_co_u32_e32 v4, vcc, s14, v42
	v_addc_co_u32_e32 v5, vcc, v41, v2, vcc
	v_add_co_u32_e32 v6, vcc, s14, v44
	v_addc_co_u32_e32 v7, vcc, v43, v2, vcc
	global_load_dword v12, v[6:7], off
	global_load_dword v13, v[4:5], off offset:6
	v_lshrrev_b32_e32 v11, 5, v3
	v_lshlrev_b32_e32 v5, 2, v3
	v_and_b32_e32 v4, 0x1000, v11
	v_and_b32_e32 v5, 0x100000, v5
	v_lshlrev_b32_e32 v3, 9, v3
	v_and_b32_e32 v3, 0x10000000, v3
	v_or3_b32 v4, v4, v10, v5
	v_or3_b32 v3, v4, v3, v9
	v_lshlrev_b16_e32 v5, 8, v3
	v_and_b32_e32 v4, 0x1f00, v3
	v_add_i16 v5, v5, s22 clamp
	v_or_b32_sdwa v4, v4, v5 dst_sel:DWORD dst_unused:UNUSED_PAD src0_sel:DWORD src1_sel:BYTE_1
	v_and_b32_sdwa v5, v3, s23 dst_sel:DWORD dst_unused:UNUSED_PAD src0_sel:WORD_1 src1_sel:DWORD
	v_add_i16 v5, v5, s22 clamp
	v_lshlrev_b16_sdwa v3, v152, v3 dst_sel:DWORD dst_unused:UNUSED_PAD src0_sel:DWORD src1_sel:WORD_1
	v_and_b32_e32 v5, 0xffffff00, v5
	v_add_i16 v3, v3, s22 clamp
	v_add_u16_e32 v4, 0xf000, v4
	v_or_b32_sdwa v3, v3, v5 dst_sel:WORD_1 dst_unused:UNUSED_PAD src0_sel:BYTE_1 src1_sel:DWORD
	v_or_b32_e32 v3, v4, v3
	ds_write2_b32 v120, v8, v3 offset1:1
	s_waitcnt vmcnt(3)
	v_ashrrev_i32_e32 v3, v117, v14
	v_lshlrev_b32_e32 v5, 4, v3
	v_lshlrev_b32_e32 v6, 11, v3
	s_waitcnt vmcnt(2)
	v_and_b32_e32 v4, 0xf0f0f0f, v15
	v_and_b32_e32 v5, 16, v5
	v_and_b32_e32 v6, 0x1000, v6
	v_or3_b32 v5, v5, v4, v6
	v_lshlrev_b32_e32 v6, 18, v3
	v_lshlrev_b32_e32 v7, 25, v3
	v_and_b32_e32 v6, 0x100000, v6
	v_and_b32_e32 v7, 0x10000000, v7
	v_or3_b32 v4, v4, v6, v7
	v_and_b32_e32 v6, 0x1f00, v5
	v_lshlrev_b16_e32 v5, 8, v5
	v_add_u16_e32 v5, 0xf000, v5
	v_or_b32_sdwa v5, v6, v5 dst_sel:DWORD dst_unused:UNUSED_PAD src0_sel:DWORD src1_sel:BYTE_1
	v_and_b32_sdwa v6, v4, s17 dst_sel:DWORD dst_unused:UNUSED_PAD src0_sel:WORD_1 src1_sel:DWORD
	v_lshlrev_b16_sdwa v4, v152, v4 dst_sel:DWORD dst_unused:UNUSED_PAD src0_sel:DWORD src1_sel:WORD_1
	v_add_u16_e32 v4, 0xf000, v4
	v_or_b32_sdwa v4, v6, v4 dst_sel:DWORD dst_unused:UNUSED_PAD src0_sel:DWORD src1_sel:BYTE_1
	v_add_u16_e32 v5, 0xf000, v5
	v_add_u16_sdwa v4, v4, s22 dst_sel:WORD_1 dst_unused:UNUSED_PAD src0_sel:DWORD src1_sel:DWORD
	v_or_b32_e32 v8, v5, v4
	v_lshrrev_b32_e32 v4, 4, v15
	v_and_b32_e32 v9, 0xf0f0f0f, v4
	v_lshrrev_b32_e32 v4, 12, v3
	v_and_b32_e32 v10, 16, v4
	v_add_co_u32_e32 v4, vcc, s14, v46
	v_addc_co_u32_e32 v5, vcc, v45, v2, vcc
	v_add_co_u32_e32 v6, vcc, s14, v48
	v_addc_co_u32_e32 v7, vcc, v47, v2, vcc
	v_lshrrev_b32_e32 v11, 5, v3
	global_load_dword v14, v[6:7], off
	global_load_dword v15, v[4:5], off offset:6
	v_lshlrev_b32_e32 v5, 2, v3
	v_and_b32_e32 v4, 0x1000, v11
	v_and_b32_e32 v5, 0x100000, v5
	v_lshlrev_b32_e32 v3, 9, v3
	v_and_b32_e32 v3, 0x10000000, v3
	v_or3_b32 v4, v4, v10, v5
	v_or3_b32 v3, v4, v3, v9
	v_lshlrev_b16_e32 v5, 8, v3
	v_and_b32_e32 v4, 0x1f00, v3
	v_add_i16 v5, v5, s22 clamp
	v_or_b32_sdwa v4, v4, v5 dst_sel:DWORD dst_unused:UNUSED_PAD src0_sel:DWORD src1_sel:BYTE_1
	v_and_b32_sdwa v5, v3, s23 dst_sel:DWORD dst_unused:UNUSED_PAD src0_sel:WORD_1 src1_sel:DWORD
	v_add_i16 v5, v5, s22 clamp
	v_lshlrev_b16_sdwa v3, v152, v3 dst_sel:DWORD dst_unused:UNUSED_PAD src0_sel:DWORD src1_sel:WORD_1
	v_and_b32_e32 v5, 0xffffff00, v5
	v_add_i16 v3, v3, s22 clamp
	v_add_u16_e32 v4, 0xf000, v4
	v_or_b32_sdwa v3, v3, v5 dst_sel:WORD_1 dst_unused:UNUSED_PAD src0_sel:BYTE_1 src1_sel:DWORD
	v_or_b32_e32 v3, v4, v3
	ds_write2_b32 v121, v8, v3 offset1:1
	s_waitcnt vmcnt(3)
	v_ashrrev_i32_e32 v3, v117, v12
	v_lshlrev_b32_e32 v5, 4, v3
	v_lshlrev_b32_e32 v6, 11, v3
	s_waitcnt vmcnt(2)
	v_and_b32_e32 v4, 0xf0f0f0f, v13
	v_and_b32_e32 v5, 16, v5
	;; [unrolled: 1-line block ×3, first 2 shown]
	v_or3_b32 v5, v5, v4, v6
	v_lshlrev_b32_e32 v6, 18, v3
	v_lshlrev_b32_e32 v7, 25, v3
	v_and_b32_e32 v6, 0x100000, v6
	v_and_b32_e32 v7, 0x10000000, v7
	v_or3_b32 v4, v4, v6, v7
	v_and_b32_e32 v6, 0x1f00, v5
	v_lshlrev_b16_e32 v5, 8, v5
	v_add_u16_e32 v5, 0xf000, v5
	v_or_b32_sdwa v5, v6, v5 dst_sel:DWORD dst_unused:UNUSED_PAD src0_sel:DWORD src1_sel:BYTE_1
	v_and_b32_sdwa v6, v4, s17 dst_sel:DWORD dst_unused:UNUSED_PAD src0_sel:WORD_1 src1_sel:DWORD
	v_lshlrev_b16_sdwa v4, v152, v4 dst_sel:DWORD dst_unused:UNUSED_PAD src0_sel:DWORD src1_sel:WORD_1
	v_add_u16_e32 v4, 0xf000, v4
	v_or_b32_sdwa v4, v6, v4 dst_sel:DWORD dst_unused:UNUSED_PAD src0_sel:DWORD src1_sel:BYTE_1
	v_add_u16_e32 v5, 0xf000, v5
	v_add_u16_sdwa v4, v4, s22 dst_sel:WORD_1 dst_unused:UNUSED_PAD src0_sel:DWORD src1_sel:DWORD
	v_or_b32_e32 v8, v5, v4
	v_lshrrev_b32_e32 v4, 4, v13
	v_and_b32_e32 v9, 0xf0f0f0f, v4
	v_lshrrev_b32_e32 v4, 12, v3
	v_and_b32_e32 v10, 16, v4
	v_add_co_u32_e32 v4, vcc, s14, v50
	v_addc_co_u32_e32 v5, vcc, v49, v2, vcc
	v_add_co_u32_e32 v6, vcc, s14, v52
	v_addc_co_u32_e32 v7, vcc, v51, v2, vcc
	global_load_dword v12, v[6:7], off
	global_load_dword v13, v[4:5], off offset:6
	v_lshrrev_b32_e32 v11, 5, v3
	v_lshlrev_b32_e32 v5, 2, v3
	v_and_b32_e32 v4, 0x1000, v11
	v_and_b32_e32 v5, 0x100000, v5
	v_lshlrev_b32_e32 v3, 9, v3
	v_and_b32_e32 v3, 0x10000000, v3
	v_or3_b32 v4, v4, v10, v5
	v_or3_b32 v3, v4, v3, v9
	v_lshlrev_b16_e32 v5, 8, v3
	v_and_b32_e32 v4, 0x1f00, v3
	v_add_i16 v5, v5, s22 clamp
	v_or_b32_sdwa v4, v4, v5 dst_sel:DWORD dst_unused:UNUSED_PAD src0_sel:DWORD src1_sel:BYTE_1
	v_and_b32_sdwa v5, v3, s23 dst_sel:DWORD dst_unused:UNUSED_PAD src0_sel:WORD_1 src1_sel:DWORD
	v_add_i16 v5, v5, s22 clamp
	v_lshlrev_b16_sdwa v3, v152, v3 dst_sel:DWORD dst_unused:UNUSED_PAD src0_sel:DWORD src1_sel:WORD_1
	v_and_b32_e32 v5, 0xffffff00, v5
	v_add_i16 v3, v3, s22 clamp
	v_add_u16_e32 v4, 0xf000, v4
	v_or_b32_sdwa v3, v3, v5 dst_sel:WORD_1 dst_unused:UNUSED_PAD src0_sel:BYTE_1 src1_sel:DWORD
	v_or_b32_e32 v3, v4, v3
	ds_write2_b32 v122, v8, v3 offset1:1
	s_waitcnt vmcnt(3)
	v_ashrrev_i32_e32 v3, v117, v14
	v_lshlrev_b32_e32 v5, 4, v3
	v_lshlrev_b32_e32 v6, 11, v3
	s_waitcnt vmcnt(2)
	v_and_b32_e32 v4, 0xf0f0f0f, v15
	v_and_b32_e32 v5, 16, v5
	;; [unrolled: 1-line block ×3, first 2 shown]
	v_or3_b32 v5, v5, v4, v6
	v_lshlrev_b32_e32 v6, 18, v3
	v_lshlrev_b32_e32 v7, 25, v3
	v_and_b32_e32 v6, 0x100000, v6
	v_and_b32_e32 v7, 0x10000000, v7
	v_or3_b32 v4, v4, v6, v7
	v_and_b32_e32 v6, 0x1f00, v5
	v_lshlrev_b16_e32 v5, 8, v5
	v_add_u16_e32 v5, 0xf000, v5
	v_or_b32_sdwa v5, v6, v5 dst_sel:DWORD dst_unused:UNUSED_PAD src0_sel:DWORD src1_sel:BYTE_1
	v_and_b32_sdwa v6, v4, s17 dst_sel:DWORD dst_unused:UNUSED_PAD src0_sel:WORD_1 src1_sel:DWORD
	v_lshlrev_b16_sdwa v4, v152, v4 dst_sel:DWORD dst_unused:UNUSED_PAD src0_sel:DWORD src1_sel:WORD_1
	v_add_u16_e32 v4, 0xf000, v4
	v_or_b32_sdwa v4, v6, v4 dst_sel:DWORD dst_unused:UNUSED_PAD src0_sel:DWORD src1_sel:BYTE_1
	v_add_u16_e32 v5, 0xf000, v5
	v_add_u16_sdwa v4, v4, s22 dst_sel:WORD_1 dst_unused:UNUSED_PAD src0_sel:DWORD src1_sel:DWORD
	v_or_b32_e32 v8, v5, v4
	v_lshrrev_b32_e32 v4, 4, v15
	v_and_b32_e32 v9, 0xf0f0f0f, v4
	v_lshrrev_b32_e32 v4, 12, v3
	v_and_b32_e32 v10, 16, v4
	v_add_co_u32_e32 v4, vcc, s14, v54
	v_addc_co_u32_e32 v5, vcc, v53, v2, vcc
	v_add_co_u32_e32 v6, vcc, s14, v56
	v_addc_co_u32_e32 v7, vcc, v55, v2, vcc
	v_lshrrev_b32_e32 v11, 5, v3
	global_load_dword v14, v[6:7], off
	global_load_dword v15, v[4:5], off offset:6
	v_lshlrev_b32_e32 v5, 2, v3
	v_and_b32_e32 v4, 0x1000, v11
	v_and_b32_e32 v5, 0x100000, v5
	v_lshlrev_b32_e32 v3, 9, v3
	v_and_b32_e32 v3, 0x10000000, v3
	v_or3_b32 v4, v4, v10, v5
	v_or3_b32 v3, v4, v3, v9
	v_lshlrev_b16_e32 v5, 8, v3
	v_and_b32_e32 v4, 0x1f00, v3
	v_add_i16 v5, v5, s22 clamp
	v_or_b32_sdwa v4, v4, v5 dst_sel:DWORD dst_unused:UNUSED_PAD src0_sel:DWORD src1_sel:BYTE_1
	v_and_b32_sdwa v5, v3, s23 dst_sel:DWORD dst_unused:UNUSED_PAD src0_sel:WORD_1 src1_sel:DWORD
	v_add_i16 v5, v5, s22 clamp
	v_lshlrev_b16_sdwa v3, v152, v3 dst_sel:DWORD dst_unused:UNUSED_PAD src0_sel:DWORD src1_sel:WORD_1
	v_and_b32_e32 v5, 0xffffff00, v5
	v_add_i16 v3, v3, s22 clamp
	v_add_u16_e32 v4, 0xf000, v4
	v_or_b32_sdwa v3, v3, v5 dst_sel:WORD_1 dst_unused:UNUSED_PAD src0_sel:BYTE_1 src1_sel:DWORD
	v_or_b32_e32 v3, v4, v3
	ds_write2_b32 v123, v8, v3 offset1:1
	s_waitcnt vmcnt(3)
	v_ashrrev_i32_e32 v3, v117, v12
	v_lshlrev_b32_e32 v5, 4, v3
	v_lshlrev_b32_e32 v6, 11, v3
	s_waitcnt vmcnt(2)
	v_and_b32_e32 v4, 0xf0f0f0f, v13
	v_and_b32_e32 v5, 16, v5
	v_and_b32_e32 v6, 0x1000, v6
	v_or3_b32 v5, v5, v4, v6
	v_lshlrev_b32_e32 v6, 18, v3
	v_lshlrev_b32_e32 v7, 25, v3
	v_and_b32_e32 v6, 0x100000, v6
	v_and_b32_e32 v7, 0x10000000, v7
	v_or3_b32 v4, v4, v6, v7
	v_and_b32_e32 v6, 0x1f00, v5
	v_lshlrev_b16_e32 v5, 8, v5
	v_add_u16_e32 v5, 0xf000, v5
	v_or_b32_sdwa v5, v6, v5 dst_sel:DWORD dst_unused:UNUSED_PAD src0_sel:DWORD src1_sel:BYTE_1
	v_and_b32_sdwa v6, v4, s17 dst_sel:DWORD dst_unused:UNUSED_PAD src0_sel:WORD_1 src1_sel:DWORD
	v_lshlrev_b16_sdwa v4, v152, v4 dst_sel:DWORD dst_unused:UNUSED_PAD src0_sel:DWORD src1_sel:WORD_1
	v_add_u16_e32 v4, 0xf000, v4
	v_or_b32_sdwa v4, v6, v4 dst_sel:DWORD dst_unused:UNUSED_PAD src0_sel:DWORD src1_sel:BYTE_1
	v_add_u16_e32 v5, 0xf000, v5
	v_add_u16_sdwa v4, v4, s22 dst_sel:WORD_1 dst_unused:UNUSED_PAD src0_sel:DWORD src1_sel:DWORD
	v_or_b32_e32 v8, v5, v4
	v_lshrrev_b32_e32 v4, 4, v13
	v_and_b32_e32 v9, 0xf0f0f0f, v4
	v_lshrrev_b32_e32 v4, 12, v3
	v_and_b32_e32 v10, 16, v4
	v_add_co_u32_e32 v4, vcc, s14, v58
	v_addc_co_u32_e32 v5, vcc, v57, v2, vcc
	v_add_co_u32_e32 v6, vcc, s14, v60
	v_addc_co_u32_e32 v7, vcc, v59, v2, vcc
	global_load_dword v12, v[6:7], off
	global_load_dword v13, v[4:5], off offset:6
	v_lshrrev_b32_e32 v11, 5, v3
	v_lshlrev_b32_e32 v5, 2, v3
	v_and_b32_e32 v4, 0x1000, v11
	v_and_b32_e32 v5, 0x100000, v5
	v_lshlrev_b32_e32 v3, 9, v3
	v_and_b32_e32 v3, 0x10000000, v3
	v_or3_b32 v4, v4, v10, v5
	v_or3_b32 v3, v4, v3, v9
	v_lshlrev_b16_e32 v5, 8, v3
	v_and_b32_e32 v4, 0x1f00, v3
	v_add_i16 v5, v5, s22 clamp
	v_or_b32_sdwa v4, v4, v5 dst_sel:DWORD dst_unused:UNUSED_PAD src0_sel:DWORD src1_sel:BYTE_1
	v_and_b32_sdwa v5, v3, s23 dst_sel:DWORD dst_unused:UNUSED_PAD src0_sel:WORD_1 src1_sel:DWORD
	v_add_i16 v5, v5, s22 clamp
	v_lshlrev_b16_sdwa v3, v152, v3 dst_sel:DWORD dst_unused:UNUSED_PAD src0_sel:DWORD src1_sel:WORD_1
	v_and_b32_e32 v5, 0xffffff00, v5
	v_add_i16 v3, v3, s22 clamp
	v_add_u16_e32 v4, 0xf000, v4
	v_or_b32_sdwa v3, v3, v5 dst_sel:WORD_1 dst_unused:UNUSED_PAD src0_sel:BYTE_1 src1_sel:DWORD
	v_or_b32_e32 v3, v4, v3
	ds_write2_b32 v124, v8, v3 offset1:1
	s_waitcnt vmcnt(3)
	v_ashrrev_i32_e32 v3, v117, v14
	v_lshlrev_b32_e32 v5, 4, v3
	v_lshlrev_b32_e32 v6, 11, v3
	s_waitcnt vmcnt(2)
	v_and_b32_e32 v4, 0xf0f0f0f, v15
	v_and_b32_e32 v5, 16, v5
	;; [unrolled: 1-line block ×3, first 2 shown]
	v_or3_b32 v5, v5, v4, v6
	v_lshlrev_b32_e32 v6, 18, v3
	v_lshlrev_b32_e32 v7, 25, v3
	v_and_b32_e32 v6, 0x100000, v6
	v_and_b32_e32 v7, 0x10000000, v7
	v_or3_b32 v4, v4, v6, v7
	v_and_b32_e32 v6, 0x1f00, v5
	v_lshlrev_b16_e32 v5, 8, v5
	v_add_u16_e32 v5, 0xf000, v5
	v_or_b32_sdwa v5, v6, v5 dst_sel:DWORD dst_unused:UNUSED_PAD src0_sel:DWORD src1_sel:BYTE_1
	v_and_b32_sdwa v6, v4, s17 dst_sel:DWORD dst_unused:UNUSED_PAD src0_sel:WORD_1 src1_sel:DWORD
	v_lshlrev_b16_sdwa v4, v152, v4 dst_sel:DWORD dst_unused:UNUSED_PAD src0_sel:DWORD src1_sel:WORD_1
	v_add_u16_e32 v4, 0xf000, v4
	v_or_b32_sdwa v4, v6, v4 dst_sel:DWORD dst_unused:UNUSED_PAD src0_sel:DWORD src1_sel:BYTE_1
	v_add_u16_e32 v5, 0xf000, v5
	v_add_u16_sdwa v4, v4, s22 dst_sel:WORD_1 dst_unused:UNUSED_PAD src0_sel:DWORD src1_sel:DWORD
	v_or_b32_e32 v8, v5, v4
	v_lshrrev_b32_e32 v4, 4, v15
	v_and_b32_e32 v9, 0xf0f0f0f, v4
	v_lshrrev_b32_e32 v4, 12, v3
	v_and_b32_e32 v10, 16, v4
	v_add_co_u32_e32 v4, vcc, s14, v62
	v_addc_co_u32_e32 v5, vcc, v61, v2, vcc
	v_add_co_u32_e32 v6, vcc, s14, v64
	v_addc_co_u32_e32 v7, vcc, v63, v2, vcc
	v_lshrrev_b32_e32 v11, 5, v3
	global_load_dword v14, v[6:7], off
	global_load_dword v15, v[4:5], off offset:6
	v_lshlrev_b32_e32 v5, 2, v3
	v_and_b32_e32 v4, 0x1000, v11
	v_and_b32_e32 v5, 0x100000, v5
	v_lshlrev_b32_e32 v3, 9, v3
	v_and_b32_e32 v3, 0x10000000, v3
	v_or3_b32 v4, v4, v10, v5
	v_or3_b32 v3, v4, v3, v9
	v_lshlrev_b16_e32 v5, 8, v3
	v_and_b32_e32 v4, 0x1f00, v3
	v_add_i16 v5, v5, s22 clamp
	v_or_b32_sdwa v4, v4, v5 dst_sel:DWORD dst_unused:UNUSED_PAD src0_sel:DWORD src1_sel:BYTE_1
	v_and_b32_sdwa v5, v3, s23 dst_sel:DWORD dst_unused:UNUSED_PAD src0_sel:WORD_1 src1_sel:DWORD
	v_add_i16 v5, v5, s22 clamp
	v_lshlrev_b16_sdwa v3, v152, v3 dst_sel:DWORD dst_unused:UNUSED_PAD src0_sel:DWORD src1_sel:WORD_1
	v_and_b32_e32 v5, 0xffffff00, v5
	v_add_i16 v3, v3, s22 clamp
	v_add_u16_e32 v4, 0xf000, v4
	v_or_b32_sdwa v3, v3, v5 dst_sel:WORD_1 dst_unused:UNUSED_PAD src0_sel:BYTE_1 src1_sel:DWORD
	v_or_b32_e32 v3, v4, v3
	ds_write2_b32 v125, v8, v3 offset1:1
	s_waitcnt vmcnt(3)
	v_ashrrev_i32_e32 v3, v117, v12
	v_lshlrev_b32_e32 v5, 4, v3
	v_lshlrev_b32_e32 v6, 11, v3
	s_waitcnt vmcnt(2)
	v_and_b32_e32 v4, 0xf0f0f0f, v13
	v_and_b32_e32 v5, 16, v5
	;; [unrolled: 1-line block ×3, first 2 shown]
	v_or3_b32 v5, v5, v4, v6
	v_lshlrev_b32_e32 v6, 18, v3
	v_lshlrev_b32_e32 v7, 25, v3
	v_and_b32_e32 v6, 0x100000, v6
	v_and_b32_e32 v7, 0x10000000, v7
	v_or3_b32 v4, v4, v6, v7
	v_and_b32_e32 v6, 0x1f00, v5
	v_lshlrev_b16_e32 v5, 8, v5
	v_add_u16_e32 v5, 0xf000, v5
	v_or_b32_sdwa v5, v6, v5 dst_sel:DWORD dst_unused:UNUSED_PAD src0_sel:DWORD src1_sel:BYTE_1
	v_and_b32_sdwa v6, v4, s17 dst_sel:DWORD dst_unused:UNUSED_PAD src0_sel:WORD_1 src1_sel:DWORD
	v_lshlrev_b16_sdwa v4, v152, v4 dst_sel:DWORD dst_unused:UNUSED_PAD src0_sel:DWORD src1_sel:WORD_1
	v_add_u16_e32 v4, 0xf000, v4
	v_or_b32_sdwa v4, v6, v4 dst_sel:DWORD dst_unused:UNUSED_PAD src0_sel:DWORD src1_sel:BYTE_1
	v_add_u16_e32 v5, 0xf000, v5
	v_add_u16_sdwa v4, v4, s22 dst_sel:WORD_1 dst_unused:UNUSED_PAD src0_sel:DWORD src1_sel:DWORD
	v_or_b32_e32 v8, v5, v4
	v_lshrrev_b32_e32 v4, 4, v13
	v_and_b32_e32 v9, 0xf0f0f0f, v4
	v_lshrrev_b32_e32 v4, 12, v3
	v_and_b32_e32 v10, 16, v4
	v_add_co_u32_e32 v4, vcc, s14, v66
	v_addc_co_u32_e32 v5, vcc, v65, v2, vcc
	v_add_co_u32_e32 v6, vcc, s14, v68
	v_addc_co_u32_e32 v7, vcc, v67, v2, vcc
	global_load_dword v12, v[6:7], off
	global_load_dword v13, v[4:5], off offset:6
	v_lshrrev_b32_e32 v11, 5, v3
	v_lshlrev_b32_e32 v5, 2, v3
	v_and_b32_e32 v4, 0x1000, v11
	v_and_b32_e32 v5, 0x100000, v5
	v_lshlrev_b32_e32 v3, 9, v3
	v_and_b32_e32 v3, 0x10000000, v3
	v_or3_b32 v4, v4, v10, v5
	v_or3_b32 v3, v4, v3, v9
	v_lshlrev_b16_e32 v5, 8, v3
	v_and_b32_e32 v4, 0x1f00, v3
	v_add_i16 v5, v5, s22 clamp
	v_or_b32_sdwa v4, v4, v5 dst_sel:DWORD dst_unused:UNUSED_PAD src0_sel:DWORD src1_sel:BYTE_1
	v_and_b32_sdwa v5, v3, s23 dst_sel:DWORD dst_unused:UNUSED_PAD src0_sel:WORD_1 src1_sel:DWORD
	v_add_i16 v5, v5, s22 clamp
	v_lshlrev_b16_sdwa v3, v152, v3 dst_sel:DWORD dst_unused:UNUSED_PAD src0_sel:DWORD src1_sel:WORD_1
	v_and_b32_e32 v5, 0xffffff00, v5
	v_add_i16 v3, v3, s22 clamp
	v_add_u16_e32 v4, 0xf000, v4
	v_or_b32_sdwa v3, v3, v5 dst_sel:WORD_1 dst_unused:UNUSED_PAD src0_sel:BYTE_1 src1_sel:DWORD
	v_or_b32_e32 v3, v4, v3
	ds_write2_b32 v126, v8, v3 offset1:1
	s_waitcnt vmcnt(3)
	v_ashrrev_i32_e32 v3, v117, v14
	v_lshlrev_b32_e32 v5, 4, v3
	v_lshlrev_b32_e32 v6, 11, v3
	s_waitcnt vmcnt(2)
	v_and_b32_e32 v4, 0xf0f0f0f, v15
	v_and_b32_e32 v5, 16, v5
	;; [unrolled: 1-line block ×3, first 2 shown]
	v_or3_b32 v5, v5, v4, v6
	v_lshlrev_b32_e32 v6, 18, v3
	v_lshlrev_b32_e32 v7, 25, v3
	v_and_b32_e32 v6, 0x100000, v6
	v_and_b32_e32 v7, 0x10000000, v7
	v_or3_b32 v4, v4, v6, v7
	v_and_b32_e32 v6, 0x1f00, v5
	v_lshlrev_b16_e32 v5, 8, v5
	v_add_u16_e32 v5, 0xf000, v5
	v_or_b32_sdwa v5, v6, v5 dst_sel:DWORD dst_unused:UNUSED_PAD src0_sel:DWORD src1_sel:BYTE_1
	v_and_b32_sdwa v6, v4, s17 dst_sel:DWORD dst_unused:UNUSED_PAD src0_sel:WORD_1 src1_sel:DWORD
	v_lshlrev_b16_sdwa v4, v152, v4 dst_sel:DWORD dst_unused:UNUSED_PAD src0_sel:DWORD src1_sel:WORD_1
	v_add_u16_e32 v4, 0xf000, v4
	v_or_b32_sdwa v4, v6, v4 dst_sel:DWORD dst_unused:UNUSED_PAD src0_sel:DWORD src1_sel:BYTE_1
	v_add_u16_e32 v5, 0xf000, v5
	v_add_u16_sdwa v4, v4, s22 dst_sel:WORD_1 dst_unused:UNUSED_PAD src0_sel:DWORD src1_sel:DWORD
	v_or_b32_e32 v8, v5, v4
	v_lshrrev_b32_e32 v4, 4, v15
	v_and_b32_e32 v9, 0xf0f0f0f, v4
	v_lshrrev_b32_e32 v4, 12, v3
	v_and_b32_e32 v10, 16, v4
	v_add_co_u32_e32 v4, vcc, s14, v70
	v_addc_co_u32_e32 v5, vcc, v69, v2, vcc
	v_add_co_u32_e32 v6, vcc, s14, v72
	v_addc_co_u32_e32 v7, vcc, v71, v2, vcc
	v_lshrrev_b32_e32 v11, 5, v3
	global_load_dword v14, v[6:7], off
	global_load_dword v15, v[4:5], off offset:6
	v_lshlrev_b32_e32 v5, 2, v3
	v_and_b32_e32 v4, 0x1000, v11
	v_and_b32_e32 v5, 0x100000, v5
	v_lshlrev_b32_e32 v3, 9, v3
	v_and_b32_e32 v3, 0x10000000, v3
	v_or3_b32 v4, v4, v10, v5
	v_or3_b32 v3, v4, v3, v9
	v_lshlrev_b16_e32 v5, 8, v3
	v_and_b32_e32 v4, 0x1f00, v3
	v_add_i16 v5, v5, s22 clamp
	v_or_b32_sdwa v4, v4, v5 dst_sel:DWORD dst_unused:UNUSED_PAD src0_sel:DWORD src1_sel:BYTE_1
	v_and_b32_sdwa v5, v3, s23 dst_sel:DWORD dst_unused:UNUSED_PAD src0_sel:WORD_1 src1_sel:DWORD
	v_add_i16 v5, v5, s22 clamp
	v_lshlrev_b16_sdwa v3, v152, v3 dst_sel:DWORD dst_unused:UNUSED_PAD src0_sel:DWORD src1_sel:WORD_1
	v_and_b32_e32 v5, 0xffffff00, v5
	v_add_i16 v3, v3, s22 clamp
	v_add_u16_e32 v4, 0xf000, v4
	v_or_b32_sdwa v3, v3, v5 dst_sel:WORD_1 dst_unused:UNUSED_PAD src0_sel:BYTE_1 src1_sel:DWORD
	v_or_b32_e32 v3, v4, v3
	ds_write2_b32 v127, v8, v3 offset1:1
	s_waitcnt vmcnt(3)
	v_ashrrev_i32_e32 v3, v117, v12
	v_lshlrev_b32_e32 v5, 4, v3
	v_lshlrev_b32_e32 v6, 11, v3
	s_waitcnt vmcnt(2)
	v_and_b32_e32 v4, 0xf0f0f0f, v13
	v_and_b32_e32 v5, 16, v5
	;; [unrolled: 1-line block ×3, first 2 shown]
	v_or3_b32 v5, v5, v4, v6
	v_lshlrev_b32_e32 v6, 18, v3
	v_lshlrev_b32_e32 v7, 25, v3
	v_and_b32_e32 v6, 0x100000, v6
	v_and_b32_e32 v7, 0x10000000, v7
	v_or3_b32 v4, v4, v6, v7
	v_and_b32_e32 v6, 0x1f00, v5
	v_lshlrev_b16_e32 v5, 8, v5
	v_add_u16_e32 v5, 0xf000, v5
	v_or_b32_sdwa v5, v6, v5 dst_sel:DWORD dst_unused:UNUSED_PAD src0_sel:DWORD src1_sel:BYTE_1
	v_and_b32_sdwa v6, v4, s17 dst_sel:DWORD dst_unused:UNUSED_PAD src0_sel:WORD_1 src1_sel:DWORD
	v_lshlrev_b16_sdwa v4, v152, v4 dst_sel:DWORD dst_unused:UNUSED_PAD src0_sel:DWORD src1_sel:WORD_1
	v_add_u16_e32 v4, 0xf000, v4
	v_or_b32_sdwa v4, v6, v4 dst_sel:DWORD dst_unused:UNUSED_PAD src0_sel:DWORD src1_sel:BYTE_1
	v_add_u16_e32 v5, 0xf000, v5
	v_add_u16_sdwa v4, v4, s22 dst_sel:WORD_1 dst_unused:UNUSED_PAD src0_sel:DWORD src1_sel:DWORD
	v_or_b32_e32 v8, v5, v4
	v_lshrrev_b32_e32 v4, 4, v13
	v_and_b32_e32 v9, 0xf0f0f0f, v4
	v_lshrrev_b32_e32 v4, 12, v3
	v_and_b32_e32 v10, 16, v4
	v_add_co_u32_e32 v4, vcc, s14, v74
	v_addc_co_u32_e32 v5, vcc, v73, v2, vcc
	v_add_co_u32_e32 v6, vcc, s14, v76
	v_addc_co_u32_e32 v7, vcc, v75, v2, vcc
	global_load_dword v12, v[6:7], off
	global_load_dword v13, v[4:5], off offset:6
	v_lshrrev_b32_e32 v11, 5, v3
	v_lshlrev_b32_e32 v5, 2, v3
	v_and_b32_e32 v4, 0x1000, v11
	v_and_b32_e32 v5, 0x100000, v5
	v_lshlrev_b32_e32 v3, 9, v3
	v_and_b32_e32 v3, 0x10000000, v3
	v_or3_b32 v4, v4, v10, v5
	v_or3_b32 v3, v4, v3, v9
	v_lshlrev_b16_e32 v5, 8, v3
	v_and_b32_e32 v4, 0x1f00, v3
	v_add_i16 v5, v5, s22 clamp
	v_or_b32_sdwa v4, v4, v5 dst_sel:DWORD dst_unused:UNUSED_PAD src0_sel:DWORD src1_sel:BYTE_1
	v_and_b32_sdwa v5, v3, s23 dst_sel:DWORD dst_unused:UNUSED_PAD src0_sel:WORD_1 src1_sel:DWORD
	v_add_i16 v5, v5, s22 clamp
	v_lshlrev_b16_sdwa v3, v152, v3 dst_sel:DWORD dst_unused:UNUSED_PAD src0_sel:DWORD src1_sel:WORD_1
	v_and_b32_e32 v5, 0xffffff00, v5
	v_add_i16 v3, v3, s22 clamp
	v_add_u16_e32 v4, 0xf000, v4
	v_or_b32_sdwa v3, v3, v5 dst_sel:WORD_1 dst_unused:UNUSED_PAD src0_sel:BYTE_1 src1_sel:DWORD
	v_or_b32_e32 v3, v4, v3
	ds_write2_b32 v128, v8, v3 offset1:1
	s_waitcnt vmcnt(3)
	v_ashrrev_i32_e32 v3, v117, v14
	v_lshlrev_b32_e32 v5, 4, v3
	v_lshlrev_b32_e32 v6, 11, v3
	s_waitcnt vmcnt(2)
	v_and_b32_e32 v4, 0xf0f0f0f, v15
	v_and_b32_e32 v5, 16, v5
	;; [unrolled: 1-line block ×3, first 2 shown]
	v_or3_b32 v5, v5, v4, v6
	v_lshlrev_b32_e32 v6, 18, v3
	v_lshlrev_b32_e32 v7, 25, v3
	v_and_b32_e32 v6, 0x100000, v6
	v_and_b32_e32 v7, 0x10000000, v7
	v_or3_b32 v4, v4, v6, v7
	v_and_b32_e32 v6, 0x1f00, v5
	v_lshlrev_b16_e32 v5, 8, v5
	v_add_u16_e32 v5, 0xf000, v5
	v_or_b32_sdwa v5, v6, v5 dst_sel:DWORD dst_unused:UNUSED_PAD src0_sel:DWORD src1_sel:BYTE_1
	v_and_b32_sdwa v6, v4, s17 dst_sel:DWORD dst_unused:UNUSED_PAD src0_sel:WORD_1 src1_sel:DWORD
	v_lshlrev_b16_sdwa v4, v152, v4 dst_sel:DWORD dst_unused:UNUSED_PAD src0_sel:DWORD src1_sel:WORD_1
	v_add_u16_e32 v4, 0xf000, v4
	v_or_b32_sdwa v4, v6, v4 dst_sel:DWORD dst_unused:UNUSED_PAD src0_sel:DWORD src1_sel:BYTE_1
	v_add_u16_e32 v5, 0xf000, v5
	v_add_u16_sdwa v4, v4, s22 dst_sel:WORD_1 dst_unused:UNUSED_PAD src0_sel:DWORD src1_sel:DWORD
	v_or_b32_e32 v8, v5, v4
	v_lshrrev_b32_e32 v4, 4, v15
	v_and_b32_e32 v9, 0xf0f0f0f, v4
	v_lshrrev_b32_e32 v4, 12, v3
	v_and_b32_e32 v10, 16, v4
	v_add_co_u32_e32 v4, vcc, s14, v78
	v_addc_co_u32_e32 v5, vcc, v77, v2, vcc
	v_add_co_u32_e32 v6, vcc, s14, v80
	v_addc_co_u32_e32 v7, vcc, v79, v2, vcc
	v_lshrrev_b32_e32 v11, 5, v3
	global_load_dword v14, v[6:7], off
	global_load_dword v15, v[4:5], off offset:6
	v_lshlrev_b32_e32 v5, 2, v3
	v_and_b32_e32 v4, 0x1000, v11
	v_and_b32_e32 v5, 0x100000, v5
	v_lshlrev_b32_e32 v3, 9, v3
	v_and_b32_e32 v3, 0x10000000, v3
	v_or3_b32 v4, v4, v10, v5
	v_or3_b32 v3, v4, v3, v9
	v_lshlrev_b16_e32 v5, 8, v3
	v_and_b32_e32 v4, 0x1f00, v3
	v_add_i16 v5, v5, s22 clamp
	v_or_b32_sdwa v4, v4, v5 dst_sel:DWORD dst_unused:UNUSED_PAD src0_sel:DWORD src1_sel:BYTE_1
	v_and_b32_sdwa v5, v3, s23 dst_sel:DWORD dst_unused:UNUSED_PAD src0_sel:WORD_1 src1_sel:DWORD
	v_add_i16 v5, v5, s22 clamp
	v_lshlrev_b16_sdwa v3, v152, v3 dst_sel:DWORD dst_unused:UNUSED_PAD src0_sel:DWORD src1_sel:WORD_1
	v_and_b32_e32 v5, 0xffffff00, v5
	v_add_i16 v3, v3, s22 clamp
	v_add_u16_e32 v4, 0xf000, v4
	v_or_b32_sdwa v3, v3, v5 dst_sel:WORD_1 dst_unused:UNUSED_PAD src0_sel:BYTE_1 src1_sel:DWORD
	v_or_b32_e32 v3, v4, v3
	ds_write2_b32 v129, v8, v3 offset1:1
	s_waitcnt vmcnt(3)
	v_ashrrev_i32_e32 v3, v117, v12
	v_lshlrev_b32_e32 v5, 4, v3
	v_lshlrev_b32_e32 v6, 11, v3
	s_waitcnt vmcnt(2)
	v_and_b32_e32 v4, 0xf0f0f0f, v13
	v_and_b32_e32 v5, 16, v5
	;; [unrolled: 1-line block ×3, first 2 shown]
	v_or3_b32 v5, v5, v4, v6
	v_lshlrev_b32_e32 v6, 18, v3
	v_lshlrev_b32_e32 v7, 25, v3
	v_and_b32_e32 v6, 0x100000, v6
	v_and_b32_e32 v7, 0x10000000, v7
	v_or3_b32 v4, v4, v6, v7
	v_and_b32_e32 v6, 0x1f00, v5
	v_lshlrev_b16_e32 v5, 8, v5
	v_add_u16_e32 v5, 0xf000, v5
	v_or_b32_sdwa v5, v6, v5 dst_sel:DWORD dst_unused:UNUSED_PAD src0_sel:DWORD src1_sel:BYTE_1
	v_and_b32_sdwa v6, v4, s17 dst_sel:DWORD dst_unused:UNUSED_PAD src0_sel:WORD_1 src1_sel:DWORD
	v_lshlrev_b16_sdwa v4, v152, v4 dst_sel:DWORD dst_unused:UNUSED_PAD src0_sel:DWORD src1_sel:WORD_1
	v_add_u16_e32 v4, 0xf000, v4
	v_or_b32_sdwa v4, v6, v4 dst_sel:DWORD dst_unused:UNUSED_PAD src0_sel:DWORD src1_sel:BYTE_1
	v_add_u16_e32 v5, 0xf000, v5
	v_add_u16_sdwa v4, v4, s22 dst_sel:WORD_1 dst_unused:UNUSED_PAD src0_sel:DWORD src1_sel:DWORD
	v_or_b32_e32 v8, v5, v4
	v_lshrrev_b32_e32 v4, 4, v13
	v_and_b32_e32 v9, 0xf0f0f0f, v4
	v_lshrrev_b32_e32 v4, 12, v3
	v_and_b32_e32 v10, 16, v4
	v_add_co_u32_e32 v4, vcc, s14, v82
	v_addc_co_u32_e32 v5, vcc, v81, v2, vcc
	v_add_co_u32_e32 v6, vcc, s14, v84
	v_addc_co_u32_e32 v7, vcc, v83, v2, vcc
	global_load_dword v12, v[6:7], off
	global_load_dword v13, v[4:5], off offset:6
	v_lshrrev_b32_e32 v11, 5, v3
	v_lshlrev_b32_e32 v5, 2, v3
	v_and_b32_e32 v4, 0x1000, v11
	v_and_b32_e32 v5, 0x100000, v5
	v_lshlrev_b32_e32 v3, 9, v3
	v_and_b32_e32 v3, 0x10000000, v3
	v_or3_b32 v4, v4, v10, v5
	v_or3_b32 v3, v4, v3, v9
	v_lshlrev_b16_e32 v5, 8, v3
	v_and_b32_e32 v4, 0x1f00, v3
	v_add_i16 v5, v5, s22 clamp
	v_or_b32_sdwa v4, v4, v5 dst_sel:DWORD dst_unused:UNUSED_PAD src0_sel:DWORD src1_sel:BYTE_1
	v_and_b32_sdwa v5, v3, s23 dst_sel:DWORD dst_unused:UNUSED_PAD src0_sel:WORD_1 src1_sel:DWORD
	v_add_i16 v5, v5, s22 clamp
	v_lshlrev_b16_sdwa v3, v152, v3 dst_sel:DWORD dst_unused:UNUSED_PAD src0_sel:DWORD src1_sel:WORD_1
	v_and_b32_e32 v5, 0xffffff00, v5
	v_add_i16 v3, v3, s22 clamp
	v_add_u16_e32 v4, 0xf000, v4
	v_or_b32_sdwa v3, v3, v5 dst_sel:WORD_1 dst_unused:UNUSED_PAD src0_sel:BYTE_1 src1_sel:DWORD
	v_or_b32_e32 v3, v4, v3
	ds_write2_b32 v130, v8, v3 offset1:1
	s_waitcnt vmcnt(3)
	v_ashrrev_i32_e32 v3, v117, v14
	v_lshlrev_b32_e32 v5, 4, v3
	v_lshlrev_b32_e32 v6, 11, v3
	s_waitcnt vmcnt(2)
	v_and_b32_e32 v4, 0xf0f0f0f, v15
	v_and_b32_e32 v5, 16, v5
	;; [unrolled: 1-line block ×3, first 2 shown]
	v_or3_b32 v5, v5, v4, v6
	v_lshlrev_b32_e32 v6, 18, v3
	v_lshlrev_b32_e32 v7, 25, v3
	v_and_b32_e32 v6, 0x100000, v6
	v_and_b32_e32 v7, 0x10000000, v7
	v_or3_b32 v4, v4, v6, v7
	v_and_b32_e32 v6, 0x1f00, v5
	v_lshlrev_b16_e32 v5, 8, v5
	v_add_u16_e32 v5, 0xf000, v5
	v_or_b32_sdwa v5, v6, v5 dst_sel:DWORD dst_unused:UNUSED_PAD src0_sel:DWORD src1_sel:BYTE_1
	v_and_b32_sdwa v6, v4, s17 dst_sel:DWORD dst_unused:UNUSED_PAD src0_sel:WORD_1 src1_sel:DWORD
	v_lshlrev_b16_sdwa v4, v152, v4 dst_sel:DWORD dst_unused:UNUSED_PAD src0_sel:DWORD src1_sel:WORD_1
	v_add_u16_e32 v4, 0xf000, v4
	v_or_b32_sdwa v4, v6, v4 dst_sel:DWORD dst_unused:UNUSED_PAD src0_sel:DWORD src1_sel:BYTE_1
	v_add_u16_e32 v5, 0xf000, v5
	v_add_u16_sdwa v4, v4, s22 dst_sel:WORD_1 dst_unused:UNUSED_PAD src0_sel:DWORD src1_sel:DWORD
	v_or_b32_e32 v8, v5, v4
	v_lshrrev_b32_e32 v5, 12, v3
	v_lshrrev_b32_e32 v6, 5, v3
	v_lshlrev_b32_e32 v7, 2, v3
	v_lshrrev_b32_e32 v4, 4, v15
	v_and_b32_e32 v5, 16, v5
	v_and_b32_e32 v6, 0x1000, v6
	;; [unrolled: 1-line block ×3, first 2 shown]
	v_lshlrev_b32_e32 v3, 9, v3
	v_and_b32_e32 v4, 0xf0f0f0f, v4
	v_and_b32_e32 v3, 0x10000000, v3
	v_or3_b32 v5, v6, v5, v7
	v_or3_b32 v3, v5, v3, v4
	v_lshlrev_b16_e32 v4, 8, v3
	v_add_i16 v10, v4, s22 clamp
	v_add_co_u32_e32 v4, vcc, s14, v86
	v_addc_co_u32_e32 v5, vcc, v85, v2, vcc
	v_add_co_u32_e32 v6, vcc, s14, v88
	v_addc_co_u32_e32 v7, vcc, v87, v2, vcc
	global_load_dword v6, v[6:7], off
	s_nop 0
	global_load_dword v7, v[4:5], off offset:6
	v_and_b32_sdwa v5, v3, s23 dst_sel:DWORD dst_unused:UNUSED_PAD src0_sel:WORD_1 src1_sel:DWORD
	v_and_b32_e32 v9, 0x1f00, v3
	v_add_i16 v5, v5, s22 clamp
	v_lshlrev_b16_sdwa v3, v152, v3 dst_sel:DWORD dst_unused:UNUSED_PAD src0_sel:DWORD src1_sel:WORD_1
	v_or_b32_sdwa v4, v9, v10 dst_sel:DWORD dst_unused:UNUSED_PAD src0_sel:DWORD src1_sel:BYTE_1
	v_and_b32_e32 v5, 0xffffff00, v5
	v_add_i16 v3, v3, s22 clamp
	v_add_u16_e32 v4, 0xf000, v4
	v_or_b32_sdwa v3, v3, v5 dst_sel:WORD_1 dst_unused:UNUSED_PAD src0_sel:BYTE_1 src1_sel:DWORD
	v_or_b32_e32 v3, v4, v3
	ds_write2_b32 v131, v8, v3 offset1:1
	s_waitcnt vmcnt(3)
	v_ashrrev_i32_e32 v3, v117, v12
	v_lshlrev_b32_e32 v5, 4, v3
	v_lshlrev_b32_e32 v8, 11, v3
	s_waitcnt vmcnt(2)
	v_and_b32_e32 v4, 0xf0f0f0f, v13
	v_and_b32_e32 v5, 16, v5
	;; [unrolled: 1-line block ×3, first 2 shown]
	v_or3_b32 v5, v5, v4, v8
	v_lshlrev_b32_e32 v8, 18, v3
	v_lshlrev_b32_e32 v9, 25, v3
	v_and_b32_e32 v8, 0x100000, v8
	v_and_b32_e32 v9, 0x10000000, v9
	v_or3_b32 v4, v4, v8, v9
	v_and_b32_e32 v8, 0x1f00, v5
	v_lshlrev_b16_e32 v5, 8, v5
	v_add_u16_e32 v5, 0xf000, v5
	v_or_b32_sdwa v5, v8, v5 dst_sel:DWORD dst_unused:UNUSED_PAD src0_sel:DWORD src1_sel:BYTE_1
	v_add_u16_e32 v8, 0xf000, v5
	v_and_b32_sdwa v5, v4, s17 dst_sel:DWORD dst_unused:UNUSED_PAD src0_sel:WORD_1 src1_sel:DWORD
	v_lshlrev_b16_sdwa v4, v152, v4 dst_sel:DWORD dst_unused:UNUSED_PAD src0_sel:DWORD src1_sel:WORD_1
	v_add_u16_e32 v4, 0xf000, v4
	v_or_b32_sdwa v4, v5, v4 dst_sel:DWORD dst_unused:UNUSED_PAD src0_sel:DWORD src1_sel:BYTE_1
	v_add_u16_sdwa v9, v4, s22 dst_sel:WORD_1 dst_unused:UNUSED_PAD src0_sel:DWORD src1_sel:DWORD
	v_add_co_u32_e32 v4, vcc, s14, v90
	v_addc_co_u32_e32 v5, vcc, v89, v2, vcc
	global_load_ushort v10, v[4:5], off
	v_add_co_u32_e32 v4, vcc, s14, v92
	v_addc_co_u32_e32 v5, vcc, v91, v2, vcc
	global_load_ushort v11, v[4:5], off
	;; [unrolled: 3-line block ×4, first 2 shown]
	v_or_b32_e32 v4, v8, v9
	v_lshrrev_b32_e32 v5, 4, v13
	v_lshrrev_b32_e32 v8, 12, v3
	;; [unrolled: 1-line block ×3, first 2 shown]
	v_lshlrev_b32_e32 v13, 2, v3
	v_and_b32_e32 v8, 16, v8
	v_and_b32_e32 v9, 0x1000, v9
	v_and_b32_e32 v13, 0x100000, v13
	v_lshlrev_b32_e32 v3, 9, v3
	v_and_b32_e32 v5, 0xf0f0f0f, v5
	v_and_b32_e32 v3, 0x10000000, v3
	v_or3_b32 v8, v9, v8, v13
	v_or3_b32 v3, v8, v3, v5
	v_lshlrev_b16_e32 v8, 8, v3
	v_and_b32_e32 v5, 0x1f00, v3
	v_add_i16 v8, v8, s22 clamp
	v_or_b32_sdwa v5, v5, v8 dst_sel:DWORD dst_unused:UNUSED_PAD src0_sel:DWORD src1_sel:BYTE_1
	v_and_b32_sdwa v8, v3, s23 dst_sel:DWORD dst_unused:UNUSED_PAD src0_sel:WORD_1 src1_sel:DWORD
	v_add_i16 v8, v8, s22 clamp
	v_lshlrev_b16_sdwa v3, v152, v3 dst_sel:DWORD dst_unused:UNUSED_PAD src0_sel:DWORD src1_sel:WORD_1
	v_and_b32_e32 v8, 0xffffff00, v8
	v_add_i16 v3, v3, s22 clamp
	v_add_u16_e32 v5, 0xf000, v5
	v_or_b32_sdwa v3, v3, v8 dst_sel:WORD_1 dst_unused:UNUSED_PAD src0_sel:BYTE_1 src1_sel:DWORD
	v_or_b32_e32 v3, v5, v3
	ds_write2_b32 v132, v4, v3 offset1:1
	s_waitcnt vmcnt(5)
	v_ashrrev_i32_e32 v3, v117, v6
	v_lshlrev_b32_e32 v5, 4, v3
	v_lshlrev_b32_e32 v6, 11, v3
	s_waitcnt vmcnt(4)
	v_and_b32_e32 v4, 0xf0f0f0f, v7
	v_and_b32_e32 v5, 16, v5
	;; [unrolled: 1-line block ×3, first 2 shown]
	v_or3_b32 v5, v5, v4, v6
	v_lshlrev_b32_e32 v6, 18, v3
	v_lshlrev_b32_e32 v8, 25, v3
	v_and_b32_e32 v6, 0x100000, v6
	v_and_b32_e32 v8, 0x10000000, v8
	v_or3_b32 v4, v4, v6, v8
	v_and_b32_e32 v6, 0x1f00, v5
	v_lshlrev_b16_e32 v5, 8, v5
	v_add_u16_e32 v5, 0xf000, v5
	v_or_b32_sdwa v5, v6, v5 dst_sel:DWORD dst_unused:UNUSED_PAD src0_sel:DWORD src1_sel:BYTE_1
	v_and_b32_sdwa v6, v4, s17 dst_sel:DWORD dst_unused:UNUSED_PAD src0_sel:WORD_1 src1_sel:DWORD
	v_lshlrev_b16_sdwa v4, v152, v4 dst_sel:DWORD dst_unused:UNUSED_PAD src0_sel:DWORD src1_sel:WORD_1
	v_add_u16_e32 v4, 0xf000, v4
	v_or_b32_sdwa v4, v6, v4 dst_sel:DWORD dst_unused:UNUSED_PAD src0_sel:DWORD src1_sel:BYTE_1
	v_add_u16_e32 v5, 0xf000, v5
	v_add_u16_sdwa v4, v4, s22 dst_sel:WORD_1 dst_unused:UNUSED_PAD src0_sel:DWORD src1_sel:DWORD
	v_or_b32_e32 v4, v5, v4
	v_lshrrev_b32_e32 v5, 4, v7
	v_lshrrev_b32_e32 v6, 12, v3
	;; [unrolled: 1-line block ×3, first 2 shown]
	v_lshlrev_b32_e32 v8, 2, v3
	v_and_b32_e32 v6, 16, v6
	v_and_b32_e32 v7, 0x1000, v7
	;; [unrolled: 1-line block ×3, first 2 shown]
	v_lshlrev_b32_e32 v3, 9, v3
	v_and_b32_e32 v5, 0xf0f0f0f, v5
	v_and_b32_e32 v3, 0x10000000, v3
	v_or3_b32 v6, v7, v6, v8
	v_or3_b32 v3, v6, v3, v5
	v_lshlrev_b16_e32 v6, 8, v3
	v_and_b32_e32 v5, 0x1f00, v3
	v_add_i16 v6, v6, s22 clamp
	v_or_b32_sdwa v5, v5, v6 dst_sel:DWORD dst_unused:UNUSED_PAD src0_sel:DWORD src1_sel:BYTE_1
	v_and_b32_sdwa v6, v3, s23 dst_sel:DWORD dst_unused:UNUSED_PAD src0_sel:WORD_1 src1_sel:DWORD
	v_add_i16 v6, v6, s22 clamp
	v_lshlrev_b16_sdwa v3, v152, v3 dst_sel:DWORD dst_unused:UNUSED_PAD src0_sel:DWORD src1_sel:WORD_1
	v_and_b32_e32 v6, 0xffffff00, v6
	v_add_i16 v3, v3, s22 clamp
	v_add_u16_e32 v5, 0xf000, v5
	v_or_b32_sdwa v3, v3, v6 dst_sel:WORD_1 dst_unused:UNUSED_PAD src0_sel:BYTE_1 src1_sel:DWORD
	v_or_b32_e32 v3, v5, v3
	s_waitcnt vmcnt(3)
	v_cvt_f32_f16_e32 v5, v10
	ds_write2_b32 v133, v4, v3 offset1:1
	s_waitcnt vmcnt(1)
	v_cvt_f32_f16_e32 v3, v12
	v_cvt_f32_f16_e32 v6, v11
	ds_write_b32 v148, v5
	ds_write_b32 v149, v6
	s_waitcnt vmcnt(0)
	v_cvt_f32_f16_e32 v2, v2
	ds_write_b32 v150, v3
	ds_write_b32 v151, v2
	s_cbranch_scc0 .LBB201_5
; %bb.7:                                ;   in Loop: Header=BB201_6 Depth=1
	v_add_u32_e32 v2, s16, v134
	v_cmp_gt_i32_e32 vcc, s9, v2
	s_and_b64 s[24:25], s[2:3], vcc
	s_and_saveexec_b64 s[4:5], s[24:25]
	s_cbranch_execz .LBB201_9
; %bb.8:                                ;   in Loop: Header=BB201_6 Depth=1
	v_add_u32_e32 v2, s16, v147
	v_mad_i64_i32 v[2:3], s[24:25], v2, 36, v[22:23]
	global_load_dword v2, v[2:3], off offset:4
	s_waitcnt vmcnt(0)
	ds_write_b32 v135, v2
.LBB201_9:                              ;   in Loop: Header=BB201_6 Depth=1
	s_or_b64 exec, exec, s[4:5]
	s_and_saveexec_b64 s[4:5], s[0:1]
	s_cbranch_execz .LBB201_12
; %bb.10:                               ;   in Loop: Header=BB201_6 Depth=1
	v_add_u32_e32 v2, s16, v116
	v_cmp_gt_i32_e32 vcc, s9, v2
	s_and_b64 s[24:25], s[2:3], vcc
	s_and_b64 exec, exec, s[24:25]
	s_cbranch_execz .LBB201_12
; %bb.11:                               ;   in Loop: Header=BB201_6 Depth=1
	v_add_u32_e32 v2, s16, v145
	v_mad_i64_i32 v[2:3], s[24:25], v2, 36, s[6:7]
	global_load_dword v2, v[2:3], off
	s_waitcnt vmcnt(0)
	v_cvt_f32_f16_e32 v2, v2
	ds_write_b32 v136, v2
.LBB201_12:                             ;   in Loop: Header=BB201_6 Depth=1
	s_or_b64 exec, exec, s[4:5]
	s_waitcnt lgkmcnt(0)
	s_barrier
	ds_read_b128 v[14:17], v137
	ds_read_b128 v[18:21], v137 offset:16
	ds_read_b128 v[2:5], v138
	ds_read2_b32 v[104:105], v139 offset1:1
	ds_read_b128 v[10:13], v137 offset:32
	ds_read_b128 v[6:9], v137 offset:48
	ds_read2_b32 v[102:103], v140 offset1:1
	ds_read2_b32 v[106:107], v139 offset0:2 offset1:3
	v_mov_b32_e32 v153, 0
	s_waitcnt lgkmcnt(4)
	v_dot4c_i32_i8_e32 v153, v104, v14
	v_dot4c_i32_i8_e32 v153, v105, v18
	ds_read2_b32 v[104:105], v139 offset0:4 offset1:5
	ds_read2_b32 v[108:109], v139 offset0:6 offset1:7
	;; [unrolled: 1-line block ×3, first 2 shown]
	s_waitcnt lgkmcnt(3)
	v_dot4c_i32_i8_e32 v153, v106, v15
	v_dot4c_i32_i8_e32 v153, v107, v19
	s_waitcnt lgkmcnt(2)
	v_dot4c_i32_i8_e32 v153, v104, v16
	v_add_u32_e32 v104, 0x2080, v139
	v_dot4c_i32_i8_e32 v153, v105, v20
	ds_read2_b32 v[112:113], v104 offset1:1
	s_waitcnt lgkmcnt(2)
	v_dot4c_i32_i8_e32 v153, v108, v17
	v_add_u32_e32 v108, 0x2088, v139
	v_dot4c_i32_i8_e32 v153, v109, v21
	ds_read2_b32 v[108:109], v108 offset1:1
	ds_read2_b32 v[106:107], v143 offset0:2 offset1:3
	v_mov_b32_e32 v158, 0
	s_waitcnt lgkmcnt(2)
	v_dot4c_i32_i8_e32 v158, v112, v14
	v_add_u32_e32 v112, 0x2090, v139
	v_add_u32_e32 v114, 0x2098, v139
	;; [unrolled: 1-line block ×3, first 2 shown]
	ds_read2_b32 v[104:105], v141 offset1:1
	v_dot4c_i32_i8_e32 v158, v113, v18
	ds_read2_b32 v[112:113], v112 offset1:1
	ds_read2_b32 v[114:115], v114 offset1:1
	;; [unrolled: 1-line block ×3, first 2 shown]
	s_waitcnt lgkmcnt(5)
	v_dot4c_i32_i8_e32 v158, v108, v15
	v_dot4c_i32_i8_e32 v158, v109, v19
	s_waitcnt lgkmcnt(2)
	v_dot4c_i32_i8_e32 v158, v112, v16
	v_dot4c_i32_i8_e32 v158, v113, v20
	;; [unrolled: 3-line block ×3, first 2 shown]
	v_mov_b32_e32 v156, v102
	v_mov_b32_e32 v102, 0
	;; [unrolled: 1-line block ×3, first 2 shown]
	v_cvt_f32_i32_e32 v171, v158
	v_cvt_f32_i32_e32 v170, v153
	s_waitcnt lgkmcnt(0)
	v_dot4c_i32_i8_e32 v102, v154, v14
	v_add_u32_e32 v104, 0x4108, v139
	v_add_u32_e32 v153, 0x4110, v139
	;; [unrolled: 1-line block ×3, first 2 shown]
	ds_read2_b32 v[162:163], v139 offset0:26 offset1:27
	ds_read2_b32 v[164:165], v139 offset0:28 offset1:29
	;; [unrolled: 1-line block ×3, first 2 shown]
	ds_read2_b32 v[108:109], v142 offset1:1
	ds_read2_b32 v[112:113], v141 offset0:2 offset1:3
	ds_read2_b32 v[114:115], v140 offset0:2 offset1:3
	v_pk_mul_f32 v[168:169], v[2:3], v[156:157] op_sel_hi:[0,1]
	v_dot4c_i32_i8_e32 v102, v155, v18
	ds_read2_b32 v[154:155], v104 offset1:1
	v_add_u32_e32 v104, 0x6180, v139
	ds_read2_b32 v[156:157], v153 offset1:1
	ds_read2_b32 v[158:159], v158 offset1:1
	;; [unrolled: 1-line block ×3, first 2 shown]
	v_mov_b32_e32 v104, 0
	v_add_u32_e32 v153, 0x6198, v139
	s_waitcnt lgkmcnt(3)
	v_dot4c_i32_i8_e32 v102, v154, v15
	v_dot4c_i32_i8_e32 v102, v155, v19
	s_waitcnt lgkmcnt(0)
	v_dot4c_i32_i8_e32 v104, v160, v14
	v_add_u32_e32 v14, 0x6188, v139
	ds_read2_b32 v[154:155], v14 offset1:1
	v_dot4c_i32_i8_e32 v102, v156, v16
	v_dot4c_i32_i8_e32 v102, v157, v20
	;; [unrolled: 1-line block ×4, first 2 shown]
	v_add_u32_e32 v18, 0x6190, v139
	s_waitcnt lgkmcnt(0)
	v_dot4c_i32_i8_e32 v104, v154, v15
	v_dot4c_i32_i8_e32 v102, v159, v21
	v_add_u32_e32 v14, 0x20a0, v139
	ds_read2_b32 v[156:157], v18 offset1:1
	ds_read2_b32 v[158:159], v153 offset1:1
	;; [unrolled: 1-line block ×3, first 2 shown]
	v_dot4c_i32_i8_e32 v104, v155, v19
	ds_read2_b32 v[18:19], v143 offset1:1
	ds_read2_b32 v[14:15], v142 offset0:2 offset1:3
	ds_read2_b32 v[154:155], v139 offset0:10 offset1:11
	s_waitcnt lgkmcnt(5)
	v_dot4c_i32_i8_e32 v104, v156, v16
	v_dot4c_i32_i8_e32 v104, v157, v20
	s_waitcnt lgkmcnt(4)
	v_dot4c_i32_i8_e32 v104, v158, v17
	s_waitcnt lgkmcnt(2)
	v_mov_b32_e32 v17, v18
	v_mov_b32_e32 v18, 0
	v_dot4c_i32_i8_e32 v18, v110, v10
	v_dot4c_i32_i8_e32 v104, v159, v21
	;; [unrolled: 1-line block ×3, first 2 shown]
	ds_read2_b32 v[110:111], v139 offset0:12 offset1:13
	ds_read2_b32 v[156:157], v139 offset0:14 offset1:15
	;; [unrolled: 1-line block ×3, first 2 shown]
	s_waitcnt lgkmcnt(3)
	v_dot4c_i32_i8_e32 v18, v154, v11
	v_dot4c_i32_i8_e32 v18, v155, v7
	v_cvt_f32_i32_e32 v21, v104
	s_waitcnt lgkmcnt(2)
	v_dot4c_i32_i8_e32 v18, v110, v12
	v_add_u32_e32 v104, 0x20a8, v139
	v_dot4c_i32_i8_e32 v18, v111, v8
	ds_read2_b32 v[110:111], v104 offset1:1
	v_cvt_f32_i32_e32 v20, v102
	v_mov_b32_e32 v102, 0
	v_mov_b32_e32 v16, v108
	s_waitcnt lgkmcnt(2)
	v_dot4c_i32_i8_e32 v18, v156, v13
	v_dot4c_i32_i8_e32 v102, v160, v10
	v_add_u32_e32 v108, 0x20b0, v139
	v_dot4c_i32_i8_e32 v18, v157, v9
	v_dot4c_i32_i8_e32 v102, v161, v6
	v_add_u32_e32 v153, 0x20b8, v139
	v_add_u32_e32 v104, 0x4120, v139
	ds_read2_b32 v[154:155], v108 offset1:1
	ds_read2_b32 v[156:157], v153 offset1:1
	;; [unrolled: 1-line block ×3, first 2 shown]
	s_waitcnt lgkmcnt(3)
	v_dot4c_i32_i8_e32 v102, v110, v11
	v_dot4c_i32_i8_e32 v102, v111, v7
	s_waitcnt lgkmcnt(2)
	v_dot4c_i32_i8_e32 v102, v154, v12
	v_dot4c_i32_i8_e32 v102, v155, v8
	v_mov_b32_e32 v108, 0
	s_waitcnt lgkmcnt(1)
	v_dot4c_i32_i8_e32 v102, v156, v13
	s_waitcnt lgkmcnt(0)
	v_dot4c_i32_i8_e32 v108, v160, v10
	v_add_u32_e32 v104, 0x4128, v139
	v_add_u32_e32 v153, 0x4130, v139
	;; [unrolled: 1-line block ×3, first 2 shown]
	v_dot4c_i32_i8_e32 v102, v157, v9
	v_dot4c_i32_i8_e32 v108, v161, v6
	ds_read2_b32 v[110:111], v104 offset1:1
	v_add_u32_e32 v104, 0x61a0, v139
	ds_read2_b32 v[154:155], v153 offset1:1
	ds_read2_b32 v[156:157], v156 offset1:1
	;; [unrolled: 1-line block ×3, first 2 shown]
	v_mov_b32_e32 v153, 0
	v_add_u32_e32 v104, 0x61b8, v139
	s_waitcnt lgkmcnt(3)
	v_dot4c_i32_i8_e32 v108, v110, v11
	v_dot4c_i32_i8_e32 v108, v111, v7
	s_waitcnt lgkmcnt(0)
	v_dot4c_i32_i8_e32 v153, v160, v10
	v_dot4c_i32_i8_e32 v153, v161, v6
	v_add_u32_e32 v6, 0x61a8, v139
	ds_read2_b32 v[110:111], v6 offset1:1
	v_dot4c_i32_i8_e32 v108, v154, v12
	v_add_u32_e32 v10, 0x61b0, v139
	v_dot4c_i32_i8_e32 v108, v155, v8
	v_add_u32_e32 v6, 0x20c0, v139
	ds_read2_b32 v[154:155], v10 offset1:1
	ds_read2_b32 v[160:161], v104 offset1:1
	ds_read2_b32 v[172:173], v6 offset1:1
	s_waitcnt lgkmcnt(3)
	v_dot4c_i32_i8_e32 v153, v110, v11
	v_dot4c_i32_i8_e32 v153, v111, v7
	;; [unrolled: 1-line block ×3, first 2 shown]
	s_waitcnt lgkmcnt(2)
	v_dot4c_i32_i8_e32 v153, v154, v12
	v_dot4c_i32_i8_e32 v108, v157, v9
	;; [unrolled: 1-line block ×3, first 2 shown]
	ds_read_b128 v[154:157], v137 offset:64
	s_waitcnt lgkmcnt(2)
	v_dot4c_i32_i8_e32 v153, v160, v13
	ds_read_b128 v[10:13], v137 offset:80
	ds_read2_b32 v[6:7], v139 offset0:18 offset1:19
	v_mov_b32_e32 v176, 0
	s_waitcnt lgkmcnt(2)
	v_dot4c_i32_i8_e32 v176, v158, v154
	v_dot4c_i32_i8_e32 v153, v161, v9
	s_waitcnt lgkmcnt(1)
	v_dot4c_i32_i8_e32 v176, v159, v10
	ds_read2_b32 v[8:9], v139 offset0:20 offset1:21
	ds_read2_b32 v[110:111], v139 offset0:22 offset1:23
	ds_read2_b32 v[174:175], v139 offset0:24 offset1:25
	s_waitcnt lgkmcnt(3)
	v_dot4c_i32_i8_e32 v176, v6, v155
	v_add_u32_e32 v6, 0x20c8, v139
	v_dot4c_i32_i8_e32 v176, v7, v11
	ds_read2_b32 v[6:7], v6 offset1:1
	s_waitcnt lgkmcnt(3)
	v_dot4c_i32_i8_e32 v176, v8, v156
	v_dot4c_i32_i8_e32 v176, v9, v12
	v_mov_b32_e32 v177, 0
	s_waitcnt lgkmcnt(2)
	v_dot4c_i32_i8_e32 v176, v110, v157
	v_dot4c_i32_i8_e32 v177, v172, v154
	v_add_u32_e32 v8, 0x20d0, v139
	v_add_u32_e32 v158, 0x4140, v139
	v_dot4c_i32_i8_e32 v176, v111, v13
	v_dot4c_i32_i8_e32 v177, v173, v10
	v_add_u32_e32 v104, 0x20d8, v139
	ds_read2_b32 v[8:9], v8 offset1:1
	ds_read2_b32 v[110:111], v104 offset1:1
	;; [unrolled: 1-line block ×3, first 2 shown]
	s_waitcnt lgkmcnt(3)
	v_dot4c_i32_i8_e32 v177, v6, v155
	v_add_u32_e32 v6, 0x4148, v139
	v_dot4c_i32_i8_e32 v177, v7, v11
	ds_read2_b32 v[6:7], v6 offset1:1
	s_waitcnt lgkmcnt(3)
	v_dot4c_i32_i8_e32 v177, v8, v156
	v_dot4c_i32_i8_e32 v177, v9, v12
	v_mov_b32_e32 v178, 0
	s_waitcnt lgkmcnt(2)
	v_dot4c_i32_i8_e32 v177, v110, v157
	s_waitcnt lgkmcnt(1)
	v_dot4c_i32_i8_e32 v178, v158, v154
	v_add_u32_e32 v8, 0x4150, v139
	v_add_u32_e32 v158, 0x61c0, v139
	v_dot4c_i32_i8_e32 v177, v111, v13
	v_dot4c_i32_i8_e32 v178, v159, v10
	v_add_u32_e32 v104, 0x4158, v139
	ds_read2_b32 v[8:9], v8 offset1:1
	ds_read2_b32 v[110:111], v104 offset1:1
	;; [unrolled: 1-line block ×3, first 2 shown]
	s_waitcnt lgkmcnt(3)
	v_dot4c_i32_i8_e32 v178, v6, v155
	v_add_u32_e32 v6, 0x61c8, v139
	v_dot4c_i32_i8_e32 v178, v7, v11
	ds_read2_b32 v[6:7], v6 offset1:1
	s_waitcnt lgkmcnt(3)
	v_dot4c_i32_i8_e32 v178, v8, v156
	v_dot4c_i32_i8_e32 v178, v9, v12
	v_mov_b32_e32 v179, 0
	s_waitcnt lgkmcnt(2)
	v_dot4c_i32_i8_e32 v178, v110, v157
	s_waitcnt lgkmcnt(1)
	v_dot4c_i32_i8_e32 v179, v158, v154
	v_add_u32_e32 v8, 0x61d0, v139
	v_dot4c_i32_i8_e32 v178, v111, v13
	v_dot4c_i32_i8_e32 v179, v159, v10
	v_add_u32_e32 v10, 0x61d8, v139
	v_add_u32_e32 v104, 0x20e0, v139
	ds_read2_b32 v[8:9], v8 offset1:1
	ds_read2_b32 v[110:111], v10 offset1:1
	;; [unrolled: 1-line block ×3, first 2 shown]
	s_waitcnt lgkmcnt(3)
	v_dot4c_i32_i8_e32 v179, v6, v155
	v_dot4c_i32_i8_e32 v179, v7, v11
	s_waitcnt lgkmcnt(2)
	v_dot4c_i32_i8_e32 v179, v8, v156
	v_dot4c_i32_i8_e32 v179, v9, v12
	ds_read_b128 v[6:9], v137 offset:96
	ds_read_b128 v[158:161], v137 offset:112
	v_add_u32_e32 v10, 0x20e8, v139
	ds_read2_b32 v[10:11], v10 offset1:1
	s_waitcnt lgkmcnt(4)
	v_dot4c_i32_i8_e32 v179, v110, v157
	v_mov_b32_e32 v157, 0
	s_waitcnt lgkmcnt(2)
	v_dot4c_i32_i8_e32 v157, v172, v6
	s_waitcnt lgkmcnt(1)
	v_dot4c_i32_i8_e32 v157, v173, v158
	v_add_u32_e32 v12, 0x20f0, v139
	v_add_u32_e32 v154, 0x4160, v139
	v_dot4c_i32_i8_e32 v179, v111, v13
	v_mov_b32_e32 v156, 0
	v_add_u32_e32 v104, 0x20f8, v139
	ds_read2_b32 v[12:13], v12 offset1:1
	ds_read2_b32 v[110:111], v104 offset1:1
	;; [unrolled: 1-line block ×3, first 2 shown]
	s_waitcnt lgkmcnt(3)
	v_dot4c_i32_i8_e32 v157, v10, v7
	v_dot4c_i32_i8_e32 v156, v174, v6
	;; [unrolled: 1-line block ×3, first 2 shown]
	v_cvt_f32_i32_e32 v11, v102
	v_cvt_f32_i32_e32 v10, v18
	v_dot4c_i32_i8_e32 v156, v175, v158
	v_dot4c_i32_i8_e32 v156, v162, v7
	s_waitcnt lgkmcnt(2)
	v_dot4c_i32_i8_e32 v157, v12, v8
	v_mov_b32_e32 v104, v103
	v_dot4c_i32_i8_e32 v156, v163, v159
	v_dot4c_i32_i8_e32 v157, v13, v160
	v_pk_fma_f32 v[12:13], v[168:169], v[170:171], v[98:99]
	v_pk_mul_f32 v[98:99], v[2:3], v[104:105] op_sel:[1,0]
	v_dot4c_i32_i8_e32 v156, v164, v8
	v_pk_fma_f32 v[10:11], v[98:99], v[10:11], v[12:13]
	v_cvt_f32_i32_e32 v13, v177
	v_cvt_f32_i32_e32 v12, v176
	v_dot4c_i32_i8_e32 v156, v165, v160
	v_dot4c_i32_i8_e32 v156, v166, v9
	s_waitcnt lgkmcnt(1)
	v_dot4c_i32_i8_e32 v157, v110, v9
	v_mov_b32_e32 v98, v114
	v_mov_b32_e32 v99, v112
	v_dot4c_i32_i8_e32 v156, v167, v161
	v_dot4c_i32_i8_e32 v157, v111, v161
	v_pk_mul_f32 v[98:99], v[4:5], v[98:99] op_sel_hi:[0,1]
	v_pk_fma_f32 v[10:11], v[98:99], v[12:13], v[10:11]
	v_cvt_f32_i32_e32 v12, v156
	v_cvt_f32_i32_e32 v13, v157
	v_mov_b32_e32 v102, v5
	v_mov_b32_e32 v112, v115
	v_pk_mul_f32 v[98:99], v[102:103], v[112:113] op_sel_hi:[0,1]
	v_add_u32_e32 v5, 0x4168, v139
	v_pk_fma_f32 v[98:99], v[98:99], v[12:13], v[10:11]
	ds_read2_b32 v[10:11], v5 offset1:1
	v_mov_b32_e32 v103, 0
	s_waitcnt lgkmcnt(1)
	v_dot4c_i32_i8_e32 v103, v154, v6
	v_add_u32_e32 v12, 0x4170, v139
	v_dot4c_i32_i8_e32 v103, v155, v158
	v_add_u32_e32 v18, 0x4178, v139
	v_add_u32_e32 v5, 0x61e0, v139
	ds_read2_b32 v[12:13], v12 offset1:1
	ds_read2_b32 v[104:105], v18 offset1:1
	;; [unrolled: 1-line block ×3, first 2 shown]
	s_waitcnt lgkmcnt(3)
	v_dot4c_i32_i8_e32 v103, v10, v7
	v_add_u32_e32 v5, 0x61e8, v139
	v_dot4c_i32_i8_e32 v103, v11, v159
	ds_read2_b32 v[10:11], v5 offset1:1
	s_waitcnt lgkmcnt(3)
	v_dot4c_i32_i8_e32 v103, v12, v8
	v_add_u32_e32 v5, 0x61f0, v139
	v_dot4c_i32_i8_e32 v103, v13, v160
	v_mov_b32_e32 v112, 0
	ds_read2_b32 v[12:13], v5 offset1:1
	s_waitcnt lgkmcnt(3)
	v_dot4c_i32_i8_e32 v103, v104, v9
	s_waitcnt lgkmcnt(2)
	v_dot4c_i32_i8_e32 v112, v110, v6
	v_add_u32_e32 v5, 0x61f8, v139
	v_dot4c_i32_i8_e32 v103, v105, v161
	v_dot4c_i32_i8_e32 v112, v111, v158
	ds_read2_b32 v[104:105], v5 offset1:1
	s_waitcnt lgkmcnt(2)
	v_dot4c_i32_i8_e32 v112, v10, v7
	v_dot4c_i32_i8_e32 v112, v11, v159
	v_cvt_f32_i32_e32 v7, v153
	v_cvt_f32_i32_e32 v6, v108
	s_waitcnt lgkmcnt(1)
	v_dot4c_i32_i8_e32 v112, v12, v8
	v_pk_mul_f32 v[16:17], v[2:3], v[16:17] op_sel_hi:[0,1]
	v_dot4c_i32_i8_e32 v112, v13, v160
	v_mov_b32_e32 v18, v109
	s_waitcnt lgkmcnt(0)
	v_dot4c_i32_i8_e32 v112, v104, v9
	v_pk_fma_f32 v[8:9], v[16:17], v[20:21], v[100:101]
	v_pk_mul_f32 v[2:3], v[2:3], v[18:19] op_sel:[1,0]
	v_dot4c_i32_i8_e32 v112, v105, v161
	v_pk_fma_f32 v[2:3], v[2:3], v[6:7], v[8:9]
	v_mov_b32_e32 v6, v14
	v_mov_b32_e32 v7, v106
	v_cvt_f32_i32_e32 v9, v179
	v_cvt_f32_i32_e32 v8, v178
	v_pk_mul_f32 v[4:5], v[4:5], v[6:7] op_sel_hi:[0,1]
	v_cvt_f32_i32_e32 v7, v112
	v_cvt_f32_i32_e32 v6, v103
	v_mov_b32_e32 v106, v15
	v_pk_fma_f32 v[2:3], v[4:5], v[8:9], v[2:3]
	v_pk_mul_f32 v[4:5], v[102:103], v[106:107] op_sel_hi:[0,1]
	v_pk_fma_f32 v[100:101], v[4:5], v[6:7], v[2:3]
	s_cmp_ge_i32 s21, s15
	s_barrier
	s_cbranch_scc1 .LBB201_5
; %bb.13:                               ;   in Loop: Header=BB201_6 Depth=1
	v_add_u32_e32 v2, s16, v144
	v_cmp_gt_i32_e32 vcc, s9, v2
	s_and_b64 s[24:25], s[2:3], vcc
	s_and_saveexec_b64 s[4:5], s[24:25]
	s_cbranch_execz .LBB201_15
; %bb.14:                               ;   in Loop: Header=BB201_6 Depth=1
	v_add_u32_e32 v2, s16, v146
	v_mad_i64_i32 v[2:3], s[24:25], v2, 36, v[22:23]
	global_load_dword v2, v[2:3], off offset:4
	s_waitcnt vmcnt(0)
	ds_write_b32 v135, v2
.LBB201_15:                             ;   in Loop: Header=BB201_6 Depth=1
	s_or_b64 exec, exec, s[4:5]
	s_and_saveexec_b64 s[4:5], s[0:1]
	s_cbranch_execz .LBB201_4
; %bb.16:                               ;   in Loop: Header=BB201_6 Depth=1
	v_add3_u32 v2, v116, s16, 4
	v_cmp_gt_i32_e32 vcc, s9, v2
	s_and_b64 s[24:25], s[2:3], vcc
	s_and_b64 exec, exec, s[24:25]
	s_cbranch_execz .LBB201_4
; %bb.17:                               ;   in Loop: Header=BB201_6 Depth=1
	global_load_dword v2, v[24:25], off
	s_waitcnt vmcnt(0)
	v_cvt_f32_f16_e32 v2, v2
	ds_write_b32 v136, v2
	s_branch .LBB201_4
.LBB201_18:
	v_mov_b32_e32 v2, 0
	s_mul_i32 s0, s11, s8
	s_waitcnt vmcnt(0)
	v_cmp_gt_i32_e32 vcc, s0, v97
	s_and_saveexec_b64 s[0:1], vcc
	s_cbranch_execnz .LBB201_21
.LBB201_19:
	s_endpgm
.LBB201_20:
	v_cvt_f16_f32_e32 v1, v99
	v_cvt_f16_f32_e32 v2, v98
	;; [unrolled: 1-line block ×4, first 2 shown]
	v_pack_b32_f16 v2, v2, v1
	v_pack_b32_f16 v3, v4, v3
	s_mul_i32 s0, s11, s8
	v_cmp_gt_i32_e32 vcc, s0, v97
	s_and_saveexec_b64 s[0:1], vcc
	s_cbranch_execz .LBB201_19
.LBB201_21:
	v_and_b32_e32 v0, 0x3ff, v0
	v_add_u32_e32 v1, s18, v0
	v_mul_lo_u32 v0, v97, s10
	v_cmp_gt_u32_e32 vcc, s10, v1
	s_and_saveexec_b64 s[0:1], vcc
	s_cbranch_execz .LBB201_23
; %bb.22:
	v_add_u32_e32 v4, v0, v1
	v_mov_b32_e32 v5, 0
	v_lshlrev_b64 v[4:5], 1, v[4:5]
	v_mov_b32_e32 v6, s13
	v_add_co_u32_e32 v4, vcc, s12, v4
	v_addc_co_u32_e32 v5, vcc, v6, v5, vcc
	global_store_short v[4:5], v2, off
.LBB201_23:
	s_or_b64 exec, exec, s[0:1]
	v_add_u32_e32 v4, 32, v1
	v_cmp_gt_u32_e32 vcc, s10, v4
	s_and_saveexec_b64 s[0:1], vcc
	s_cbranch_execz .LBB201_25
; %bb.24:
	v_add_u32_e32 v4, v0, v4
	v_mov_b32_e32 v5, 0
	v_lshlrev_b64 v[4:5], 1, v[4:5]
	v_mov_b32_e32 v6, s13
	v_add_co_u32_e32 v4, vcc, s12, v4
	v_addc_co_u32_e32 v5, vcc, v6, v5, vcc
	global_store_short_d16_hi v[4:5], v2, off
.LBB201_25:
	s_or_b64 exec, exec, s[0:1]
	v_add_u32_e32 v2, 64, v1
	v_cmp_gt_u32_e32 vcc, s10, v2
	s_and_saveexec_b64 s[0:1], vcc
	s_cbranch_execz .LBB201_27
; %bb.26:
	v_add_u32_e32 v4, v0, v2
	v_mov_b32_e32 v5, 0
	v_lshlrev_b64 v[4:5], 1, v[4:5]
	v_mov_b32_e32 v2, s13
	v_add_co_u32_e32 v4, vcc, s12, v4
	v_addc_co_u32_e32 v5, vcc, v2, v5, vcc
	global_store_short v[4:5], v3, off
.LBB201_27:
	s_or_b64 exec, exec, s[0:1]
	v_add_u32_e32 v1, 0x60, v1
	v_cmp_gt_u32_e32 vcc, s10, v1
	s_and_b64 exec, exec, vcc
	s_cbranch_execz .LBB201_19
; %bb.28:
	v_add_u32_e32 v0, v0, v1
	v_mov_b32_e32 v1, 0
	v_lshlrev_b64 v[0:1], 1, v[0:1]
	v_mov_b32_e32 v2, s13
	v_add_co_u32_e32 v0, vcc, s12, v0
	v_addc_co_u32_e32 v1, vcc, v2, v1, vcc
	global_store_short_d16_hi v[0:1], v3, off
	s_endpgm
	.section	.rodata,"a",@progbits
	.p2align	6, 0x0
	.amdhsa_kernel _ZL8moe_q5_0IN3c104HalfELb0EEvPKvS3_PT_PKiS7_S7_iiiiiii
		.amdhsa_group_segment_fixed_size 38656
		.amdhsa_private_segment_fixed_size 0
		.amdhsa_kernarg_size 76
		.amdhsa_user_sgpr_count 6
		.amdhsa_user_sgpr_private_segment_buffer 1
		.amdhsa_user_sgpr_dispatch_ptr 0
		.amdhsa_user_sgpr_queue_ptr 0
		.amdhsa_user_sgpr_kernarg_segment_ptr 1
		.amdhsa_user_sgpr_dispatch_id 0
		.amdhsa_user_sgpr_flat_scratch_init 0
		.amdhsa_user_sgpr_kernarg_preload_length 0
		.amdhsa_user_sgpr_kernarg_preload_offset 0
		.amdhsa_user_sgpr_private_segment_size 0
		.amdhsa_uses_dynamic_stack 0
		.amdhsa_system_sgpr_private_segment_wavefront_offset 0
		.amdhsa_system_sgpr_workgroup_id_x 1
		.amdhsa_system_sgpr_workgroup_id_y 1
		.amdhsa_system_sgpr_workgroup_id_z 0
		.amdhsa_system_sgpr_workgroup_info 0
		.amdhsa_system_vgpr_workitem_id 1
		.amdhsa_next_free_vgpr 180
		.amdhsa_next_free_sgpr 26
		.amdhsa_accum_offset 180
		.amdhsa_reserve_vcc 1
		.amdhsa_reserve_flat_scratch 0
		.amdhsa_float_round_mode_32 0
		.amdhsa_float_round_mode_16_64 0
		.amdhsa_float_denorm_mode_32 3
		.amdhsa_float_denorm_mode_16_64 3
		.amdhsa_dx10_clamp 1
		.amdhsa_ieee_mode 1
		.amdhsa_fp16_overflow 0
		.amdhsa_tg_split 0
		.amdhsa_exception_fp_ieee_invalid_op 0
		.amdhsa_exception_fp_denorm_src 0
		.amdhsa_exception_fp_ieee_div_zero 0
		.amdhsa_exception_fp_ieee_overflow 0
		.amdhsa_exception_fp_ieee_underflow 0
		.amdhsa_exception_fp_ieee_inexact 0
		.amdhsa_exception_int_div_zero 0
	.end_amdhsa_kernel
	.section	.text._ZL8moe_q5_0IN3c104HalfELb0EEvPKvS3_PT_PKiS7_S7_iiiiiii,"axG",@progbits,_ZL8moe_q5_0IN3c104HalfELb0EEvPKvS3_PT_PKiS7_S7_iiiiiii,comdat
.Lfunc_end201:
	.size	_ZL8moe_q5_0IN3c104HalfELb0EEvPKvS3_PT_PKiS7_S7_iiiiiii, .Lfunc_end201-_ZL8moe_q5_0IN3c104HalfELb0EEvPKvS3_PT_PKiS7_S7_iiiiiii
                                        ; -- End function
	.section	.AMDGPU.csdata,"",@progbits
; Kernel info:
; codeLenInByte = 12848
; NumSgprs: 30
; NumVgprs: 180
; NumAgprs: 0
; TotalNumVgprs: 180
; ScratchSize: 0
; MemoryBound: 0
; FloatMode: 240
; IeeeMode: 1
; LDSByteSize: 38656 bytes/workgroup (compile time only)
; SGPRBlocks: 3
; VGPRBlocks: 22
; NumSGPRsForWavesPerEU: 30
; NumVGPRsForWavesPerEU: 180
; AccumOffset: 180
; Occupancy: 1
; WaveLimiterHint : 1
; COMPUTE_PGM_RSRC2:SCRATCH_EN: 0
; COMPUTE_PGM_RSRC2:USER_SGPR: 6
; COMPUTE_PGM_RSRC2:TRAP_HANDLER: 0
; COMPUTE_PGM_RSRC2:TGID_X_EN: 1
; COMPUTE_PGM_RSRC2:TGID_Y_EN: 1
; COMPUTE_PGM_RSRC2:TGID_Z_EN: 0
; COMPUTE_PGM_RSRC2:TIDIG_COMP_CNT: 1
; COMPUTE_PGM_RSRC3_GFX90A:ACCUM_OFFSET: 44
; COMPUTE_PGM_RSRC3_GFX90A:TG_SPLIT: 0
	.section	.text._ZL8moe_q5_0IN3c104HalfELb1EEvPKvS3_PT_PKiS7_S7_iiiiiii,"axG",@progbits,_ZL8moe_q5_0IN3c104HalfELb1EEvPKvS3_PT_PKiS7_S7_iiiiiii,comdat
	.globl	_ZL8moe_q5_0IN3c104HalfELb1EEvPKvS3_PT_PKiS7_S7_iiiiiii ; -- Begin function _ZL8moe_q5_0IN3c104HalfELb1EEvPKvS3_PT_PKiS7_S7_iiiiiii
	.p2align	8
	.type	_ZL8moe_q5_0IN3c104HalfELb1EEvPKvS3_PT_PKiS7_S7_iiiiiii,@function
_ZL8moe_q5_0IN3c104HalfELb1EEvPKvS3_PT_PKiS7_S7_iiiiiii: ; @_ZL8moe_q5_0IN3c104HalfELb1EEvPKvS3_PT_PKiS7_S7_iiiiiii
; %bb.0:
	s_load_dwordx4 s[0:3], s[4:5], 0x18
	s_mov_b32 s8, s7
	s_mov_b32 s9, 0
	s_lshl_b64 s[10:11], s[8:9], 2
	s_waitcnt lgkmcnt(0)
	s_add_u32 s2, s2, s10
	s_addc_u32 s3, s3, s11
	s_load_dword s2, s[2:3], 0x0
	s_waitcnt lgkmcnt(0)
	s_cmpk_gt_u32 s2, 0xff
	s_cbranch_scc1 .LBB202_19
; %bb.1:
	s_load_dwordx2 s[10:11], s[4:5], 0x28
	s_lshl_b32 s3, s8, 3
	s_waitcnt lgkmcnt(0)
	s_load_dword s7, s[10:11], 0x0
	s_waitcnt lgkmcnt(0)
	s_cmp_gt_u32 s3, s7
	s_cbranch_scc1 .LBB202_19
; %bb.2:
	v_bfe_u32 v1, v0, 10, 10
	v_add_u32_e32 v2, s3, v1
	v_mov_b32_e32 v3, 0
	v_lshlrev_b64 v[4:5], 2, v[2:3]
	v_mov_b32_e32 v2, s1
	v_add_co_u32_e32 v4, vcc, s0, v4
	v_addc_co_u32_e32 v5, vcc, v2, v5, vcc
	global_load_dword v97, v[4:5], off
	s_load_dwordx8 s[8:15], s[4:5], 0x30
	s_load_dwordx2 s[16:17], s[4:5], 0x10
	s_waitcnt lgkmcnt(0)
	s_lshl_b32 s15, s6, 7
	s_cmp_lt_i32 s9, 32
	s_cbranch_scc1 .LBB202_18
; %bb.3:
	s_ashr_i32 s0, s9, 31
	s_lshr_b32 s0, s0, 27
	s_add_i32 s0, s9, s0
	s_ashr_i32 s20, s0, 5
	s_ashr_i32 s0, s12, 31
	s_lshr_b32 s0, s0, 27
	s_add_i32 s0, s12, s0
	s_ashr_i32 s12, s0, 5
	s_not_b32 s0, s15
	s_mul_i32 s8, s2, s8
	s_add_i32 s2, s0, s10
	v_and_b32_e32 v99, 0x3ff, v0
	v_lshlrev_b32_e32 v3, 2, v99
	v_min_i32_e32 v5, s2, v1
	v_lshlrev_b32_e32 v2, 3, v99
	s_movk_i32 s3, 0x104
	v_mul_lo_u32 v6, v5, s20
	v_mad_u64_u32 v[22:23], s[0:1], v5, s3, v[2:3]
	v_add_u32_e32 v5, 8, v1
	v_min_i32_e32 v5, s2, v5
	v_mul_lo_u32 v7, v5, s20
	v_mad_u64_u32 v[24:25], s[0:1], v5, s3, v[2:3]
	v_add_u32_e32 v5, 16, v1
	v_min_i32_e32 v5, s2, v5
	;; [unrolled: 4-line block ×15, first 2 shown]
	v_mad_u64_u32 v[52:53], s[0:1], v5, s3, v[2:3]
	v_lshlrev_b32_e32 v2, 2, v1
	v_lshrrev_b32_e32 v103, 3, v99
	v_mul_lo_u32 v21, v5, s20
	v_add_u32_e32 v5, v103, v2
	v_min_i32_e32 v23, s2, v5
	v_ashrrev_i32_e32 v25, 31, v23
	v_lshrrev_b32_e32 v25, 30, v25
	v_and_b32_e32 v95, 7, v99
	v_mul_lo_u32 v89, v23, s20
	v_add_u32_e32 v25, v23, v25
	v_lshlrev_b32_e32 v133, 5, v23
	v_add_u32_e32 v23, 32, v5
	v_and_b32_e32 v25, -4, v25
	v_lshlrev_b32_e32 v27, 2, v95
	s_mov_b32 s3, 0x8200
	v_min_i32_e32 v23, s2, v23
	v_add3_u32 v132, v25, v27, s3
	v_ashrrev_i32_e32 v25, 31, v23
	v_lshrrev_b32_e32 v25, 30, v25
	v_mul_lo_u32 v91, v23, s20
	v_add_u32_e32 v25, v23, v25
	v_lshlrev_b32_e32 v135, 5, v23
	v_add_u32_e32 v23, 64, v5
	s_load_dwordx4 s[4:7], s[4:5], 0x0
	v_and_b32_e32 v25, -4, v25
	v_min_i32_e32 v23, s2, v23
	v_add3_u32 v134, v25, v27, s3
	v_ashrrev_i32_e32 v25, 31, v23
	v_add_u32_e32 v5, 0x60, v5
	v_lshrrev_b32_e32 v25, 30, v25
	v_min_i32_e32 v5, s2, v5
	v_mul_lo_u32 v93, v23, s20
	v_add_u32_e32 v25, v23, v25
	v_lshlrev_b32_e32 v137, 5, v23
	v_ashrrev_i32_e32 v23, 31, v5
	v_and_b32_e32 v101, 12, v3
	v_lshrrev_b32_e32 v23, 30, v23
	v_and_b32_e32 v3, 28, v3
	v_mul_lo_u32 v128, v5, s20
	v_add_u32_e32 v23, v5, v23
	v_lshlrev_b32_e32 v139, 5, v5
	v_and_b32_e32 v5, 31, v99
	s_waitcnt lgkmcnt(0)
	v_add_co_u32_e32 v54, vcc, s6, v3
	v_lshlrev_b32_e32 v3, 7, v1
	v_lshl_or_b32 v5, v5, 2, v3
	v_add_u32_e32 v105, 0x9280, v5
	v_or_b32_e32 v2, v2, v99
	v_mov_b32_e32 v5, 0x9680
	v_lshl_add_u32 v107, v2, 2, v5
	v_lshl_add_u32 v111, v1, 4, v5
	v_and_b32_e32 v1, 0xfc, v99
	v_lshlrev_b32_e32 v2, 5, v99
	v_add3_u32 v115, v2, v1, s3
	v_add_u32_e32 v1, 32, v99
	v_add_u32_e32 v109, 0x9280, v3
	v_and_b32_e32 v2, 0x1fc, v1
	v_lshlrev_b32_e32 v3, 5, v1
	v_add3_u32 v117, v3, v2, s3
	v_add_u32_e32 v2, 64, v99
	v_and_b32_e32 v3, 0x1fc, v2
	v_lshlrev_b32_e32 v2, 5, v2
	s_abs_i32 s2, s14
	v_add3_u32 v119, v2, v3, s3
	v_cvt_f32_u32_e32 v3, s2
	v_add_u32_e32 v2, 0x60, v99
	v_and_b32_e32 v5, 0x1fc, v2
	v_lshlrev_b32_e32 v2, 5, v2
	v_add3_u32 v121, v2, v5, s3
	v_rcp_iflag_f32_e32 v2, v3
	v_and_b32_e32 v25, -4, v25
	v_and_b32_e32 v23, -4, v23
	v_add3_u32 v136, v25, v27, s3
	v_mul_f32_e32 v2, 0x4f7ffffe, v2
	v_cvt_u32_f32_e32 v2, v2
	v_add3_u32 v138, v23, v27, s3
	s_sub_i32 s3, 0, s2
	s_waitcnt vmcnt(0)
	v_sub_u32_e32 v3, 0, v97
	v_mul_lo_u32 v5, s3, v2
	v_mul_hi_u32 v5, v2, v5
	v_max_i32_e32 v3, v97, v3
	v_add_u32_e32 v2, v2, v5
	v_mul_hi_u32 v2, v3, v2
	v_mov_b32_e32 v23, s7
	v_mul_lo_u32 v5, v2, s2
	v_addc_co_u32_e32 v55, vcc, 0, v23, vcc
	v_sub_u32_e32 v3, v3, v5
	v_add_u32_e32 v5, 1, v2
	v_cmp_le_u32_e32 vcc, s2, v3
	v_cndmask_b32_e32 v2, v2, v5, vcc
	v_subrev_u32_e32 v5, s2, v3
	v_cndmask_b32_e32 v3, v3, v5, vcc
	v_lshrrev_b32_e32 v123, 3, v1
	v_xor_b32_e32 v1, s14, v97
	v_add_u32_e32 v5, 1, v2
	v_cmp_le_u32_e32 vcc, s2, v3
	v_ashrrev_i32_e32 v1, 31, v1
	v_cndmask_b32_e32 v2, v2, v5, vcc
	v_xor_b32_e32 v2, v2, v1
	v_sub_u32_e32 v1, v2, v1
	v_cmp_gt_i32_e64 s[2:3], s11, v1
	v_mul_lo_u32 v1, v1, s12
	v_ashrrev_i32_e32 v2, 31, v1
	v_add_co_u32_e32 v3, vcc, v1, v99
	s_mul_i32 s19, s20, s15
	v_addc_co_u32_e32 v5, vcc, 0, v2, vcc
	v_mad_u64_u32 v[2:3], s[22:23], v3, 36, s[6:7]
	s_movk_i32 s10, 0x90
	v_mad_i32_i24 v3, v5, 36, v3
	v_add_co_u32_e32 v56, vcc, s10, v2
	s_mul_hi_i32 s10, s19, 22
	s_mul_i32 s22, s19, 22
	v_lshrrev_b32_e32 v4, 2, v99
	v_addc_co_u32_e32 v57, vcc, 0, v3, vcc
	v_mov_b32_e32 v2, s22
	v_mov_b32_e32 v3, s10
	v_mad_u64_u32 v[2:3], s[22:23], v4, 22, v[2:3]
	v_mad_i64_i32 v[4:5], s[22:23], v6, 22, v[2:3]
	v_add_u32_e32 v125, v99, v1
	v_add_u32_e32 v127, v123, v1
	;; [unrolled: 1-line block ×3, first 2 shown]
	v_add_co_u32_e32 v1, vcc, v4, v101
	v_addc_co_u32_e32 v6, vcc, 0, v5, vcc
	v_mov_b32_e32 v130, s5
	v_add_co_u32_e32 v58, vcc, s4, v1
	v_addc_co_u32_e32 v1, vcc, v130, v6, vcc
	v_add_co_u32_e32 v60, vcc, s4, v4
	v_addc_co_u32_e32 v23, vcc, v130, v5, vcc
	v_mad_i64_i32 v[4:5], s[22:23], v7, 22, v[2:3]
	v_mov_b32_e32 v6, s5
	v_add_co_u32_e32 v4, vcc, s4, v4
	v_addc_co_u32_e32 v5, vcc, v5, v6, vcc
	v_add_co_u32_e32 v62, vcc, v4, v101
	v_addc_co_u32_e32 v25, vcc, 0, v5, vcc
	v_add_co_u32_e32 v64, vcc, 2, v4
	v_addc_co_u32_e32 v27, vcc, 0, v5, vcc
	v_mad_i64_i32 v[4:5], s[22:23], v8, 22, v[2:3]
	v_add_co_u32_e32 v4, vcc, s4, v4
	v_addc_co_u32_e32 v5, vcc, v5, v6, vcc
	v_add_co_u32_e32 v66, vcc, v4, v101
	v_addc_co_u32_e32 v29, vcc, 0, v5, vcc
	v_add_co_u32_e32 v68, vcc, 2, v4
	v_addc_co_u32_e32 v31, vcc, 0, v5, vcc
	v_mad_i64_i32 v[4:5], s[22:23], v9, 22, v[2:3]
	;; [unrolled: 7-line block ×14, first 2 shown]
	v_mov_b32_e32 v4, s5
	v_add_co_u32_e32 v2, vcc, s4, v2
	v_addc_co_u32_e32 v3, vcc, v3, v4, vcc
	v_add_co_u32_e32 v118, vcc, v2, v101
	v_addc_co_u32_e32 v85, vcc, 0, v3, vcc
	;; [unrolled: 2-line block ×3, first 2 shown]
	v_mad_i64_i32 v[2:3], s[22:23], v89, 22, 0
	v_mad_i64_i32 v[2:3], s[22:23], s19, 22, v[2:3]
	v_mad_u64_u32 v[2:3], s[22:23], v95, 22, v[2:3]
	v_add_co_u32_e32 v122, vcc, s4, v2
	v_addc_co_u32_e32 v89, vcc, v130, v3, vcc
	v_mad_i64_i32 v[2:3], s[22:23], v91, 22, 0
	v_mad_i64_i32 v[2:3], s[22:23], s19, 22, v[2:3]
	v_mad_u64_u32 v[2:3], s[22:23], v95, 22, v[2:3]
	v_add_co_u32_e32 v124, vcc, s4, v2
	v_addc_co_u32_e32 v91, vcc, v130, v3, vcc
	;; [unrolled: 5-line block ×3, first 2 shown]
	v_mad_i64_i32 v[2:3], s[22:23], v128, 22, 0
	v_mad_i64_i32 v[2:3], s[22:23], s19, 22, v[2:3]
	s_mov_b32 s18, 0
	v_mad_u64_u32 v[2:3], s[22:23], v95, 22, v[2:3]
	v_add_co_u32_e32 v128, vcc, s4, v2
	s_mov_b32 s19, s18
	v_addc_co_u32_e32 v95, vcc, v130, v3, vcc
	v_pk_mov_b32 v[130:131], s[18:19], s[18:19] op_sel:[0,1]
	s_ashr_i32 s21, s8, 31
	v_cmp_gt_u32_e64 s[0:1], 4, v99
	v_mul_u32_u24_e32 v113, 0x104, v99
	s_movk_i32 s10, 0x80
	s_movk_i32 s19, 0x1f00
	;; [unrolled: 1-line block ×4, first 2 shown]
	v_add_u32_e32 v148, v132, v133
	v_add_u32_e32 v149, v134, v135
	;; [unrolled: 1-line block ×4, first 2 shown]
	v_mov_b32_e32 v152, 8
	v_pk_mov_b32 v[132:133], v[130:131], v[130:131] op_sel:[0,1]
	s_branch .LBB202_6
.LBB202_4:                              ;   in Loop: Header=BB202_6 Depth=1
	s_or_b64 exec, exec, s[4:5]
	s_waitcnt lgkmcnt(0)
	s_barrier
	ds_read_b128 v[2:5], v111
	ds_read2_b32 v[134:135], v113 offset0:32 offset1:33
	ds_read_b128 v[14:17], v109
	ds_read_b128 v[18:21], v109 offset:16
	ds_read_b128 v[6:9], v109 offset:32
	;; [unrolled: 1-line block ×3, first 2 shown]
	ds_read2_b32 v[138:139], v113 offset0:34 offset1:35
	v_mov_b32_e32 v136, 0
	s_waitcnt lgkmcnt(4)
	v_dot4c_i32_i8_e32 v136, v134, v14
	s_waitcnt lgkmcnt(3)
	v_dot4c_i32_i8_e32 v136, v135, v18
	ds_read2_b32 v[134:135], v113 offset0:36 offset1:37
	ds_read2_b32 v[140:141], v113 offset0:38 offset1:39
	;; [unrolled: 1-line block ×3, first 2 shown]
	s_waitcnt lgkmcnt(3)
	v_dot4c_i32_i8_e32 v136, v138, v15
	v_dot4c_i32_i8_e32 v136, v139, v19
	s_waitcnt lgkmcnt(2)
	v_dot4c_i32_i8_e32 v136, v134, v16
	v_add_u32_e32 v134, 0x2100, v113
	ds_read2_b32 v[138:139], v134 offset1:1
	v_mov_b32_e32 v137, 0
	v_dot4c_i32_i8_e32 v136, v135, v20
	ds_read2_b32 v[134:135], v121 offset0:6 offset1:7
	s_waitcnt lgkmcnt(3)
	v_dot4c_i32_i8_e32 v136, v140, v17
	s_waitcnt lgkmcnt(1)
	v_dot4c_i32_i8_e32 v137, v138, v14
	v_add_u32_e32 v138, 0x2108, v113
	v_dot4c_i32_i8_e32 v137, v139, v18
	ds_read2_b32 v[138:139], v138 offset1:1
	v_add_u32_e32 v140, 0x2110, v113
	v_add_u32_e32 v144, 0x2118, v113
	;; [unrolled: 1-line block ×3, first 2 shown]
	v_dot4c_i32_i8_e32 v136, v141, v21
	ds_read2_b32 v[140:141], v140 offset1:1
	ds_read2_b32 v[144:145], v144 offset1:1
	;; [unrolled: 1-line block ×3, first 2 shown]
	s_waitcnt lgkmcnt(3)
	v_dot4c_i32_i8_e32 v137, v138, v15
	v_dot4c_i32_i8_e32 v137, v139, v19
	s_waitcnt lgkmcnt(2)
	v_dot4c_i32_i8_e32 v137, v140, v16
	v_dot4c_i32_i8_e32 v137, v141, v20
	v_mov_b32_e32 v153, 0
	s_waitcnt lgkmcnt(1)
	v_dot4c_i32_i8_e32 v137, v144, v17
	s_waitcnt lgkmcnt(0)
	v_dot4c_i32_i8_e32 v153, v146, v14
	v_add_u32_e32 v138, 0x4188, v113
	v_add_u32_e32 v140, 0x4190, v113
	;; [unrolled: 1-line block ×4, first 2 shown]
	v_dot4c_i32_i8_e32 v137, v145, v21
	v_dot4c_i32_i8_e32 v153, v147, v18
	ds_read2_b32 v[138:139], v138 offset1:1
	ds_read2_b32 v[140:141], v140 offset1:1
	;; [unrolled: 1-line block ×4, first 2 shown]
	v_mov_b32_e32 v158, 0
	v_mov_b32_e32 v159, 0
	v_dot4c_i32_i8_e32 v159, v142, v6
	s_waitcnt lgkmcnt(3)
	v_dot4c_i32_i8_e32 v153, v138, v15
	s_waitcnt lgkmcnt(0)
	v_dot4c_i32_i8_e32 v158, v146, v14
	v_add_u32_e32 v14, 0x6208, v113
	v_dot4c_i32_i8_e32 v153, v139, v19
	ds_read2_b32 v[138:139], v14 offset1:1
	v_dot4c_i32_i8_e32 v153, v140, v16
	v_dot4c_i32_i8_e32 v153, v141, v20
	;; [unrolled: 1-line block ×4, first 2 shown]
	v_add_u32_e32 v18, 0x6210, v113
	v_add_u32_e32 v144, 0x6218, v113
	v_dot4c_i32_i8_e32 v153, v145, v21
	v_add_u32_e32 v14, 0x2120, v113
	ds_read2_b32 v[140:141], v18 offset1:1
	ds_read2_b32 v[144:145], v144 offset1:1
	;; [unrolled: 1-line block ×3, first 2 shown]
	s_waitcnt lgkmcnt(3)
	v_dot4c_i32_i8_e32 v158, v138, v15
	v_dot4c_i32_i8_e32 v158, v139, v19
	ds_read2_b32 v[14:15], v113 offset0:42 offset1:43
	s_waitcnt lgkmcnt(3)
	v_dot4c_i32_i8_e32 v158, v140, v16
	v_dot4c_i32_i8_e32 v158, v141, v20
	s_waitcnt lgkmcnt(2)
	v_dot4c_i32_i8_e32 v158, v144, v17
	v_dot4c_i32_i8_e32 v158, v145, v21
	;; [unrolled: 1-line block ×3, first 2 shown]
	ds_read2_b32 v[16:17], v113 offset0:44 offset1:45
	ds_read2_b32 v[18:19], v113 offset0:46 offset1:47
	;; [unrolled: 1-line block ×3, first 2 shown]
	s_waitcnt lgkmcnt(3)
	v_dot4c_i32_i8_e32 v159, v14, v7
	v_add_u32_e32 v14, 0x2128, v113
	v_dot4c_i32_i8_e32 v159, v15, v11
	ds_read2_b32 v[14:15], v14 offset1:1
	s_waitcnt lgkmcnt(3)
	v_dot4c_i32_i8_e32 v159, v16, v8
	v_dot4c_i32_i8_e32 v159, v17, v12
	v_mov_b32_e32 v160, 0
	s_waitcnt lgkmcnt(2)
	v_dot4c_i32_i8_e32 v159, v18, v9
	v_dot4c_i32_i8_e32 v160, v146, v6
	v_add_u32_e32 v16, 0x2130, v113
	v_add_u32_e32 v18, 0x2138, v113
	;; [unrolled: 1-line block ×3, first 2 shown]
	v_dot4c_i32_i8_e32 v159, v19, v13
	v_dot4c_i32_i8_e32 v160, v147, v10
	ds_read2_b32 v[16:17], v16 offset1:1
	ds_read2_b32 v[18:19], v18 offset1:1
	;; [unrolled: 1-line block ×3, first 2 shown]
	s_waitcnt lgkmcnt(3)
	v_dot4c_i32_i8_e32 v160, v14, v7
	v_dot4c_i32_i8_e32 v160, v15, v11
	s_waitcnt lgkmcnt(2)
	v_dot4c_i32_i8_e32 v160, v16, v8
	v_dot4c_i32_i8_e32 v160, v17, v12
	v_mov_b32_e32 v161, 0
	s_waitcnt lgkmcnt(1)
	v_dot4c_i32_i8_e32 v160, v18, v9
	s_waitcnt lgkmcnt(0)
	v_dot4c_i32_i8_e32 v161, v138, v6
	v_add_u32_e32 v14, 0x41a8, v113
	v_add_u32_e32 v16, 0x41b0, v113
	;; [unrolled: 1-line block ×4, first 2 shown]
	v_dot4c_i32_i8_e32 v160, v19, v13
	v_dot4c_i32_i8_e32 v161, v139, v10
	ds_read2_b32 v[14:15], v14 offset1:1
	ds_read2_b32 v[16:17], v16 offset1:1
	;; [unrolled: 1-line block ×4, first 2 shown]
	v_mov_b32_e32 v162, 0
	v_mov_b32_e32 v163, 0
	;; [unrolled: 1-line block ×3, first 2 shown]
	s_waitcnt lgkmcnt(3)
	v_dot4c_i32_i8_e32 v161, v14, v7
	s_waitcnt lgkmcnt(0)
	v_dot4c_i32_i8_e32 v162, v138, v6
	v_add_u32_e32 v6, 0x6228, v113
	v_dot4c_i32_i8_e32 v161, v15, v11
	ds_read2_b32 v[14:15], v6 offset1:1
	v_dot4c_i32_i8_e32 v161, v16, v8
	v_dot4c_i32_i8_e32 v161, v17, v12
	;; [unrolled: 1-line block ×4, first 2 shown]
	v_add_u32_e32 v10, 0x6230, v113
	v_add_u32_e32 v18, 0x6238, v113
	v_dot4c_i32_i8_e32 v161, v19, v13
	v_add_u32_e32 v6, 0x2140, v113
	ds_read2_b32 v[16:17], v10 offset1:1
	ds_read2_b32 v[18:19], v18 offset1:1
	;; [unrolled: 1-line block ×3, first 2 shown]
	s_waitcnt lgkmcnt(3)
	v_dot4c_i32_i8_e32 v162, v14, v7
	v_dot4c_i32_i8_e32 v162, v15, v11
	s_waitcnt lgkmcnt(2)
	v_dot4c_i32_i8_e32 v162, v16, v8
	v_dot4c_i32_i8_e32 v162, v17, v12
	;; [unrolled: 3-line block ×3, first 2 shown]
	ds_read_b128 v[8:11], v109 offset:64
	ds_read_b128 v[12:15], v109 offset:80
	ds_read2_b32 v[6:7], v119 offset0:4 offset1:5
	ds_read2_b32 v[140:141], v117 offset0:6 offset1:7
	;; [unrolled: 1-line block ×5, first 2 shown]
	s_waitcnt lgkmcnt(6)
	v_dot4c_i32_i8_e32 v163, v20, v8
	s_waitcnt lgkmcnt(5)
	v_dot4c_i32_i8_e32 v163, v21, v12
	ds_read2_b32 v[18:19], v113 offset0:52 offset1:53
	ds_read2_b32 v[20:21], v113 offset0:54 offset1:55
	;; [unrolled: 1-line block ×3, first 2 shown]
	v_dot4c_i32_i8_e32 v164, v138, v8
	s_waitcnt lgkmcnt(3)
	v_dot4c_i32_i8_e32 v163, v16, v9
	v_add_u32_e32 v16, 0x2148, v113
	v_dot4c_i32_i8_e32 v163, v17, v13
	ds_read2_b32 v[16:17], v16 offset1:1
	s_waitcnt lgkmcnt(3)
	v_dot4c_i32_i8_e32 v163, v18, v10
	v_dot4c_i32_i8_e32 v163, v19, v14
	s_waitcnt lgkmcnt(2)
	v_dot4c_i32_i8_e32 v163, v20, v11
	v_add_u32_e32 v18, 0x2150, v113
	v_add_u32_e32 v20, 0x2158, v113
	;; [unrolled: 1-line block ×3, first 2 shown]
	v_dot4c_i32_i8_e32 v163, v21, v15
	v_dot4c_i32_i8_e32 v164, v139, v12
	ds_read2_b32 v[18:19], v18 offset1:1
	ds_read2_b32 v[20:21], v20 offset1:1
	;; [unrolled: 1-line block ×3, first 2 shown]
	s_waitcnt lgkmcnt(3)
	v_dot4c_i32_i8_e32 v164, v16, v9
	v_dot4c_i32_i8_e32 v164, v17, v13
	s_waitcnt lgkmcnt(2)
	v_dot4c_i32_i8_e32 v164, v18, v10
	v_dot4c_i32_i8_e32 v164, v19, v14
	v_mov_b32_e32 v165, 0
	s_waitcnt lgkmcnt(1)
	v_dot4c_i32_i8_e32 v164, v20, v11
	s_waitcnt lgkmcnt(0)
	v_dot4c_i32_i8_e32 v165, v138, v8
	v_add_u32_e32 v16, 0x41c8, v113
	v_add_u32_e32 v18, 0x41d0, v113
	;; [unrolled: 1-line block ×4, first 2 shown]
	v_dot4c_i32_i8_e32 v164, v21, v15
	ds_read2_b32 v[20:21], v121 offset0:4 offset1:5
	ds_read2_b32 v[154:155], v119 offset0:6 offset1:7
	v_dot4c_i32_i8_e32 v165, v139, v12
	ds_read2_b32 v[16:17], v16 offset1:1
	ds_read2_b32 v[18:19], v18 offset1:1
	;; [unrolled: 1-line block ×4, first 2 shown]
	v_mov_b32_e32 v166, 0
	v_mov_b32_e32 v167, 0
	;; [unrolled: 1-line block ×3, first 2 shown]
	s_waitcnt lgkmcnt(3)
	v_dot4c_i32_i8_e32 v165, v16, v9
	s_waitcnt lgkmcnt(0)
	v_dot4c_i32_i8_e32 v166, v156, v8
	v_add_u32_e32 v8, 0x6248, v113
	v_dot4c_i32_i8_e32 v165, v17, v13
	ds_read2_b32 v[16:17], v8 offset1:1
	v_dot4c_i32_i8_e32 v165, v18, v10
	v_dot4c_i32_i8_e32 v165, v19, v14
	;; [unrolled: 1-line block ×4, first 2 shown]
	v_add_u32_e32 v12, 0x6250, v113
	v_add_u32_e32 v138, 0x6258, v113
	v_dot4c_i32_i8_e32 v165, v139, v15
	v_add_u32_e32 v8, 0x2160, v113
	ds_read2_b32 v[18:19], v12 offset1:1
	ds_read2_b32 v[138:139], v138 offset1:1
	;; [unrolled: 1-line block ×3, first 2 shown]
	s_waitcnt lgkmcnt(3)
	v_dot4c_i32_i8_e32 v166, v16, v9
	v_dot4c_i32_i8_e32 v166, v17, v13
	s_waitcnt lgkmcnt(2)
	v_dot4c_i32_i8_e32 v166, v18, v10
	v_dot4c_i32_i8_e32 v166, v19, v14
	ds_read_b128 v[16:19], v109 offset:96
	s_waitcnt lgkmcnt(2)
	v_dot4c_i32_i8_e32 v166, v138, v11
	ds_read_b128 v[8:11], v109 offset:112
	ds_read2_b32 v[12:13], v113 offset0:58 offset1:59
	v_dot4c_i32_i8_e32 v166, v139, v15
	s_waitcnt lgkmcnt(2)
	v_dot4c_i32_i8_e32 v167, v146, v16
	v_dot4c_i32_i8_e32 v168, v156, v16
	s_waitcnt lgkmcnt(1)
	v_dot4c_i32_i8_e32 v167, v147, v8
	ds_read2_b32 v[14:15], v113 offset0:60 offset1:61
	ds_read2_b32 v[138:139], v115 offset0:4 offset1:5
	;; [unrolled: 1-line block ×3, first 2 shown]
	s_waitcnt lgkmcnt(3)
	v_dot4c_i32_i8_e32 v167, v12, v17
	v_add_u32_e32 v12, 0x2168, v113
	v_dot4c_i32_i8_e32 v167, v13, v9
	ds_read2_b32 v[12:13], v12 offset1:1
	s_waitcnt lgkmcnt(3)
	v_dot4c_i32_i8_e32 v167, v14, v18
	v_dot4c_i32_i8_e32 v167, v15, v10
	s_waitcnt lgkmcnt(1)
	v_dot4c_i32_i8_e32 v167, v146, v19
	v_add_u32_e32 v14, 0x2170, v113
	v_add_u32_e32 v146, 0x2178, v113
	;; [unrolled: 1-line block ×3, first 2 shown]
	v_dot4c_i32_i8_e32 v167, v147, v11
	v_dot4c_i32_i8_e32 v168, v157, v8
	ds_read2_b32 v[14:15], v14 offset1:1
	ds_read2_b32 v[146:147], v146 offset1:1
	;; [unrolled: 1-line block ×3, first 2 shown]
	s_waitcnt lgkmcnt(3)
	v_dot4c_i32_i8_e32 v168, v12, v17
	v_dot4c_i32_i8_e32 v168, v13, v9
	s_waitcnt lgkmcnt(2)
	v_dot4c_i32_i8_e32 v168, v14, v18
	v_dot4c_i32_i8_e32 v168, v15, v10
	v_cvt_f32_i32_e32 v15, v137
	v_cvt_f32_i32_e32 v14, v136
	;; [unrolled: 1-line block ×4, first 2 shown]
	v_mov_b32_e32 v12, v138
	v_mov_b32_e32 v13, v142
	v_pk_mul_f32 v[12:13], v[2:3], v[12:13] op_sel_hi:[0,1]
	v_mov_b32_e32 v142, v139
	v_pk_fma_f32 v[12:13], v[12:13], v[14:15], v[130:131]
	v_pk_mul_f32 v[14:15], v[2:3], v[142:143] op_sel:[1,0]
	v_pk_fma_f32 v[12:13], v[14:15], v[136:137], v[12:13]
	v_cvt_f32_i32_e32 v15, v164
	v_cvt_f32_i32_e32 v14, v163
	s_waitcnt lgkmcnt(1)
	v_dot4c_i32_i8_e32 v168, v146, v19
	v_mov_b32_e32 v130, v144
	v_mov_b32_e32 v131, v140
	v_dot4c_i32_i8_e32 v168, v147, v11
	v_pk_mul_f32 v[130:131], v[4:5], v[130:131] op_sel_hi:[0,1]
	v_pk_fma_f32 v[12:13], v[130:131], v[14:15], v[12:13]
	v_cvt_f32_i32_e32 v14, v167
	v_cvt_f32_i32_e32 v15, v168
	v_mov_b32_e32 v136, v5
	v_mov_b32_e32 v140, v145
	v_pk_mul_f32 v[130:131], v[136:137], v[140:141] op_sel_hi:[0,1]
	v_add_u32_e32 v5, 0x41e8, v113
	v_pk_fma_f32 v[130:131], v[130:131], v[14:15], v[12:13]
	ds_read2_b32 v[12:13], v5 offset1:1
	v_mov_b32_e32 v137, 0
	s_waitcnt lgkmcnt(1)
	v_dot4c_i32_i8_e32 v137, v156, v16
	v_add_u32_e32 v14, 0x41f0, v113
	v_add_u32_e32 v138, 0x41f8, v113
	v_dot4c_i32_i8_e32 v137, v157, v8
	v_add_u32_e32 v5, 0x6260, v113
	ds_read2_b32 v[14:15], v14 offset1:1
	ds_read2_b32 v[138:139], v138 offset1:1
	;; [unrolled: 1-line block ×3, first 2 shown]
	s_waitcnt lgkmcnt(3)
	v_dot4c_i32_i8_e32 v137, v12, v17
	v_add_u32_e32 v5, 0x6268, v113
	v_dot4c_i32_i8_e32 v137, v13, v9
	ds_read2_b32 v[12:13], v5 offset1:1
	s_waitcnt lgkmcnt(3)
	v_dot4c_i32_i8_e32 v137, v14, v18
	v_add_u32_e32 v5, 0x6270, v113
	v_dot4c_i32_i8_e32 v137, v15, v10
	v_mov_b32_e32 v142, 0
	ds_read2_b32 v[14:15], v5 offset1:1
	s_waitcnt lgkmcnt(3)
	v_dot4c_i32_i8_e32 v137, v138, v19
	s_waitcnt lgkmcnt(2)
	v_dot4c_i32_i8_e32 v142, v140, v16
	v_add_u32_e32 v5, 0x6278, v113
	v_dot4c_i32_i8_e32 v137, v139, v11
	v_dot4c_i32_i8_e32 v142, v141, v8
	ds_read2_b32 v[138:139], v5 offset1:1
	s_waitcnt lgkmcnt(2)
	v_dot4c_i32_i8_e32 v142, v12, v17
	v_dot4c_i32_i8_e32 v142, v13, v9
	s_waitcnt lgkmcnt(1)
	v_dot4c_i32_i8_e32 v142, v14, v18
	v_dot4c_i32_i8_e32 v142, v15, v10
	;; [unrolled: 3-line block ×3, first 2 shown]
	v_cvt_f32_i32_e32 v11, v158
	v_cvt_f32_i32_e32 v10, v153
	;; [unrolled: 1-line block ×4, first 2 shown]
	v_mov_b32_e32 v8, v6
	v_mov_b32_e32 v9, v20
	v_pk_mul_f32 v[8:9], v[2:3], v[8:9] op_sel_hi:[0,1]
	v_mov_b32_e32 v20, v7
	v_pk_fma_f32 v[8:9], v[8:9], v[10:11], v[132:133]
	v_pk_mul_f32 v[2:3], v[2:3], v[20:21] op_sel:[1,0]
	v_pk_fma_f32 v[2:3], v[2:3], v[12:13], v[8:9]
	v_mov_b32_e32 v6, v154
	v_mov_b32_e32 v7, v134
	v_cvt_f32_i32_e32 v9, v166
	v_cvt_f32_i32_e32 v8, v165
	v_pk_mul_f32 v[4:5], v[4:5], v[6:7] op_sel_hi:[0,1]
	v_cvt_f32_i32_e32 v7, v142
	v_cvt_f32_i32_e32 v6, v137
	v_mov_b32_e32 v134, v155
	v_pk_fma_f32 v[2:3], v[4:5], v[8:9], v[2:3]
	v_pk_mul_f32 v[4:5], v[136:137], v[134:135] op_sel_hi:[0,1]
	v_pk_fma_f32 v[132:133], v[4:5], v[6:7], v[2:3]
	s_barrier
.LBB202_5:                              ;   in Loop: Header=BB202_6 Depth=1
	v_add_co_u32_e32 v56, vcc, 0x120, v56
	v_addc_co_u32_e32 v57, vcc, 0, v57, vcc
	v_add_co_u32_e32 v58, vcc, 0xb0, v58
	v_addc_co_u32_e32 v1, vcc, 0, v1, vcc
	;; [unrolled: 2-line block ×36, first 2 shown]
	s_add_i32 s18, s18, 8
	s_addk_i32 s10, 0x100
	v_add_co_u32_e32 v128, vcc, 0xb0, v128
	s_cmp_ge_i32 s18, s20
	v_addc_co_u32_e32 v95, vcc, 0, v95, vcc
	s_cbranch_scc1 .LBB202_20
.LBB202_6:                              ; =>This Inner Loop Header: Depth=1
	v_mov_b32_e32 v2, s21
	v_add_co_u32_e32 v4, vcc, s8, v58
	v_addc_co_u32_e32 v5, vcc, v1, v2, vcc
	global_load_dword v3, v[4:5], off offset:6
	v_add_co_u32_e32 v4, vcc, s8, v60
	v_addc_co_u32_e32 v5, vcc, v23, v2, vcc
	global_load_dword v8, v[4:5], off offset:2
	v_add_co_u32_e32 v4, vcc, s8, v62
	v_addc_co_u32_e32 v5, vcc, v25, v2, vcc
	v_add_co_u32_e32 v6, vcc, s8, v64
	v_addc_co_u32_e32 v7, vcc, v27, v2, vcc
	global_load_dword v9, v[6:7], off
	global_load_dword v10, v[4:5], off offset:6
	v_add_co_u32_e32 v4, vcc, s8, v66
	v_addc_co_u32_e32 v5, vcc, v29, v2, vcc
	v_add_co_u32_e32 v6, vcc, s8, v68
	v_addc_co_u32_e32 v7, vcc, v31, v2, vcc
	global_load_dword v11, v[4:5], off offset:6
	global_load_dword v12, v[6:7], off
	s_add_i32 s4, s10, 0xffffff80
	s_cmp_lt_i32 s4, s9
	s_waitcnt vmcnt(5)
	v_and_b32_e32 v5, 0xf0f0f0f, v3
	v_lshrrev_b32_e32 v3, 4, v3
	v_and_b32_e32 v3, 0xf0f0f0f, v3
	s_waitcnt vmcnt(4)
	v_ashrrev_i32_e32 v4, v101, v8
	v_lshlrev_b32_e32 v7, 4, v4
	v_lshlrev_b32_e32 v13, 18, v4
	;; [unrolled: 1-line block ×3, first 2 shown]
	v_lshrrev_b32_e32 v15, 12, v4
	v_lshrrev_b32_e32 v16, 5, v4
	v_lshlrev_b32_e32 v17, 2, v4
	v_and_b32_e32 v7, 16, v7
	s_waitcnt vmcnt(3)
	v_ashrrev_i32_e32 v8, v101, v9
	v_lshlrev_b32_e32 v9, 11, v4
	v_lshlrev_b32_e32 v4, 9, v4
	v_and_b32_e32 v9, 0x1000, v9
	v_and_b32_e32 v13, 0x100000, v13
	;; [unrolled: 1-line block ×6, first 2 shown]
	v_lshlrev_b32_e32 v18, 4, v8
	v_lshlrev_b32_e32 v19, 11, v8
	v_and_b32_e32 v4, 0x10000000, v4
	v_or3_b32 v7, v7, v5, v9
	v_or3_b32 v5, v5, v13, v14
	;; [unrolled: 1-line block ×3, first 2 shown]
	s_waitcnt vmcnt(2)
	v_and_b32_e32 v6, 0xf0f0f0f, v10
	v_and_b32_e32 v18, 16, v18
	;; [unrolled: 1-line block ×4, first 2 shown]
	v_lshlrev_b16_e32 v7, 8, v7
	v_and_b32_sdwa v15, v5, s19 dst_sel:DWORD dst_unused:UNUSED_PAD src0_sel:WORD_1 src1_sel:DWORD
	v_lshlrev_b16_sdwa v5, v152, v5 dst_sel:DWORD dst_unused:UNUSED_PAD src0_sel:DWORD src1_sel:WORD_1
	v_or3_b32 v3, v9, v4, v3
	v_or3_b32 v13, v18, v6, v19
	v_add_u16_e32 v7, 0xf000, v7
	v_add_u16_e32 v5, 0xf000, v5
	v_lshlrev_b16_e32 v16, 8, v3
	v_and_b32_sdwa v17, v3, s23 dst_sel:DWORD dst_unused:UNUSED_PAD src0_sel:WORD_1 src1_sel:DWORD
	v_and_b32_e32 v4, 0x1f00, v13
	v_lshlrev_b16_e32 v9, 8, v13
	v_and_b32_e32 v13, 0x1f00, v3
	v_lshlrev_b16_sdwa v3, v152, v3 dst_sel:DWORD dst_unused:UNUSED_PAD src0_sel:DWORD src1_sel:WORD_1
	v_or_b32_sdwa v7, v14, v7 dst_sel:DWORD dst_unused:UNUSED_PAD src0_sel:DWORD src1_sel:BYTE_1
	v_or_b32_sdwa v5, v15, v5 dst_sel:DWORD dst_unused:UNUSED_PAD src0_sel:DWORD src1_sel:BYTE_1
	v_add_i16 v14, v16, s22 clamp
	v_add_i16 v15, v17, s22 clamp
	v_lshlrev_b32_e32 v20, 18, v8
	v_lshlrev_b32_e32 v21, 25, v8
	v_add_i16 v3, v3, s22 clamp
	v_add_u16_e32 v7, 0xf000, v7
	v_add_u16_sdwa v5, v5, s22 dst_sel:WORD_1 dst_unused:UNUSED_PAD src0_sel:DWORD src1_sel:DWORD
	v_or_b32_sdwa v13, v13, v14 dst_sel:DWORD dst_unused:UNUSED_PAD src0_sel:DWORD src1_sel:BYTE_1
	v_and_b32_e32 v14, 0xffffff00, v15
	v_and_b32_e32 v20, 0x100000, v20
	;; [unrolled: 1-line block ×3, first 2 shown]
	v_or_b32_e32 v5, v7, v5
	v_add_u16_e32 v7, 0xf000, v13
	v_or_b32_sdwa v3, v3, v14 dst_sel:WORD_1 dst_unused:UNUSED_PAD src0_sel:BYTE_1 src1_sel:DWORD
	v_or3_b32 v6, v6, v20, v21
	v_or_b32_e32 v3, v7, v3
	ds_write2_b32 v22, v5, v3 offset1:1
	v_add_u16_e32 v3, 0xf000, v9
	v_lshlrev_b16_sdwa v5, v152, v6 dst_sel:DWORD dst_unused:UNUSED_PAD src0_sel:DWORD src1_sel:WORD_1
	v_or_b32_sdwa v3, v4, v3 dst_sel:DWORD dst_unused:UNUSED_PAD src0_sel:DWORD src1_sel:BYTE_1
	v_and_b32_sdwa v4, v6, s19 dst_sel:DWORD dst_unused:UNUSED_PAD src0_sel:WORD_1 src1_sel:DWORD
	v_add_u16_e32 v5, 0xf000, v5
	v_or_b32_sdwa v4, v4, v5 dst_sel:DWORD dst_unused:UNUSED_PAD src0_sel:DWORD src1_sel:BYTE_1
	v_add_u16_e32 v3, 0xf000, v3
	v_add_u16_sdwa v4, v4, s22 dst_sel:WORD_1 dst_unused:UNUSED_PAD src0_sel:DWORD src1_sel:DWORD
	v_or_b32_e32 v3, v3, v4
	v_lshrrev_b32_e32 v4, 4, v10
	v_and_b32_e32 v9, 0xf0f0f0f, v4
	v_lshrrev_b32_e32 v4, 12, v8
	v_and_b32_e32 v10, 16, v4
	v_add_co_u32_e32 v4, vcc, s8, v70
	v_addc_co_u32_e32 v5, vcc, v33, v2, vcc
	v_add_co_u32_e32 v6, vcc, s8, v72
	v_addc_co_u32_e32 v7, vcc, v35, v2, vcc
	v_lshrrev_b32_e32 v13, 5, v8
	global_load_dword v14, v[6:7], off
	global_load_dword v15, v[4:5], off offset:6
	v_lshlrev_b32_e32 v5, 2, v8
	v_and_b32_e32 v4, 0x1000, v13
	v_and_b32_e32 v5, 0x100000, v5
	v_lshlrev_b32_e32 v6, 9, v8
	v_and_b32_e32 v6, 0x10000000, v6
	v_or3_b32 v4, v4, v10, v5
	v_or3_b32 v4, v4, v6, v9
	v_lshlrev_b16_e32 v6, 8, v4
	v_and_b32_e32 v5, 0x1f00, v4
	v_add_i16 v6, v6, s22 clamp
	v_or_b32_sdwa v5, v5, v6 dst_sel:DWORD dst_unused:UNUSED_PAD src0_sel:DWORD src1_sel:BYTE_1
	v_and_b32_sdwa v6, v4, s23 dst_sel:DWORD dst_unused:UNUSED_PAD src0_sel:WORD_1 src1_sel:DWORD
	v_add_i16 v6, v6, s22 clamp
	v_lshlrev_b16_sdwa v4, v152, v4 dst_sel:DWORD dst_unused:UNUSED_PAD src0_sel:DWORD src1_sel:WORD_1
	v_and_b32_e32 v6, 0xffffff00, v6
	v_add_i16 v4, v4, s22 clamp
	v_add_u16_e32 v5, 0xf000, v5
	v_or_b32_sdwa v4, v4, v6 dst_sel:WORD_1 dst_unused:UNUSED_PAD src0_sel:BYTE_1 src1_sel:DWORD
	v_or_b32_e32 v4, v5, v4
	ds_write2_b32 v24, v3, v4 offset1:1
	s_waitcnt vmcnt(2)
	v_ashrrev_i32_e32 v3, v101, v12
	v_lshlrev_b32_e32 v5, 4, v3
	v_lshlrev_b32_e32 v6, 11, v3
	v_and_b32_e32 v4, 0xf0f0f0f, v11
	v_and_b32_e32 v5, 16, v5
	;; [unrolled: 1-line block ×3, first 2 shown]
	v_or3_b32 v5, v5, v4, v6
	v_lshlrev_b32_e32 v6, 18, v3
	v_lshlrev_b32_e32 v7, 25, v3
	v_and_b32_e32 v6, 0x100000, v6
	v_and_b32_e32 v7, 0x10000000, v7
	v_or3_b32 v4, v4, v6, v7
	v_and_b32_e32 v6, 0x1f00, v5
	v_lshlrev_b16_e32 v5, 8, v5
	v_add_u16_e32 v5, 0xf000, v5
	v_or_b32_sdwa v5, v6, v5 dst_sel:DWORD dst_unused:UNUSED_PAD src0_sel:DWORD src1_sel:BYTE_1
	v_and_b32_sdwa v6, v4, s19 dst_sel:DWORD dst_unused:UNUSED_PAD src0_sel:WORD_1 src1_sel:DWORD
	v_lshlrev_b16_sdwa v4, v152, v4 dst_sel:DWORD dst_unused:UNUSED_PAD src0_sel:DWORD src1_sel:WORD_1
	v_add_u16_e32 v4, 0xf000, v4
	v_or_b32_sdwa v4, v6, v4 dst_sel:DWORD dst_unused:UNUSED_PAD src0_sel:DWORD src1_sel:BYTE_1
	v_add_u16_e32 v5, 0xf000, v5
	v_add_u16_sdwa v4, v4, s22 dst_sel:WORD_1 dst_unused:UNUSED_PAD src0_sel:DWORD src1_sel:DWORD
	v_or_b32_e32 v8, v5, v4
	v_lshrrev_b32_e32 v4, 4, v11
	v_and_b32_e32 v9, 0xf0f0f0f, v4
	v_lshrrev_b32_e32 v4, 12, v3
	v_and_b32_e32 v10, 16, v4
	v_add_co_u32_e32 v4, vcc, s8, v74
	v_addc_co_u32_e32 v5, vcc, v37, v2, vcc
	v_add_co_u32_e32 v6, vcc, s8, v76
	v_addc_co_u32_e32 v7, vcc, v39, v2, vcc
	global_load_dword v12, v[6:7], off
	global_load_dword v13, v[4:5], off offset:6
	v_lshrrev_b32_e32 v11, 5, v3
	v_lshlrev_b32_e32 v5, 2, v3
	v_and_b32_e32 v4, 0x1000, v11
	v_and_b32_e32 v5, 0x100000, v5
	v_lshlrev_b32_e32 v3, 9, v3
	v_and_b32_e32 v3, 0x10000000, v3
	v_or3_b32 v4, v4, v10, v5
	v_or3_b32 v3, v4, v3, v9
	v_lshlrev_b16_e32 v5, 8, v3
	v_and_b32_e32 v4, 0x1f00, v3
	v_add_i16 v5, v5, s22 clamp
	v_or_b32_sdwa v4, v4, v5 dst_sel:DWORD dst_unused:UNUSED_PAD src0_sel:DWORD src1_sel:BYTE_1
	v_and_b32_sdwa v5, v3, s23 dst_sel:DWORD dst_unused:UNUSED_PAD src0_sel:WORD_1 src1_sel:DWORD
	v_add_i16 v5, v5, s22 clamp
	v_lshlrev_b16_sdwa v3, v152, v3 dst_sel:DWORD dst_unused:UNUSED_PAD src0_sel:DWORD src1_sel:WORD_1
	v_and_b32_e32 v5, 0xffffff00, v5
	v_add_i16 v3, v3, s22 clamp
	v_add_u16_e32 v4, 0xf000, v4
	v_or_b32_sdwa v3, v3, v5 dst_sel:WORD_1 dst_unused:UNUSED_PAD src0_sel:BYTE_1 src1_sel:DWORD
	v_or_b32_e32 v3, v4, v3
	ds_write2_b32 v26, v8, v3 offset1:1
	s_waitcnt vmcnt(3)
	v_ashrrev_i32_e32 v3, v101, v14
	v_lshlrev_b32_e32 v5, 4, v3
	v_lshlrev_b32_e32 v6, 11, v3
	s_waitcnt vmcnt(2)
	v_and_b32_e32 v4, 0xf0f0f0f, v15
	v_and_b32_e32 v5, 16, v5
	;; [unrolled: 1-line block ×3, first 2 shown]
	v_or3_b32 v5, v5, v4, v6
	v_lshlrev_b32_e32 v6, 18, v3
	v_lshlrev_b32_e32 v7, 25, v3
	v_and_b32_e32 v6, 0x100000, v6
	v_and_b32_e32 v7, 0x10000000, v7
	v_or3_b32 v4, v4, v6, v7
	v_and_b32_e32 v6, 0x1f00, v5
	v_lshlrev_b16_e32 v5, 8, v5
	v_add_u16_e32 v5, 0xf000, v5
	v_or_b32_sdwa v5, v6, v5 dst_sel:DWORD dst_unused:UNUSED_PAD src0_sel:DWORD src1_sel:BYTE_1
	v_and_b32_sdwa v6, v4, s19 dst_sel:DWORD dst_unused:UNUSED_PAD src0_sel:WORD_1 src1_sel:DWORD
	v_lshlrev_b16_sdwa v4, v152, v4 dst_sel:DWORD dst_unused:UNUSED_PAD src0_sel:DWORD src1_sel:WORD_1
	v_add_u16_e32 v4, 0xf000, v4
	v_or_b32_sdwa v4, v6, v4 dst_sel:DWORD dst_unused:UNUSED_PAD src0_sel:DWORD src1_sel:BYTE_1
	v_add_u16_e32 v5, 0xf000, v5
	v_add_u16_sdwa v4, v4, s22 dst_sel:WORD_1 dst_unused:UNUSED_PAD src0_sel:DWORD src1_sel:DWORD
	v_or_b32_e32 v8, v5, v4
	v_lshrrev_b32_e32 v4, 4, v15
	v_and_b32_e32 v9, 0xf0f0f0f, v4
	v_lshrrev_b32_e32 v4, 12, v3
	v_and_b32_e32 v10, 16, v4
	v_add_co_u32_e32 v4, vcc, s8, v78
	v_addc_co_u32_e32 v5, vcc, v41, v2, vcc
	v_add_co_u32_e32 v6, vcc, s8, v80
	v_addc_co_u32_e32 v7, vcc, v43, v2, vcc
	v_lshrrev_b32_e32 v11, 5, v3
	global_load_dword v14, v[6:7], off
	global_load_dword v15, v[4:5], off offset:6
	v_lshlrev_b32_e32 v5, 2, v3
	v_and_b32_e32 v4, 0x1000, v11
	v_and_b32_e32 v5, 0x100000, v5
	v_lshlrev_b32_e32 v3, 9, v3
	v_and_b32_e32 v3, 0x10000000, v3
	v_or3_b32 v4, v4, v10, v5
	v_or3_b32 v3, v4, v3, v9
	v_lshlrev_b16_e32 v5, 8, v3
	v_and_b32_e32 v4, 0x1f00, v3
	v_add_i16 v5, v5, s22 clamp
	v_or_b32_sdwa v4, v4, v5 dst_sel:DWORD dst_unused:UNUSED_PAD src0_sel:DWORD src1_sel:BYTE_1
	v_and_b32_sdwa v5, v3, s23 dst_sel:DWORD dst_unused:UNUSED_PAD src0_sel:WORD_1 src1_sel:DWORD
	v_add_i16 v5, v5, s22 clamp
	v_lshlrev_b16_sdwa v3, v152, v3 dst_sel:DWORD dst_unused:UNUSED_PAD src0_sel:DWORD src1_sel:WORD_1
	v_and_b32_e32 v5, 0xffffff00, v5
	v_add_i16 v3, v3, s22 clamp
	v_add_u16_e32 v4, 0xf000, v4
	v_or_b32_sdwa v3, v3, v5 dst_sel:WORD_1 dst_unused:UNUSED_PAD src0_sel:BYTE_1 src1_sel:DWORD
	v_or_b32_e32 v3, v4, v3
	ds_write2_b32 v28, v8, v3 offset1:1
	s_waitcnt vmcnt(3)
	v_ashrrev_i32_e32 v3, v101, v12
	v_lshlrev_b32_e32 v5, 4, v3
	v_lshlrev_b32_e32 v6, 11, v3
	s_waitcnt vmcnt(2)
	v_and_b32_e32 v4, 0xf0f0f0f, v13
	v_and_b32_e32 v5, 16, v5
	;; [unrolled: 1-line block ×3, first 2 shown]
	v_or3_b32 v5, v5, v4, v6
	v_lshlrev_b32_e32 v6, 18, v3
	v_lshlrev_b32_e32 v7, 25, v3
	v_and_b32_e32 v6, 0x100000, v6
	v_and_b32_e32 v7, 0x10000000, v7
	v_or3_b32 v4, v4, v6, v7
	v_and_b32_e32 v6, 0x1f00, v5
	v_lshlrev_b16_e32 v5, 8, v5
	v_add_u16_e32 v5, 0xf000, v5
	v_or_b32_sdwa v5, v6, v5 dst_sel:DWORD dst_unused:UNUSED_PAD src0_sel:DWORD src1_sel:BYTE_1
	v_and_b32_sdwa v6, v4, s19 dst_sel:DWORD dst_unused:UNUSED_PAD src0_sel:WORD_1 src1_sel:DWORD
	v_lshlrev_b16_sdwa v4, v152, v4 dst_sel:DWORD dst_unused:UNUSED_PAD src0_sel:DWORD src1_sel:WORD_1
	v_add_u16_e32 v4, 0xf000, v4
	v_or_b32_sdwa v4, v6, v4 dst_sel:DWORD dst_unused:UNUSED_PAD src0_sel:DWORD src1_sel:BYTE_1
	v_add_u16_e32 v5, 0xf000, v5
	v_add_u16_sdwa v4, v4, s22 dst_sel:WORD_1 dst_unused:UNUSED_PAD src0_sel:DWORD src1_sel:DWORD
	v_or_b32_e32 v8, v5, v4
	v_lshrrev_b32_e32 v4, 4, v13
	v_and_b32_e32 v9, 0xf0f0f0f, v4
	v_lshrrev_b32_e32 v4, 12, v3
	v_and_b32_e32 v10, 16, v4
	v_add_co_u32_e32 v4, vcc, s8, v82
	v_addc_co_u32_e32 v5, vcc, v45, v2, vcc
	v_add_co_u32_e32 v6, vcc, s8, v84
	v_addc_co_u32_e32 v7, vcc, v47, v2, vcc
	global_load_dword v12, v[6:7], off
	global_load_dword v13, v[4:5], off offset:6
	v_lshrrev_b32_e32 v11, 5, v3
	v_lshlrev_b32_e32 v5, 2, v3
	v_and_b32_e32 v4, 0x1000, v11
	v_and_b32_e32 v5, 0x100000, v5
	v_lshlrev_b32_e32 v3, 9, v3
	v_and_b32_e32 v3, 0x10000000, v3
	v_or3_b32 v4, v4, v10, v5
	v_or3_b32 v3, v4, v3, v9
	v_lshlrev_b16_e32 v5, 8, v3
	v_and_b32_e32 v4, 0x1f00, v3
	v_add_i16 v5, v5, s22 clamp
	v_or_b32_sdwa v4, v4, v5 dst_sel:DWORD dst_unused:UNUSED_PAD src0_sel:DWORD src1_sel:BYTE_1
	v_and_b32_sdwa v5, v3, s23 dst_sel:DWORD dst_unused:UNUSED_PAD src0_sel:WORD_1 src1_sel:DWORD
	v_add_i16 v5, v5, s22 clamp
	v_lshlrev_b16_sdwa v3, v152, v3 dst_sel:DWORD dst_unused:UNUSED_PAD src0_sel:DWORD src1_sel:WORD_1
	v_and_b32_e32 v5, 0xffffff00, v5
	v_add_i16 v3, v3, s22 clamp
	v_add_u16_e32 v4, 0xf000, v4
	v_or_b32_sdwa v3, v3, v5 dst_sel:WORD_1 dst_unused:UNUSED_PAD src0_sel:BYTE_1 src1_sel:DWORD
	v_or_b32_e32 v3, v4, v3
	ds_write2_b32 v30, v8, v3 offset1:1
	s_waitcnt vmcnt(3)
	v_ashrrev_i32_e32 v3, v101, v14
	v_lshlrev_b32_e32 v5, 4, v3
	v_lshlrev_b32_e32 v6, 11, v3
	s_waitcnt vmcnt(2)
	v_and_b32_e32 v4, 0xf0f0f0f, v15
	v_and_b32_e32 v5, 16, v5
	;; [unrolled: 1-line block ×3, first 2 shown]
	v_or3_b32 v5, v5, v4, v6
	v_lshlrev_b32_e32 v6, 18, v3
	v_lshlrev_b32_e32 v7, 25, v3
	v_and_b32_e32 v6, 0x100000, v6
	v_and_b32_e32 v7, 0x10000000, v7
	v_or3_b32 v4, v4, v6, v7
	v_and_b32_e32 v6, 0x1f00, v5
	v_lshlrev_b16_e32 v5, 8, v5
	v_add_u16_e32 v5, 0xf000, v5
	v_or_b32_sdwa v5, v6, v5 dst_sel:DWORD dst_unused:UNUSED_PAD src0_sel:DWORD src1_sel:BYTE_1
	v_and_b32_sdwa v6, v4, s19 dst_sel:DWORD dst_unused:UNUSED_PAD src0_sel:WORD_1 src1_sel:DWORD
	v_lshlrev_b16_sdwa v4, v152, v4 dst_sel:DWORD dst_unused:UNUSED_PAD src0_sel:DWORD src1_sel:WORD_1
	v_add_u16_e32 v4, 0xf000, v4
	v_or_b32_sdwa v4, v6, v4 dst_sel:DWORD dst_unused:UNUSED_PAD src0_sel:DWORD src1_sel:BYTE_1
	v_add_u16_e32 v5, 0xf000, v5
	v_add_u16_sdwa v4, v4, s22 dst_sel:WORD_1 dst_unused:UNUSED_PAD src0_sel:DWORD src1_sel:DWORD
	v_or_b32_e32 v8, v5, v4
	v_lshrrev_b32_e32 v4, 4, v15
	v_and_b32_e32 v9, 0xf0f0f0f, v4
	v_lshrrev_b32_e32 v4, 12, v3
	v_and_b32_e32 v10, 16, v4
	v_add_co_u32_e32 v4, vcc, s8, v86
	v_addc_co_u32_e32 v5, vcc, v49, v2, vcc
	v_add_co_u32_e32 v6, vcc, s8, v88
	v_addc_co_u32_e32 v7, vcc, v51, v2, vcc
	v_lshrrev_b32_e32 v11, 5, v3
	global_load_dword v14, v[6:7], off
	global_load_dword v15, v[4:5], off offset:6
	v_lshlrev_b32_e32 v5, 2, v3
	v_and_b32_e32 v4, 0x1000, v11
	v_and_b32_e32 v5, 0x100000, v5
	v_lshlrev_b32_e32 v3, 9, v3
	v_and_b32_e32 v3, 0x10000000, v3
	v_or3_b32 v4, v4, v10, v5
	v_or3_b32 v3, v4, v3, v9
	v_lshlrev_b16_e32 v5, 8, v3
	v_and_b32_e32 v4, 0x1f00, v3
	v_add_i16 v5, v5, s22 clamp
	v_or_b32_sdwa v4, v4, v5 dst_sel:DWORD dst_unused:UNUSED_PAD src0_sel:DWORD src1_sel:BYTE_1
	v_and_b32_sdwa v5, v3, s23 dst_sel:DWORD dst_unused:UNUSED_PAD src0_sel:WORD_1 src1_sel:DWORD
	v_add_i16 v5, v5, s22 clamp
	v_lshlrev_b16_sdwa v3, v152, v3 dst_sel:DWORD dst_unused:UNUSED_PAD src0_sel:DWORD src1_sel:WORD_1
	v_and_b32_e32 v5, 0xffffff00, v5
	v_add_i16 v3, v3, s22 clamp
	v_add_u16_e32 v4, 0xf000, v4
	v_or_b32_sdwa v3, v3, v5 dst_sel:WORD_1 dst_unused:UNUSED_PAD src0_sel:BYTE_1 src1_sel:DWORD
	v_or_b32_e32 v3, v4, v3
	ds_write2_b32 v32, v8, v3 offset1:1
	s_waitcnt vmcnt(3)
	v_ashrrev_i32_e32 v3, v101, v12
	v_lshlrev_b32_e32 v5, 4, v3
	v_lshlrev_b32_e32 v6, 11, v3
	s_waitcnt vmcnt(2)
	v_and_b32_e32 v4, 0xf0f0f0f, v13
	v_and_b32_e32 v5, 16, v5
	;; [unrolled: 1-line block ×3, first 2 shown]
	v_or3_b32 v5, v5, v4, v6
	v_lshlrev_b32_e32 v6, 18, v3
	v_lshlrev_b32_e32 v7, 25, v3
	v_and_b32_e32 v6, 0x100000, v6
	v_and_b32_e32 v7, 0x10000000, v7
	v_or3_b32 v4, v4, v6, v7
	v_and_b32_e32 v6, 0x1f00, v5
	v_lshlrev_b16_e32 v5, 8, v5
	v_add_u16_e32 v5, 0xf000, v5
	v_or_b32_sdwa v5, v6, v5 dst_sel:DWORD dst_unused:UNUSED_PAD src0_sel:DWORD src1_sel:BYTE_1
	v_and_b32_sdwa v6, v4, s19 dst_sel:DWORD dst_unused:UNUSED_PAD src0_sel:WORD_1 src1_sel:DWORD
	v_lshlrev_b16_sdwa v4, v152, v4 dst_sel:DWORD dst_unused:UNUSED_PAD src0_sel:DWORD src1_sel:WORD_1
	v_add_u16_e32 v4, 0xf000, v4
	v_or_b32_sdwa v4, v6, v4 dst_sel:DWORD dst_unused:UNUSED_PAD src0_sel:DWORD src1_sel:BYTE_1
	v_add_u16_e32 v5, 0xf000, v5
	v_add_u16_sdwa v4, v4, s22 dst_sel:WORD_1 dst_unused:UNUSED_PAD src0_sel:DWORD src1_sel:DWORD
	v_or_b32_e32 v8, v5, v4
	v_lshrrev_b32_e32 v4, 4, v13
	v_and_b32_e32 v9, 0xf0f0f0f, v4
	v_lshrrev_b32_e32 v4, 12, v3
	v_and_b32_e32 v10, 16, v4
	v_add_co_u32_e32 v4, vcc, s8, v90
	v_addc_co_u32_e32 v5, vcc, v53, v2, vcc
	v_add_co_u32_e32 v6, vcc, s8, v92
	v_addc_co_u32_e32 v7, vcc, v59, v2, vcc
	global_load_dword v12, v[6:7], off
	global_load_dword v13, v[4:5], off offset:6
	v_lshrrev_b32_e32 v11, 5, v3
	v_lshlrev_b32_e32 v5, 2, v3
	v_and_b32_e32 v4, 0x1000, v11
	v_and_b32_e32 v5, 0x100000, v5
	v_lshlrev_b32_e32 v3, 9, v3
	v_and_b32_e32 v3, 0x10000000, v3
	v_or3_b32 v4, v4, v10, v5
	v_or3_b32 v3, v4, v3, v9
	v_lshlrev_b16_e32 v5, 8, v3
	v_and_b32_e32 v4, 0x1f00, v3
	v_add_i16 v5, v5, s22 clamp
	v_or_b32_sdwa v4, v4, v5 dst_sel:DWORD dst_unused:UNUSED_PAD src0_sel:DWORD src1_sel:BYTE_1
	v_and_b32_sdwa v5, v3, s23 dst_sel:DWORD dst_unused:UNUSED_PAD src0_sel:WORD_1 src1_sel:DWORD
	v_add_i16 v5, v5, s22 clamp
	v_lshlrev_b16_sdwa v3, v152, v3 dst_sel:DWORD dst_unused:UNUSED_PAD src0_sel:DWORD src1_sel:WORD_1
	v_and_b32_e32 v5, 0xffffff00, v5
	v_add_i16 v3, v3, s22 clamp
	v_add_u16_e32 v4, 0xf000, v4
	v_or_b32_sdwa v3, v3, v5 dst_sel:WORD_1 dst_unused:UNUSED_PAD src0_sel:BYTE_1 src1_sel:DWORD
	v_or_b32_e32 v3, v4, v3
	ds_write2_b32 v34, v8, v3 offset1:1
	s_waitcnt vmcnt(3)
	v_ashrrev_i32_e32 v3, v101, v14
	v_lshlrev_b32_e32 v5, 4, v3
	v_lshlrev_b32_e32 v6, 11, v3
	s_waitcnt vmcnt(2)
	v_and_b32_e32 v4, 0xf0f0f0f, v15
	v_and_b32_e32 v5, 16, v5
	;; [unrolled: 1-line block ×3, first 2 shown]
	v_or3_b32 v5, v5, v4, v6
	v_lshlrev_b32_e32 v6, 18, v3
	v_lshlrev_b32_e32 v7, 25, v3
	v_and_b32_e32 v6, 0x100000, v6
	v_and_b32_e32 v7, 0x10000000, v7
	v_or3_b32 v4, v4, v6, v7
	v_and_b32_e32 v6, 0x1f00, v5
	v_lshlrev_b16_e32 v5, 8, v5
	v_add_u16_e32 v5, 0xf000, v5
	v_or_b32_sdwa v5, v6, v5 dst_sel:DWORD dst_unused:UNUSED_PAD src0_sel:DWORD src1_sel:BYTE_1
	v_and_b32_sdwa v6, v4, s19 dst_sel:DWORD dst_unused:UNUSED_PAD src0_sel:WORD_1 src1_sel:DWORD
	v_lshlrev_b16_sdwa v4, v152, v4 dst_sel:DWORD dst_unused:UNUSED_PAD src0_sel:DWORD src1_sel:WORD_1
	v_add_u16_e32 v4, 0xf000, v4
	v_or_b32_sdwa v4, v6, v4 dst_sel:DWORD dst_unused:UNUSED_PAD src0_sel:DWORD src1_sel:BYTE_1
	v_add_u16_e32 v5, 0xf000, v5
	v_add_u16_sdwa v4, v4, s22 dst_sel:WORD_1 dst_unused:UNUSED_PAD src0_sel:DWORD src1_sel:DWORD
	v_or_b32_e32 v8, v5, v4
	v_lshrrev_b32_e32 v4, 4, v15
	v_and_b32_e32 v9, 0xf0f0f0f, v4
	v_lshrrev_b32_e32 v4, 12, v3
	v_and_b32_e32 v10, 16, v4
	v_add_co_u32_e32 v4, vcc, s8, v94
	v_addc_co_u32_e32 v5, vcc, v61, v2, vcc
	v_add_co_u32_e32 v6, vcc, s8, v96
	v_addc_co_u32_e32 v7, vcc, v63, v2, vcc
	v_lshrrev_b32_e32 v11, 5, v3
	global_load_dword v14, v[6:7], off
	global_load_dword v15, v[4:5], off offset:6
	v_lshlrev_b32_e32 v5, 2, v3
	v_and_b32_e32 v4, 0x1000, v11
	v_and_b32_e32 v5, 0x100000, v5
	v_lshlrev_b32_e32 v3, 9, v3
	v_and_b32_e32 v3, 0x10000000, v3
	v_or3_b32 v4, v4, v10, v5
	v_or3_b32 v3, v4, v3, v9
	v_lshlrev_b16_e32 v5, 8, v3
	v_and_b32_e32 v4, 0x1f00, v3
	v_add_i16 v5, v5, s22 clamp
	v_or_b32_sdwa v4, v4, v5 dst_sel:DWORD dst_unused:UNUSED_PAD src0_sel:DWORD src1_sel:BYTE_1
	v_and_b32_sdwa v5, v3, s23 dst_sel:DWORD dst_unused:UNUSED_PAD src0_sel:WORD_1 src1_sel:DWORD
	v_add_i16 v5, v5, s22 clamp
	v_lshlrev_b16_sdwa v3, v152, v3 dst_sel:DWORD dst_unused:UNUSED_PAD src0_sel:DWORD src1_sel:WORD_1
	v_and_b32_e32 v5, 0xffffff00, v5
	v_add_i16 v3, v3, s22 clamp
	v_add_u16_e32 v4, 0xf000, v4
	v_or_b32_sdwa v3, v3, v5 dst_sel:WORD_1 dst_unused:UNUSED_PAD src0_sel:BYTE_1 src1_sel:DWORD
	v_or_b32_e32 v3, v4, v3
	ds_write2_b32 v36, v8, v3 offset1:1
	s_waitcnt vmcnt(3)
	v_ashrrev_i32_e32 v3, v101, v12
	v_lshlrev_b32_e32 v5, 4, v3
	v_lshlrev_b32_e32 v6, 11, v3
	s_waitcnt vmcnt(2)
	v_and_b32_e32 v4, 0xf0f0f0f, v13
	v_and_b32_e32 v5, 16, v5
	v_and_b32_e32 v6, 0x1000, v6
	v_or3_b32 v5, v5, v4, v6
	v_lshlrev_b32_e32 v6, 18, v3
	v_lshlrev_b32_e32 v7, 25, v3
	v_and_b32_e32 v6, 0x100000, v6
	v_and_b32_e32 v7, 0x10000000, v7
	v_or3_b32 v4, v4, v6, v7
	v_and_b32_e32 v6, 0x1f00, v5
	v_lshlrev_b16_e32 v5, 8, v5
	v_add_u16_e32 v5, 0xf000, v5
	v_or_b32_sdwa v5, v6, v5 dst_sel:DWORD dst_unused:UNUSED_PAD src0_sel:DWORD src1_sel:BYTE_1
	v_and_b32_sdwa v6, v4, s19 dst_sel:DWORD dst_unused:UNUSED_PAD src0_sel:WORD_1 src1_sel:DWORD
	v_lshlrev_b16_sdwa v4, v152, v4 dst_sel:DWORD dst_unused:UNUSED_PAD src0_sel:DWORD src1_sel:WORD_1
	v_add_u16_e32 v4, 0xf000, v4
	v_or_b32_sdwa v4, v6, v4 dst_sel:DWORD dst_unused:UNUSED_PAD src0_sel:DWORD src1_sel:BYTE_1
	v_add_u16_e32 v5, 0xf000, v5
	v_add_u16_sdwa v4, v4, s22 dst_sel:WORD_1 dst_unused:UNUSED_PAD src0_sel:DWORD src1_sel:DWORD
	v_or_b32_e32 v8, v5, v4
	v_lshrrev_b32_e32 v4, 4, v13
	v_and_b32_e32 v9, 0xf0f0f0f, v4
	v_lshrrev_b32_e32 v4, 12, v3
	v_and_b32_e32 v10, 16, v4
	v_add_co_u32_e32 v4, vcc, s8, v98
	v_addc_co_u32_e32 v5, vcc, v65, v2, vcc
	v_add_co_u32_e32 v6, vcc, s8, v100
	v_addc_co_u32_e32 v7, vcc, v67, v2, vcc
	global_load_dword v12, v[6:7], off
	global_load_dword v13, v[4:5], off offset:6
	v_lshrrev_b32_e32 v11, 5, v3
	v_lshlrev_b32_e32 v5, 2, v3
	v_and_b32_e32 v4, 0x1000, v11
	v_and_b32_e32 v5, 0x100000, v5
	v_lshlrev_b32_e32 v3, 9, v3
	v_and_b32_e32 v3, 0x10000000, v3
	v_or3_b32 v4, v4, v10, v5
	v_or3_b32 v3, v4, v3, v9
	v_lshlrev_b16_e32 v5, 8, v3
	v_and_b32_e32 v4, 0x1f00, v3
	v_add_i16 v5, v5, s22 clamp
	v_or_b32_sdwa v4, v4, v5 dst_sel:DWORD dst_unused:UNUSED_PAD src0_sel:DWORD src1_sel:BYTE_1
	v_and_b32_sdwa v5, v3, s23 dst_sel:DWORD dst_unused:UNUSED_PAD src0_sel:WORD_1 src1_sel:DWORD
	v_add_i16 v5, v5, s22 clamp
	v_lshlrev_b16_sdwa v3, v152, v3 dst_sel:DWORD dst_unused:UNUSED_PAD src0_sel:DWORD src1_sel:WORD_1
	v_and_b32_e32 v5, 0xffffff00, v5
	v_add_i16 v3, v3, s22 clamp
	v_add_u16_e32 v4, 0xf000, v4
	v_or_b32_sdwa v3, v3, v5 dst_sel:WORD_1 dst_unused:UNUSED_PAD src0_sel:BYTE_1 src1_sel:DWORD
	v_or_b32_e32 v3, v4, v3
	ds_write2_b32 v38, v8, v3 offset1:1
	s_waitcnt vmcnt(3)
	v_ashrrev_i32_e32 v3, v101, v14
	v_lshlrev_b32_e32 v5, 4, v3
	v_lshlrev_b32_e32 v6, 11, v3
	s_waitcnt vmcnt(2)
	v_and_b32_e32 v4, 0xf0f0f0f, v15
	v_and_b32_e32 v5, 16, v5
	;; [unrolled: 1-line block ×3, first 2 shown]
	v_or3_b32 v5, v5, v4, v6
	v_lshlrev_b32_e32 v6, 18, v3
	v_lshlrev_b32_e32 v7, 25, v3
	v_and_b32_e32 v6, 0x100000, v6
	v_and_b32_e32 v7, 0x10000000, v7
	v_or3_b32 v4, v4, v6, v7
	v_and_b32_e32 v6, 0x1f00, v5
	v_lshlrev_b16_e32 v5, 8, v5
	v_add_u16_e32 v5, 0xf000, v5
	v_or_b32_sdwa v5, v6, v5 dst_sel:DWORD dst_unused:UNUSED_PAD src0_sel:DWORD src1_sel:BYTE_1
	v_and_b32_sdwa v6, v4, s19 dst_sel:DWORD dst_unused:UNUSED_PAD src0_sel:WORD_1 src1_sel:DWORD
	v_lshlrev_b16_sdwa v4, v152, v4 dst_sel:DWORD dst_unused:UNUSED_PAD src0_sel:DWORD src1_sel:WORD_1
	v_add_u16_e32 v4, 0xf000, v4
	v_or_b32_sdwa v4, v6, v4 dst_sel:DWORD dst_unused:UNUSED_PAD src0_sel:DWORD src1_sel:BYTE_1
	v_add_u16_e32 v5, 0xf000, v5
	v_add_u16_sdwa v4, v4, s22 dst_sel:WORD_1 dst_unused:UNUSED_PAD src0_sel:DWORD src1_sel:DWORD
	v_or_b32_e32 v8, v5, v4
	v_lshrrev_b32_e32 v4, 4, v15
	v_and_b32_e32 v9, 0xf0f0f0f, v4
	v_lshrrev_b32_e32 v4, 12, v3
	v_and_b32_e32 v10, 16, v4
	v_add_co_u32_e32 v4, vcc, s8, v102
	v_addc_co_u32_e32 v5, vcc, v69, v2, vcc
	v_add_co_u32_e32 v6, vcc, s8, v104
	v_addc_co_u32_e32 v7, vcc, v71, v2, vcc
	v_lshrrev_b32_e32 v11, 5, v3
	global_load_dword v14, v[6:7], off
	global_load_dword v15, v[4:5], off offset:6
	v_lshlrev_b32_e32 v5, 2, v3
	v_and_b32_e32 v4, 0x1000, v11
	v_and_b32_e32 v5, 0x100000, v5
	v_lshlrev_b32_e32 v3, 9, v3
	v_and_b32_e32 v3, 0x10000000, v3
	v_or3_b32 v4, v4, v10, v5
	v_or3_b32 v3, v4, v3, v9
	v_lshlrev_b16_e32 v5, 8, v3
	v_and_b32_e32 v4, 0x1f00, v3
	v_add_i16 v5, v5, s22 clamp
	v_or_b32_sdwa v4, v4, v5 dst_sel:DWORD dst_unused:UNUSED_PAD src0_sel:DWORD src1_sel:BYTE_1
	v_and_b32_sdwa v5, v3, s23 dst_sel:DWORD dst_unused:UNUSED_PAD src0_sel:WORD_1 src1_sel:DWORD
	v_add_i16 v5, v5, s22 clamp
	v_lshlrev_b16_sdwa v3, v152, v3 dst_sel:DWORD dst_unused:UNUSED_PAD src0_sel:DWORD src1_sel:WORD_1
	v_and_b32_e32 v5, 0xffffff00, v5
	v_add_i16 v3, v3, s22 clamp
	v_add_u16_e32 v4, 0xf000, v4
	v_or_b32_sdwa v3, v3, v5 dst_sel:WORD_1 dst_unused:UNUSED_PAD src0_sel:BYTE_1 src1_sel:DWORD
	v_or_b32_e32 v3, v4, v3
	ds_write2_b32 v40, v8, v3 offset1:1
	s_waitcnt vmcnt(3)
	v_ashrrev_i32_e32 v3, v101, v12
	v_lshlrev_b32_e32 v5, 4, v3
	v_lshlrev_b32_e32 v6, 11, v3
	s_waitcnt vmcnt(2)
	v_and_b32_e32 v4, 0xf0f0f0f, v13
	v_and_b32_e32 v5, 16, v5
	;; [unrolled: 1-line block ×3, first 2 shown]
	v_or3_b32 v5, v5, v4, v6
	v_lshlrev_b32_e32 v6, 18, v3
	v_lshlrev_b32_e32 v7, 25, v3
	v_and_b32_e32 v6, 0x100000, v6
	v_and_b32_e32 v7, 0x10000000, v7
	v_or3_b32 v4, v4, v6, v7
	v_and_b32_e32 v6, 0x1f00, v5
	v_lshlrev_b16_e32 v5, 8, v5
	v_add_u16_e32 v5, 0xf000, v5
	v_or_b32_sdwa v5, v6, v5 dst_sel:DWORD dst_unused:UNUSED_PAD src0_sel:DWORD src1_sel:BYTE_1
	v_and_b32_sdwa v6, v4, s19 dst_sel:DWORD dst_unused:UNUSED_PAD src0_sel:WORD_1 src1_sel:DWORD
	v_lshlrev_b16_sdwa v4, v152, v4 dst_sel:DWORD dst_unused:UNUSED_PAD src0_sel:DWORD src1_sel:WORD_1
	v_add_u16_e32 v4, 0xf000, v4
	v_or_b32_sdwa v4, v6, v4 dst_sel:DWORD dst_unused:UNUSED_PAD src0_sel:DWORD src1_sel:BYTE_1
	v_add_u16_e32 v5, 0xf000, v5
	v_add_u16_sdwa v4, v4, s22 dst_sel:WORD_1 dst_unused:UNUSED_PAD src0_sel:DWORD src1_sel:DWORD
	v_or_b32_e32 v8, v5, v4
	v_lshrrev_b32_e32 v4, 4, v13
	v_and_b32_e32 v9, 0xf0f0f0f, v4
	v_lshrrev_b32_e32 v4, 12, v3
	v_and_b32_e32 v10, 16, v4
	v_add_co_u32_e32 v4, vcc, s8, v106
	v_addc_co_u32_e32 v5, vcc, v73, v2, vcc
	v_add_co_u32_e32 v6, vcc, s8, v108
	v_addc_co_u32_e32 v7, vcc, v75, v2, vcc
	global_load_dword v12, v[6:7], off
	global_load_dword v13, v[4:5], off offset:6
	v_lshrrev_b32_e32 v11, 5, v3
	v_lshlrev_b32_e32 v5, 2, v3
	v_and_b32_e32 v4, 0x1000, v11
	v_and_b32_e32 v5, 0x100000, v5
	v_lshlrev_b32_e32 v3, 9, v3
	v_and_b32_e32 v3, 0x10000000, v3
	v_or3_b32 v4, v4, v10, v5
	v_or3_b32 v3, v4, v3, v9
	v_lshlrev_b16_e32 v5, 8, v3
	v_and_b32_e32 v4, 0x1f00, v3
	v_add_i16 v5, v5, s22 clamp
	v_or_b32_sdwa v4, v4, v5 dst_sel:DWORD dst_unused:UNUSED_PAD src0_sel:DWORD src1_sel:BYTE_1
	v_and_b32_sdwa v5, v3, s23 dst_sel:DWORD dst_unused:UNUSED_PAD src0_sel:WORD_1 src1_sel:DWORD
	v_add_i16 v5, v5, s22 clamp
	v_lshlrev_b16_sdwa v3, v152, v3 dst_sel:DWORD dst_unused:UNUSED_PAD src0_sel:DWORD src1_sel:WORD_1
	v_and_b32_e32 v5, 0xffffff00, v5
	v_add_i16 v3, v3, s22 clamp
	v_add_u16_e32 v4, 0xf000, v4
	v_or_b32_sdwa v3, v3, v5 dst_sel:WORD_1 dst_unused:UNUSED_PAD src0_sel:BYTE_1 src1_sel:DWORD
	v_or_b32_e32 v3, v4, v3
	ds_write2_b32 v42, v8, v3 offset1:1
	s_waitcnt vmcnt(3)
	v_ashrrev_i32_e32 v3, v101, v14
	v_lshlrev_b32_e32 v5, 4, v3
	v_lshlrev_b32_e32 v6, 11, v3
	s_waitcnt vmcnt(2)
	v_and_b32_e32 v4, 0xf0f0f0f, v15
	v_and_b32_e32 v5, 16, v5
	;; [unrolled: 1-line block ×3, first 2 shown]
	v_or3_b32 v5, v5, v4, v6
	v_lshlrev_b32_e32 v6, 18, v3
	v_lshlrev_b32_e32 v7, 25, v3
	v_and_b32_e32 v6, 0x100000, v6
	v_and_b32_e32 v7, 0x10000000, v7
	v_or3_b32 v4, v4, v6, v7
	v_and_b32_e32 v6, 0x1f00, v5
	v_lshlrev_b16_e32 v5, 8, v5
	v_add_u16_e32 v5, 0xf000, v5
	v_or_b32_sdwa v5, v6, v5 dst_sel:DWORD dst_unused:UNUSED_PAD src0_sel:DWORD src1_sel:BYTE_1
	v_and_b32_sdwa v6, v4, s19 dst_sel:DWORD dst_unused:UNUSED_PAD src0_sel:WORD_1 src1_sel:DWORD
	v_lshlrev_b16_sdwa v4, v152, v4 dst_sel:DWORD dst_unused:UNUSED_PAD src0_sel:DWORD src1_sel:WORD_1
	v_add_u16_e32 v4, 0xf000, v4
	v_or_b32_sdwa v4, v6, v4 dst_sel:DWORD dst_unused:UNUSED_PAD src0_sel:DWORD src1_sel:BYTE_1
	v_add_u16_e32 v5, 0xf000, v5
	v_add_u16_sdwa v4, v4, s22 dst_sel:WORD_1 dst_unused:UNUSED_PAD src0_sel:DWORD src1_sel:DWORD
	v_or_b32_e32 v8, v5, v4
	v_lshrrev_b32_e32 v4, 4, v15
	v_and_b32_e32 v9, 0xf0f0f0f, v4
	v_lshrrev_b32_e32 v4, 12, v3
	v_and_b32_e32 v10, 16, v4
	v_add_co_u32_e32 v4, vcc, s8, v110
	v_addc_co_u32_e32 v5, vcc, v77, v2, vcc
	v_add_co_u32_e32 v6, vcc, s8, v112
	v_addc_co_u32_e32 v7, vcc, v79, v2, vcc
	v_lshrrev_b32_e32 v11, 5, v3
	global_load_dword v14, v[6:7], off
	global_load_dword v15, v[4:5], off offset:6
	v_lshlrev_b32_e32 v5, 2, v3
	v_and_b32_e32 v4, 0x1000, v11
	v_and_b32_e32 v5, 0x100000, v5
	v_lshlrev_b32_e32 v3, 9, v3
	v_and_b32_e32 v3, 0x10000000, v3
	v_or3_b32 v4, v4, v10, v5
	v_or3_b32 v3, v4, v3, v9
	v_lshlrev_b16_e32 v5, 8, v3
	v_and_b32_e32 v4, 0x1f00, v3
	v_add_i16 v5, v5, s22 clamp
	v_or_b32_sdwa v4, v4, v5 dst_sel:DWORD dst_unused:UNUSED_PAD src0_sel:DWORD src1_sel:BYTE_1
	v_and_b32_sdwa v5, v3, s23 dst_sel:DWORD dst_unused:UNUSED_PAD src0_sel:WORD_1 src1_sel:DWORD
	v_add_i16 v5, v5, s22 clamp
	v_lshlrev_b16_sdwa v3, v152, v3 dst_sel:DWORD dst_unused:UNUSED_PAD src0_sel:DWORD src1_sel:WORD_1
	v_and_b32_e32 v5, 0xffffff00, v5
	v_add_i16 v3, v3, s22 clamp
	v_add_u16_e32 v4, 0xf000, v4
	v_or_b32_sdwa v3, v3, v5 dst_sel:WORD_1 dst_unused:UNUSED_PAD src0_sel:BYTE_1 src1_sel:DWORD
	v_or_b32_e32 v3, v4, v3
	ds_write2_b32 v44, v8, v3 offset1:1
	s_waitcnt vmcnt(3)
	v_ashrrev_i32_e32 v3, v101, v12
	v_lshlrev_b32_e32 v5, 4, v3
	v_lshlrev_b32_e32 v6, 11, v3
	s_waitcnt vmcnt(2)
	v_and_b32_e32 v4, 0xf0f0f0f, v13
	v_and_b32_e32 v5, 16, v5
	;; [unrolled: 1-line block ×3, first 2 shown]
	v_or3_b32 v5, v5, v4, v6
	v_lshlrev_b32_e32 v6, 18, v3
	v_lshlrev_b32_e32 v7, 25, v3
	v_and_b32_e32 v6, 0x100000, v6
	v_and_b32_e32 v7, 0x10000000, v7
	v_or3_b32 v4, v4, v6, v7
	v_and_b32_e32 v6, 0x1f00, v5
	v_lshlrev_b16_e32 v5, 8, v5
	v_add_u16_e32 v5, 0xf000, v5
	v_or_b32_sdwa v5, v6, v5 dst_sel:DWORD dst_unused:UNUSED_PAD src0_sel:DWORD src1_sel:BYTE_1
	v_and_b32_sdwa v6, v4, s19 dst_sel:DWORD dst_unused:UNUSED_PAD src0_sel:WORD_1 src1_sel:DWORD
	v_lshlrev_b16_sdwa v4, v152, v4 dst_sel:DWORD dst_unused:UNUSED_PAD src0_sel:DWORD src1_sel:WORD_1
	v_add_u16_e32 v4, 0xf000, v4
	v_or_b32_sdwa v4, v6, v4 dst_sel:DWORD dst_unused:UNUSED_PAD src0_sel:DWORD src1_sel:BYTE_1
	v_add_u16_e32 v5, 0xf000, v5
	v_add_u16_sdwa v4, v4, s22 dst_sel:WORD_1 dst_unused:UNUSED_PAD src0_sel:DWORD src1_sel:DWORD
	v_or_b32_e32 v8, v5, v4
	v_lshrrev_b32_e32 v4, 4, v13
	v_and_b32_e32 v9, 0xf0f0f0f, v4
	v_lshrrev_b32_e32 v4, 12, v3
	v_and_b32_e32 v10, 16, v4
	v_add_co_u32_e32 v4, vcc, s8, v114
	v_addc_co_u32_e32 v5, vcc, v81, v2, vcc
	v_add_co_u32_e32 v6, vcc, s8, v116
	v_addc_co_u32_e32 v7, vcc, v83, v2, vcc
	global_load_dword v12, v[6:7], off
	global_load_dword v13, v[4:5], off offset:6
	v_lshrrev_b32_e32 v11, 5, v3
	v_lshlrev_b32_e32 v5, 2, v3
	v_and_b32_e32 v4, 0x1000, v11
	v_and_b32_e32 v5, 0x100000, v5
	v_lshlrev_b32_e32 v3, 9, v3
	v_and_b32_e32 v3, 0x10000000, v3
	v_or3_b32 v4, v4, v10, v5
	v_or3_b32 v3, v4, v3, v9
	v_lshlrev_b16_e32 v5, 8, v3
	v_and_b32_e32 v4, 0x1f00, v3
	v_add_i16 v5, v5, s22 clamp
	v_or_b32_sdwa v4, v4, v5 dst_sel:DWORD dst_unused:UNUSED_PAD src0_sel:DWORD src1_sel:BYTE_1
	v_and_b32_sdwa v5, v3, s23 dst_sel:DWORD dst_unused:UNUSED_PAD src0_sel:WORD_1 src1_sel:DWORD
	v_add_i16 v5, v5, s22 clamp
	v_lshlrev_b16_sdwa v3, v152, v3 dst_sel:DWORD dst_unused:UNUSED_PAD src0_sel:DWORD src1_sel:WORD_1
	v_and_b32_e32 v5, 0xffffff00, v5
	v_add_i16 v3, v3, s22 clamp
	v_add_u16_e32 v4, 0xf000, v4
	v_or_b32_sdwa v3, v3, v5 dst_sel:WORD_1 dst_unused:UNUSED_PAD src0_sel:BYTE_1 src1_sel:DWORD
	v_or_b32_e32 v3, v4, v3
	ds_write2_b32 v46, v8, v3 offset1:1
	s_waitcnt vmcnt(3)
	v_ashrrev_i32_e32 v3, v101, v14
	v_lshlrev_b32_e32 v5, 4, v3
	v_lshlrev_b32_e32 v6, 11, v3
	s_waitcnt vmcnt(2)
	v_and_b32_e32 v4, 0xf0f0f0f, v15
	v_and_b32_e32 v5, 16, v5
	;; [unrolled: 1-line block ×3, first 2 shown]
	v_or3_b32 v5, v5, v4, v6
	v_lshlrev_b32_e32 v6, 18, v3
	v_lshlrev_b32_e32 v7, 25, v3
	v_and_b32_e32 v6, 0x100000, v6
	v_and_b32_e32 v7, 0x10000000, v7
	v_or3_b32 v4, v4, v6, v7
	v_and_b32_e32 v6, 0x1f00, v5
	v_lshlrev_b16_e32 v5, 8, v5
	v_add_u16_e32 v5, 0xf000, v5
	v_or_b32_sdwa v5, v6, v5 dst_sel:DWORD dst_unused:UNUSED_PAD src0_sel:DWORD src1_sel:BYTE_1
	v_and_b32_sdwa v6, v4, s19 dst_sel:DWORD dst_unused:UNUSED_PAD src0_sel:WORD_1 src1_sel:DWORD
	v_lshlrev_b16_sdwa v4, v152, v4 dst_sel:DWORD dst_unused:UNUSED_PAD src0_sel:DWORD src1_sel:WORD_1
	v_add_u16_e32 v4, 0xf000, v4
	v_or_b32_sdwa v4, v6, v4 dst_sel:DWORD dst_unused:UNUSED_PAD src0_sel:DWORD src1_sel:BYTE_1
	v_add_u16_e32 v5, 0xf000, v5
	v_add_u16_sdwa v4, v4, s22 dst_sel:WORD_1 dst_unused:UNUSED_PAD src0_sel:DWORD src1_sel:DWORD
	v_or_b32_e32 v8, v5, v4
	v_lshrrev_b32_e32 v5, 12, v3
	v_lshrrev_b32_e32 v6, 5, v3
	v_lshlrev_b32_e32 v7, 2, v3
	v_lshrrev_b32_e32 v4, 4, v15
	v_and_b32_e32 v5, 16, v5
	v_and_b32_e32 v6, 0x1000, v6
	;; [unrolled: 1-line block ×3, first 2 shown]
	v_lshlrev_b32_e32 v3, 9, v3
	v_and_b32_e32 v4, 0xf0f0f0f, v4
	v_and_b32_e32 v3, 0x10000000, v3
	v_or3_b32 v5, v6, v5, v7
	v_or3_b32 v3, v5, v3, v4
	v_lshlrev_b16_e32 v4, 8, v3
	v_add_i16 v10, v4, s22 clamp
	v_add_co_u32_e32 v4, vcc, s8, v118
	v_addc_co_u32_e32 v5, vcc, v85, v2, vcc
	v_add_co_u32_e32 v6, vcc, s8, v120
	v_addc_co_u32_e32 v7, vcc, v87, v2, vcc
	global_load_dword v6, v[6:7], off
	s_nop 0
	global_load_dword v7, v[4:5], off offset:6
	v_and_b32_sdwa v5, v3, s23 dst_sel:DWORD dst_unused:UNUSED_PAD src0_sel:WORD_1 src1_sel:DWORD
	v_and_b32_e32 v9, 0x1f00, v3
	v_add_i16 v5, v5, s22 clamp
	v_lshlrev_b16_sdwa v3, v152, v3 dst_sel:DWORD dst_unused:UNUSED_PAD src0_sel:DWORD src1_sel:WORD_1
	v_or_b32_sdwa v4, v9, v10 dst_sel:DWORD dst_unused:UNUSED_PAD src0_sel:DWORD src1_sel:BYTE_1
	v_and_b32_e32 v5, 0xffffff00, v5
	v_add_i16 v3, v3, s22 clamp
	v_add_u16_e32 v4, 0xf000, v4
	v_or_b32_sdwa v3, v3, v5 dst_sel:WORD_1 dst_unused:UNUSED_PAD src0_sel:BYTE_1 src1_sel:DWORD
	v_or_b32_e32 v3, v4, v3
	ds_write2_b32 v48, v8, v3 offset1:1
	s_waitcnt vmcnt(3)
	v_ashrrev_i32_e32 v3, v101, v12
	v_lshlrev_b32_e32 v5, 4, v3
	v_lshlrev_b32_e32 v8, 11, v3
	s_waitcnt vmcnt(2)
	v_and_b32_e32 v4, 0xf0f0f0f, v13
	v_and_b32_e32 v5, 16, v5
	;; [unrolled: 1-line block ×3, first 2 shown]
	v_or3_b32 v5, v5, v4, v8
	v_lshlrev_b32_e32 v8, 18, v3
	v_lshlrev_b32_e32 v9, 25, v3
	v_and_b32_e32 v8, 0x100000, v8
	v_and_b32_e32 v9, 0x10000000, v9
	v_or3_b32 v4, v4, v8, v9
	v_and_b32_e32 v8, 0x1f00, v5
	v_lshlrev_b16_e32 v5, 8, v5
	v_add_u16_e32 v5, 0xf000, v5
	v_or_b32_sdwa v5, v8, v5 dst_sel:DWORD dst_unused:UNUSED_PAD src0_sel:DWORD src1_sel:BYTE_1
	v_add_u16_e32 v8, 0xf000, v5
	v_and_b32_sdwa v5, v4, s19 dst_sel:DWORD dst_unused:UNUSED_PAD src0_sel:WORD_1 src1_sel:DWORD
	v_lshlrev_b16_sdwa v4, v152, v4 dst_sel:DWORD dst_unused:UNUSED_PAD src0_sel:DWORD src1_sel:WORD_1
	v_add_u16_e32 v4, 0xf000, v4
	v_or_b32_sdwa v4, v5, v4 dst_sel:DWORD dst_unused:UNUSED_PAD src0_sel:DWORD src1_sel:BYTE_1
	v_add_u16_sdwa v9, v4, s22 dst_sel:WORD_1 dst_unused:UNUSED_PAD src0_sel:DWORD src1_sel:DWORD
	v_add_co_u32_e32 v4, vcc, s8, v122
	v_addc_co_u32_e32 v5, vcc, v89, v2, vcc
	global_load_ushort v10, v[4:5], off
	v_add_co_u32_e32 v4, vcc, s8, v124
	v_addc_co_u32_e32 v5, vcc, v91, v2, vcc
	global_load_ushort v11, v[4:5], off
	;; [unrolled: 3-line block ×4, first 2 shown]
	v_or_b32_e32 v4, v8, v9
	v_lshrrev_b32_e32 v5, 4, v13
	v_lshrrev_b32_e32 v8, 12, v3
	v_lshrrev_b32_e32 v9, 5, v3
	v_lshlrev_b32_e32 v13, 2, v3
	v_and_b32_e32 v8, 16, v8
	v_and_b32_e32 v9, 0x1000, v9
	;; [unrolled: 1-line block ×3, first 2 shown]
	v_lshlrev_b32_e32 v3, 9, v3
	v_and_b32_e32 v5, 0xf0f0f0f, v5
	v_and_b32_e32 v3, 0x10000000, v3
	v_or3_b32 v8, v9, v8, v13
	v_or3_b32 v3, v8, v3, v5
	v_lshlrev_b16_e32 v8, 8, v3
	v_and_b32_e32 v5, 0x1f00, v3
	v_add_i16 v8, v8, s22 clamp
	v_or_b32_sdwa v5, v5, v8 dst_sel:DWORD dst_unused:UNUSED_PAD src0_sel:DWORD src1_sel:BYTE_1
	v_and_b32_sdwa v8, v3, s23 dst_sel:DWORD dst_unused:UNUSED_PAD src0_sel:WORD_1 src1_sel:DWORD
	v_add_i16 v8, v8, s22 clamp
	v_lshlrev_b16_sdwa v3, v152, v3 dst_sel:DWORD dst_unused:UNUSED_PAD src0_sel:DWORD src1_sel:WORD_1
	v_and_b32_e32 v8, 0xffffff00, v8
	v_add_i16 v3, v3, s22 clamp
	v_add_u16_e32 v5, 0xf000, v5
	v_or_b32_sdwa v3, v3, v8 dst_sel:WORD_1 dst_unused:UNUSED_PAD src0_sel:BYTE_1 src1_sel:DWORD
	v_or_b32_e32 v3, v5, v3
	ds_write2_b32 v50, v4, v3 offset1:1
	s_waitcnt vmcnt(5)
	v_ashrrev_i32_e32 v3, v101, v6
	v_lshlrev_b32_e32 v5, 4, v3
	v_lshlrev_b32_e32 v6, 11, v3
	s_waitcnt vmcnt(4)
	v_and_b32_e32 v4, 0xf0f0f0f, v7
	v_and_b32_e32 v5, 16, v5
	;; [unrolled: 1-line block ×3, first 2 shown]
	v_or3_b32 v5, v5, v4, v6
	v_lshlrev_b32_e32 v6, 18, v3
	v_lshlrev_b32_e32 v8, 25, v3
	v_and_b32_e32 v6, 0x100000, v6
	v_and_b32_e32 v8, 0x10000000, v8
	v_or3_b32 v4, v4, v6, v8
	v_and_b32_e32 v6, 0x1f00, v5
	v_lshlrev_b16_e32 v5, 8, v5
	v_add_u16_e32 v5, 0xf000, v5
	v_or_b32_sdwa v5, v6, v5 dst_sel:DWORD dst_unused:UNUSED_PAD src0_sel:DWORD src1_sel:BYTE_1
	v_and_b32_sdwa v6, v4, s19 dst_sel:DWORD dst_unused:UNUSED_PAD src0_sel:WORD_1 src1_sel:DWORD
	v_lshlrev_b16_sdwa v4, v152, v4 dst_sel:DWORD dst_unused:UNUSED_PAD src0_sel:DWORD src1_sel:WORD_1
	v_add_u16_e32 v4, 0xf000, v4
	v_or_b32_sdwa v4, v6, v4 dst_sel:DWORD dst_unused:UNUSED_PAD src0_sel:DWORD src1_sel:BYTE_1
	v_add_u16_e32 v5, 0xf000, v5
	v_add_u16_sdwa v4, v4, s22 dst_sel:WORD_1 dst_unused:UNUSED_PAD src0_sel:DWORD src1_sel:DWORD
	v_or_b32_e32 v4, v5, v4
	v_lshrrev_b32_e32 v5, 4, v7
	v_lshrrev_b32_e32 v6, 12, v3
	;; [unrolled: 1-line block ×3, first 2 shown]
	v_lshlrev_b32_e32 v8, 2, v3
	v_and_b32_e32 v6, 16, v6
	v_and_b32_e32 v7, 0x1000, v7
	;; [unrolled: 1-line block ×3, first 2 shown]
	v_lshlrev_b32_e32 v3, 9, v3
	v_and_b32_e32 v5, 0xf0f0f0f, v5
	v_and_b32_e32 v3, 0x10000000, v3
	v_or3_b32 v6, v7, v6, v8
	v_or3_b32 v3, v6, v3, v5
	v_lshlrev_b16_e32 v6, 8, v3
	v_and_b32_e32 v5, 0x1f00, v3
	v_add_i16 v6, v6, s22 clamp
	v_or_b32_sdwa v5, v5, v6 dst_sel:DWORD dst_unused:UNUSED_PAD src0_sel:DWORD src1_sel:BYTE_1
	v_and_b32_sdwa v6, v3, s23 dst_sel:DWORD dst_unused:UNUSED_PAD src0_sel:WORD_1 src1_sel:DWORD
	v_add_i16 v6, v6, s22 clamp
	v_lshlrev_b16_sdwa v3, v152, v3 dst_sel:DWORD dst_unused:UNUSED_PAD src0_sel:DWORD src1_sel:WORD_1
	v_and_b32_e32 v6, 0xffffff00, v6
	v_add_i16 v3, v3, s22 clamp
	v_add_u16_e32 v5, 0xf000, v5
	v_or_b32_sdwa v3, v3, v6 dst_sel:WORD_1 dst_unused:UNUSED_PAD src0_sel:BYTE_1 src1_sel:DWORD
	v_or_b32_e32 v3, v5, v3
	s_waitcnt vmcnt(3)
	v_cvt_f32_f16_e32 v5, v10
	ds_write2_b32 v52, v4, v3 offset1:1
	s_waitcnt vmcnt(1)
	v_cvt_f32_f16_e32 v3, v12
	v_cvt_f32_f16_e32 v6, v11
	ds_write_b32 v148, v5
	ds_write_b32 v149, v6
	s_waitcnt vmcnt(0)
	v_cvt_f32_f16_e32 v2, v2
	ds_write_b32 v150, v3
	ds_write_b32 v151, v2
	s_cbranch_scc0 .LBB202_5
; %bb.7:                                ;   in Loop: Header=BB202_6 Depth=1
	v_add_u32_e32 v2, s18, v103
	v_cmp_gt_i32_e32 vcc, s12, v2
	s_and_b64 s[24:25], s[2:3], vcc
	s_and_saveexec_b64 s[4:5], s[24:25]
	s_cbranch_execz .LBB202_9
; %bb.8:                                ;   in Loop: Header=BB202_6 Depth=1
	v_add_u32_e32 v2, s18, v129
	v_mad_i64_i32 v[2:3], s[24:25], v2, 36, v[54:55]
	global_load_dword v2, v[2:3], off offset:4
	s_waitcnt vmcnt(0)
	ds_write_b32 v105, v2
.LBB202_9:                              ;   in Loop: Header=BB202_6 Depth=1
	s_or_b64 exec, exec, s[4:5]
	s_and_saveexec_b64 s[4:5], s[0:1]
	s_cbranch_execz .LBB202_12
; %bb.10:                               ;   in Loop: Header=BB202_6 Depth=1
	v_add_u32_e32 v2, s18, v99
	v_cmp_gt_i32_e32 vcc, s12, v2
	s_and_b64 s[24:25], s[2:3], vcc
	s_and_b64 exec, exec, s[24:25]
	s_cbranch_execz .LBB202_12
; %bb.11:                               ;   in Loop: Header=BB202_6 Depth=1
	v_add_u32_e32 v2, s18, v125
	v_mad_i64_i32 v[2:3], s[24:25], v2, 36, s[6:7]
	global_load_dword v2, v[2:3], off
	s_waitcnt vmcnt(0)
	v_cvt_f32_f16_e32 v2, v2
	ds_write_b32 v107, v2
.LBB202_12:                             ;   in Loop: Header=BB202_6 Depth=1
	s_or_b64 exec, exec, s[4:5]
	s_waitcnt lgkmcnt(0)
	s_barrier
	ds_read_b128 v[14:17], v109
	ds_read_b128 v[18:21], v109 offset:16
	ds_read_b128 v[2:5], v111
	ds_read2_b32 v[136:137], v113 offset1:1
	ds_read_b128 v[10:13], v109 offset:32
	ds_read_b128 v[6:9], v109 offset:48
	ds_read2_b32 v[134:135], v115 offset1:1
	ds_read2_b32 v[138:139], v113 offset0:2 offset1:3
	v_mov_b32_e32 v153, 0
	s_waitcnt lgkmcnt(4)
	v_dot4c_i32_i8_e32 v153, v136, v14
	v_dot4c_i32_i8_e32 v153, v137, v18
	ds_read2_b32 v[136:137], v113 offset0:4 offset1:5
	ds_read2_b32 v[140:141], v113 offset0:6 offset1:7
	;; [unrolled: 1-line block ×3, first 2 shown]
	s_waitcnt lgkmcnt(3)
	v_dot4c_i32_i8_e32 v153, v138, v15
	v_dot4c_i32_i8_e32 v153, v139, v19
	s_waitcnt lgkmcnt(2)
	v_dot4c_i32_i8_e32 v153, v136, v16
	v_add_u32_e32 v136, 0x2080, v113
	v_dot4c_i32_i8_e32 v153, v137, v20
	ds_read2_b32 v[144:145], v136 offset1:1
	s_waitcnt lgkmcnt(2)
	v_dot4c_i32_i8_e32 v153, v140, v17
	v_add_u32_e32 v140, 0x2088, v113
	v_dot4c_i32_i8_e32 v153, v141, v21
	ds_read2_b32 v[136:137], v117 offset1:1
	ds_read2_b32 v[138:139], v121 offset0:2 offset1:3
	ds_read2_b32 v[140:141], v140 offset1:1
	v_mov_b32_e32 v158, 0
	s_waitcnt lgkmcnt(3)
	v_dot4c_i32_i8_e32 v158, v144, v14
	v_add_u32_e32 v144, 0x2090, v113
	v_add_u32_e32 v146, 0x2098, v113
	v_add_u32_e32 v154, 0x4100, v113
	v_dot4c_i32_i8_e32 v158, v145, v18
	ds_read2_b32 v[144:145], v144 offset1:1
	ds_read2_b32 v[146:147], v146 offset1:1
	;; [unrolled: 1-line block ×3, first 2 shown]
	s_waitcnt lgkmcnt(3)
	v_dot4c_i32_i8_e32 v158, v140, v15
	v_dot4c_i32_i8_e32 v158, v141, v19
	s_waitcnt lgkmcnt(2)
	v_dot4c_i32_i8_e32 v158, v144, v16
	v_dot4c_i32_i8_e32 v158, v145, v20
	;; [unrolled: 3-line block ×3, first 2 shown]
	v_mov_b32_e32 v156, v134
	v_mov_b32_e32 v134, 0
	v_mov_b32_e32 v157, v136
	v_cvt_f32_i32_e32 v171, v158
	v_cvt_f32_i32_e32 v170, v153
	s_waitcnt lgkmcnt(0)
	v_dot4c_i32_i8_e32 v134, v154, v14
	v_add_u32_e32 v136, 0x4108, v113
	v_add_u32_e32 v153, 0x4110, v113
	;; [unrolled: 1-line block ×3, first 2 shown]
	ds_read2_b32 v[162:163], v113 offset0:26 offset1:27
	ds_read2_b32 v[164:165], v113 offset0:28 offset1:29
	;; [unrolled: 1-line block ×3, first 2 shown]
	ds_read2_b32 v[140:141], v119 offset1:1
	ds_read2_b32 v[144:145], v117 offset0:2 offset1:3
	ds_read2_b32 v[146:147], v115 offset0:2 offset1:3
	v_pk_mul_f32 v[168:169], v[2:3], v[156:157] op_sel_hi:[0,1]
	v_dot4c_i32_i8_e32 v134, v155, v18
	ds_read2_b32 v[154:155], v136 offset1:1
	v_add_u32_e32 v136, 0x6180, v113
	ds_read2_b32 v[156:157], v153 offset1:1
	ds_read2_b32 v[158:159], v158 offset1:1
	;; [unrolled: 1-line block ×3, first 2 shown]
	v_mov_b32_e32 v136, 0
	v_add_u32_e32 v153, 0x6198, v113
	s_waitcnt lgkmcnt(3)
	v_dot4c_i32_i8_e32 v134, v154, v15
	v_dot4c_i32_i8_e32 v134, v155, v19
	s_waitcnt lgkmcnt(0)
	v_dot4c_i32_i8_e32 v136, v160, v14
	v_add_u32_e32 v14, 0x6188, v113
	ds_read2_b32 v[154:155], v14 offset1:1
	v_dot4c_i32_i8_e32 v134, v156, v16
	v_dot4c_i32_i8_e32 v134, v157, v20
	;; [unrolled: 1-line block ×4, first 2 shown]
	v_add_u32_e32 v18, 0x6190, v113
	s_waitcnt lgkmcnt(0)
	v_dot4c_i32_i8_e32 v136, v154, v15
	v_dot4c_i32_i8_e32 v134, v159, v21
	v_add_u32_e32 v14, 0x20a0, v113
	ds_read2_b32 v[156:157], v18 offset1:1
	ds_read2_b32 v[158:159], v153 offset1:1
	;; [unrolled: 1-line block ×3, first 2 shown]
	v_dot4c_i32_i8_e32 v136, v155, v19
	ds_read2_b32 v[18:19], v121 offset1:1
	ds_read2_b32 v[14:15], v119 offset0:2 offset1:3
	ds_read2_b32 v[154:155], v113 offset0:10 offset1:11
	s_waitcnt lgkmcnt(5)
	v_dot4c_i32_i8_e32 v136, v156, v16
	v_dot4c_i32_i8_e32 v136, v157, v20
	s_waitcnt lgkmcnt(4)
	v_dot4c_i32_i8_e32 v136, v158, v17
	s_waitcnt lgkmcnt(2)
	v_mov_b32_e32 v17, v18
	v_mov_b32_e32 v18, 0
	v_dot4c_i32_i8_e32 v18, v142, v10
	v_dot4c_i32_i8_e32 v136, v159, v21
	;; [unrolled: 1-line block ×3, first 2 shown]
	ds_read2_b32 v[142:143], v113 offset0:12 offset1:13
	ds_read2_b32 v[156:157], v113 offset0:14 offset1:15
	;; [unrolled: 1-line block ×3, first 2 shown]
	s_waitcnt lgkmcnt(3)
	v_dot4c_i32_i8_e32 v18, v154, v11
	v_dot4c_i32_i8_e32 v18, v155, v7
	v_cvt_f32_i32_e32 v21, v136
	s_waitcnt lgkmcnt(2)
	v_dot4c_i32_i8_e32 v18, v142, v12
	v_add_u32_e32 v136, 0x20a8, v113
	v_dot4c_i32_i8_e32 v18, v143, v8
	ds_read2_b32 v[142:143], v136 offset1:1
	v_cvt_f32_i32_e32 v20, v134
	v_mov_b32_e32 v134, 0
	v_mov_b32_e32 v16, v140
	s_waitcnt lgkmcnt(2)
	v_dot4c_i32_i8_e32 v18, v156, v13
	v_dot4c_i32_i8_e32 v134, v160, v10
	v_add_u32_e32 v140, 0x20b0, v113
	v_dot4c_i32_i8_e32 v18, v157, v9
	v_dot4c_i32_i8_e32 v134, v161, v6
	v_add_u32_e32 v153, 0x20b8, v113
	v_add_u32_e32 v136, 0x4120, v113
	ds_read2_b32 v[154:155], v140 offset1:1
	ds_read2_b32 v[156:157], v153 offset1:1
	;; [unrolled: 1-line block ×3, first 2 shown]
	s_waitcnt lgkmcnt(3)
	v_dot4c_i32_i8_e32 v134, v142, v11
	v_dot4c_i32_i8_e32 v134, v143, v7
	s_waitcnt lgkmcnt(2)
	v_dot4c_i32_i8_e32 v134, v154, v12
	v_dot4c_i32_i8_e32 v134, v155, v8
	v_mov_b32_e32 v140, 0
	s_waitcnt lgkmcnt(1)
	v_dot4c_i32_i8_e32 v134, v156, v13
	s_waitcnt lgkmcnt(0)
	v_dot4c_i32_i8_e32 v140, v160, v10
	v_add_u32_e32 v136, 0x4128, v113
	v_add_u32_e32 v153, 0x4130, v113
	;; [unrolled: 1-line block ×3, first 2 shown]
	v_dot4c_i32_i8_e32 v134, v157, v9
	v_dot4c_i32_i8_e32 v140, v161, v6
	ds_read2_b32 v[142:143], v136 offset1:1
	v_add_u32_e32 v136, 0x61a0, v113
	ds_read2_b32 v[154:155], v153 offset1:1
	ds_read2_b32 v[156:157], v156 offset1:1
	;; [unrolled: 1-line block ×3, first 2 shown]
	v_mov_b32_e32 v153, 0
	v_add_u32_e32 v136, 0x61b8, v113
	s_waitcnt lgkmcnt(3)
	v_dot4c_i32_i8_e32 v140, v142, v11
	v_dot4c_i32_i8_e32 v140, v143, v7
	s_waitcnt lgkmcnt(0)
	v_dot4c_i32_i8_e32 v153, v160, v10
	v_dot4c_i32_i8_e32 v153, v161, v6
	v_add_u32_e32 v6, 0x61a8, v113
	ds_read2_b32 v[142:143], v6 offset1:1
	v_dot4c_i32_i8_e32 v140, v154, v12
	v_add_u32_e32 v10, 0x61b0, v113
	v_dot4c_i32_i8_e32 v140, v155, v8
	v_add_u32_e32 v6, 0x20c0, v113
	ds_read2_b32 v[154:155], v10 offset1:1
	ds_read2_b32 v[160:161], v136 offset1:1
	;; [unrolled: 1-line block ×3, first 2 shown]
	s_waitcnt lgkmcnt(3)
	v_dot4c_i32_i8_e32 v153, v142, v11
	v_dot4c_i32_i8_e32 v153, v143, v7
	;; [unrolled: 1-line block ×3, first 2 shown]
	s_waitcnt lgkmcnt(2)
	v_dot4c_i32_i8_e32 v153, v154, v12
	v_dot4c_i32_i8_e32 v140, v157, v9
	;; [unrolled: 1-line block ×3, first 2 shown]
	ds_read_b128 v[154:157], v109 offset:64
	s_waitcnt lgkmcnt(2)
	v_dot4c_i32_i8_e32 v153, v160, v13
	ds_read_b128 v[10:13], v109 offset:80
	ds_read2_b32 v[6:7], v113 offset0:18 offset1:19
	v_mov_b32_e32 v176, 0
	s_waitcnt lgkmcnt(2)
	v_dot4c_i32_i8_e32 v176, v158, v154
	v_dot4c_i32_i8_e32 v153, v161, v9
	s_waitcnt lgkmcnt(1)
	v_dot4c_i32_i8_e32 v176, v159, v10
	ds_read2_b32 v[8:9], v113 offset0:20 offset1:21
	ds_read2_b32 v[142:143], v113 offset0:22 offset1:23
	ds_read2_b32 v[174:175], v113 offset0:24 offset1:25
	s_waitcnt lgkmcnt(3)
	v_dot4c_i32_i8_e32 v176, v6, v155
	v_add_u32_e32 v6, 0x20c8, v113
	v_dot4c_i32_i8_e32 v176, v7, v11
	ds_read2_b32 v[6:7], v6 offset1:1
	s_waitcnt lgkmcnt(3)
	v_dot4c_i32_i8_e32 v176, v8, v156
	v_dot4c_i32_i8_e32 v176, v9, v12
	v_mov_b32_e32 v177, 0
	s_waitcnt lgkmcnt(2)
	v_dot4c_i32_i8_e32 v176, v142, v157
	v_dot4c_i32_i8_e32 v177, v172, v154
	v_add_u32_e32 v8, 0x20d0, v113
	v_add_u32_e32 v158, 0x4140, v113
	v_dot4c_i32_i8_e32 v176, v143, v13
	v_dot4c_i32_i8_e32 v177, v173, v10
	v_add_u32_e32 v136, 0x20d8, v113
	ds_read2_b32 v[8:9], v8 offset1:1
	ds_read2_b32 v[142:143], v136 offset1:1
	;; [unrolled: 1-line block ×3, first 2 shown]
	s_waitcnt lgkmcnt(3)
	v_dot4c_i32_i8_e32 v177, v6, v155
	v_add_u32_e32 v6, 0x4148, v113
	v_dot4c_i32_i8_e32 v177, v7, v11
	ds_read2_b32 v[6:7], v6 offset1:1
	s_waitcnt lgkmcnt(3)
	v_dot4c_i32_i8_e32 v177, v8, v156
	v_dot4c_i32_i8_e32 v177, v9, v12
	v_mov_b32_e32 v178, 0
	s_waitcnt lgkmcnt(2)
	v_dot4c_i32_i8_e32 v177, v142, v157
	s_waitcnt lgkmcnt(1)
	v_dot4c_i32_i8_e32 v178, v158, v154
	v_add_u32_e32 v8, 0x4150, v113
	v_add_u32_e32 v158, 0x61c0, v113
	v_dot4c_i32_i8_e32 v177, v143, v13
	v_dot4c_i32_i8_e32 v178, v159, v10
	v_add_u32_e32 v136, 0x4158, v113
	ds_read2_b32 v[8:9], v8 offset1:1
	ds_read2_b32 v[142:143], v136 offset1:1
	ds_read2_b32 v[158:159], v158 offset1:1
	s_waitcnt lgkmcnt(3)
	v_dot4c_i32_i8_e32 v178, v6, v155
	v_add_u32_e32 v6, 0x61c8, v113
	v_dot4c_i32_i8_e32 v178, v7, v11
	ds_read2_b32 v[6:7], v6 offset1:1
	s_waitcnt lgkmcnt(3)
	v_dot4c_i32_i8_e32 v178, v8, v156
	v_dot4c_i32_i8_e32 v178, v9, v12
	v_mov_b32_e32 v179, 0
	s_waitcnt lgkmcnt(2)
	v_dot4c_i32_i8_e32 v178, v142, v157
	s_waitcnt lgkmcnt(1)
	v_dot4c_i32_i8_e32 v179, v158, v154
	v_add_u32_e32 v8, 0x61d0, v113
	v_dot4c_i32_i8_e32 v178, v143, v13
	v_dot4c_i32_i8_e32 v179, v159, v10
	v_add_u32_e32 v10, 0x61d8, v113
	v_add_u32_e32 v136, 0x20e0, v113
	ds_read2_b32 v[8:9], v8 offset1:1
	ds_read2_b32 v[142:143], v10 offset1:1
	;; [unrolled: 1-line block ×3, first 2 shown]
	s_waitcnt lgkmcnt(3)
	v_dot4c_i32_i8_e32 v179, v6, v155
	v_dot4c_i32_i8_e32 v179, v7, v11
	s_waitcnt lgkmcnt(2)
	v_dot4c_i32_i8_e32 v179, v8, v156
	v_dot4c_i32_i8_e32 v179, v9, v12
	ds_read_b128 v[6:9], v109 offset:96
	ds_read_b128 v[158:161], v109 offset:112
	v_add_u32_e32 v10, 0x20e8, v113
	ds_read2_b32 v[10:11], v10 offset1:1
	s_waitcnt lgkmcnt(4)
	v_dot4c_i32_i8_e32 v179, v142, v157
	v_mov_b32_e32 v157, 0
	s_waitcnt lgkmcnt(2)
	v_dot4c_i32_i8_e32 v157, v172, v6
	s_waitcnt lgkmcnt(1)
	v_dot4c_i32_i8_e32 v157, v173, v158
	v_add_u32_e32 v12, 0x20f0, v113
	v_add_u32_e32 v154, 0x4160, v113
	v_dot4c_i32_i8_e32 v179, v143, v13
	v_mov_b32_e32 v156, 0
	v_add_u32_e32 v136, 0x20f8, v113
	ds_read2_b32 v[12:13], v12 offset1:1
	ds_read2_b32 v[142:143], v136 offset1:1
	ds_read2_b32 v[154:155], v154 offset1:1
	s_waitcnt lgkmcnt(3)
	v_dot4c_i32_i8_e32 v157, v10, v7
	v_dot4c_i32_i8_e32 v156, v174, v6
	;; [unrolled: 1-line block ×3, first 2 shown]
	v_cvt_f32_i32_e32 v11, v134
	v_cvt_f32_i32_e32 v10, v18
	v_dot4c_i32_i8_e32 v156, v175, v158
	v_dot4c_i32_i8_e32 v156, v162, v7
	s_waitcnt lgkmcnt(2)
	v_dot4c_i32_i8_e32 v157, v12, v8
	v_mov_b32_e32 v136, v135
	v_dot4c_i32_i8_e32 v156, v163, v159
	v_dot4c_i32_i8_e32 v157, v13, v160
	v_pk_fma_f32 v[12:13], v[168:169], v[170:171], v[130:131]
	v_pk_mul_f32 v[130:131], v[2:3], v[136:137] op_sel:[1,0]
	v_dot4c_i32_i8_e32 v156, v164, v8
	v_pk_fma_f32 v[10:11], v[130:131], v[10:11], v[12:13]
	v_cvt_f32_i32_e32 v13, v177
	v_cvt_f32_i32_e32 v12, v176
	v_dot4c_i32_i8_e32 v156, v165, v160
	v_dot4c_i32_i8_e32 v156, v166, v9
	s_waitcnt lgkmcnt(1)
	v_dot4c_i32_i8_e32 v157, v142, v9
	v_mov_b32_e32 v130, v146
	v_mov_b32_e32 v131, v144
	v_dot4c_i32_i8_e32 v156, v167, v161
	v_dot4c_i32_i8_e32 v157, v143, v161
	v_pk_mul_f32 v[130:131], v[4:5], v[130:131] op_sel_hi:[0,1]
	v_pk_fma_f32 v[10:11], v[130:131], v[12:13], v[10:11]
	v_cvt_f32_i32_e32 v12, v156
	v_cvt_f32_i32_e32 v13, v157
	v_mov_b32_e32 v134, v5
	v_mov_b32_e32 v144, v147
	v_pk_mul_f32 v[130:131], v[134:135], v[144:145] op_sel_hi:[0,1]
	v_add_u32_e32 v5, 0x4168, v113
	v_pk_fma_f32 v[130:131], v[130:131], v[12:13], v[10:11]
	ds_read2_b32 v[10:11], v5 offset1:1
	v_mov_b32_e32 v135, 0
	s_waitcnt lgkmcnt(1)
	v_dot4c_i32_i8_e32 v135, v154, v6
	v_add_u32_e32 v12, 0x4170, v113
	v_dot4c_i32_i8_e32 v135, v155, v158
	v_add_u32_e32 v18, 0x4178, v113
	v_add_u32_e32 v5, 0x61e0, v113
	ds_read2_b32 v[12:13], v12 offset1:1
	ds_read2_b32 v[136:137], v18 offset1:1
	;; [unrolled: 1-line block ×3, first 2 shown]
	s_waitcnt lgkmcnt(3)
	v_dot4c_i32_i8_e32 v135, v10, v7
	v_add_u32_e32 v5, 0x61e8, v113
	v_dot4c_i32_i8_e32 v135, v11, v159
	ds_read2_b32 v[10:11], v5 offset1:1
	s_waitcnt lgkmcnt(3)
	v_dot4c_i32_i8_e32 v135, v12, v8
	v_add_u32_e32 v5, 0x61f0, v113
	v_dot4c_i32_i8_e32 v135, v13, v160
	v_mov_b32_e32 v144, 0
	ds_read2_b32 v[12:13], v5 offset1:1
	s_waitcnt lgkmcnt(3)
	v_dot4c_i32_i8_e32 v135, v136, v9
	s_waitcnt lgkmcnt(2)
	v_dot4c_i32_i8_e32 v144, v142, v6
	v_add_u32_e32 v5, 0x61f8, v113
	v_dot4c_i32_i8_e32 v135, v137, v161
	v_dot4c_i32_i8_e32 v144, v143, v158
	ds_read2_b32 v[136:137], v5 offset1:1
	s_waitcnt lgkmcnt(2)
	v_dot4c_i32_i8_e32 v144, v10, v7
	v_dot4c_i32_i8_e32 v144, v11, v159
	v_cvt_f32_i32_e32 v7, v153
	v_cvt_f32_i32_e32 v6, v140
	s_waitcnt lgkmcnt(1)
	v_dot4c_i32_i8_e32 v144, v12, v8
	v_pk_mul_f32 v[16:17], v[2:3], v[16:17] op_sel_hi:[0,1]
	v_dot4c_i32_i8_e32 v144, v13, v160
	v_mov_b32_e32 v18, v141
	s_waitcnt lgkmcnt(0)
	v_dot4c_i32_i8_e32 v144, v136, v9
	v_pk_fma_f32 v[8:9], v[16:17], v[20:21], v[132:133]
	v_pk_mul_f32 v[2:3], v[2:3], v[18:19] op_sel:[1,0]
	v_dot4c_i32_i8_e32 v144, v137, v161
	v_pk_fma_f32 v[2:3], v[2:3], v[6:7], v[8:9]
	v_mov_b32_e32 v6, v14
	v_mov_b32_e32 v7, v138
	v_cvt_f32_i32_e32 v9, v179
	v_cvt_f32_i32_e32 v8, v178
	v_pk_mul_f32 v[4:5], v[4:5], v[6:7] op_sel_hi:[0,1]
	v_cvt_f32_i32_e32 v7, v144
	v_cvt_f32_i32_e32 v6, v135
	v_mov_b32_e32 v138, v15
	v_pk_fma_f32 v[2:3], v[4:5], v[8:9], v[2:3]
	v_pk_mul_f32 v[4:5], v[134:135], v[138:139] op_sel_hi:[0,1]
	v_pk_fma_f32 v[132:133], v[4:5], v[6:7], v[2:3]
	s_cmp_ge_i32 s10, s9
	s_barrier
	s_cbranch_scc1 .LBB202_5
; %bb.13:                               ;   in Loop: Header=BB202_6 Depth=1
	v_add_u32_e32 v2, s18, v123
	v_cmp_gt_i32_e32 vcc, s12, v2
	s_and_b64 s[24:25], s[2:3], vcc
	s_and_saveexec_b64 s[4:5], s[24:25]
	s_cbranch_execz .LBB202_15
; %bb.14:                               ;   in Loop: Header=BB202_6 Depth=1
	v_add_u32_e32 v2, s18, v127
	v_mad_i64_i32 v[2:3], s[24:25], v2, 36, v[54:55]
	global_load_dword v2, v[2:3], off offset:4
	s_waitcnt vmcnt(0)
	ds_write_b32 v105, v2
.LBB202_15:                             ;   in Loop: Header=BB202_6 Depth=1
	s_or_b64 exec, exec, s[4:5]
	s_and_saveexec_b64 s[4:5], s[0:1]
	s_cbranch_execz .LBB202_4
; %bb.16:                               ;   in Loop: Header=BB202_6 Depth=1
	v_add3_u32 v2, v99, s18, 4
	v_cmp_gt_i32_e32 vcc, s12, v2
	s_and_b64 s[24:25], s[2:3], vcc
	s_and_b64 exec, exec, s[24:25]
	s_cbranch_execz .LBB202_4
; %bb.17:                               ;   in Loop: Header=BB202_6 Depth=1
	global_load_dword v2, v[56:57], off
	s_waitcnt vmcnt(0)
	v_cvt_f32_f16_e32 v2, v2
	ds_write_b32 v107, v2
	s_branch .LBB202_4
.LBB202_18:
	v_mov_b32_e32 v2, 0
	s_mul_i32 s0, s14, s11
	s_waitcnt vmcnt(0)
	v_cmp_gt_i32_e32 vcc, s0, v97
	s_and_saveexec_b64 s[0:1], vcc
	s_cbranch_execnz .LBB202_21
.LBB202_19:
	s_endpgm
.LBB202_20:
	v_cvt_f16_f32_e32 v1, v131
	v_cvt_f16_f32_e32 v2, v130
	;; [unrolled: 1-line block ×4, first 2 shown]
	v_pack_b32_f16 v2, v2, v1
	v_pack_b32_f16 v3, v4, v3
	s_mul_i32 s0, s14, s11
	v_cmp_gt_i32_e32 vcc, s0, v97
	s_and_saveexec_b64 s[0:1], vcc
	s_cbranch_execz .LBB202_19
.LBB202_21:
	v_and_b32_e32 v0, 0x3ff, v0
	v_add_u32_e32 v1, s15, v0
	v_mul_lo_u32 v0, v97, s13
	v_cmp_gt_u32_e32 vcc, s13, v1
	s_and_saveexec_b64 s[0:1], vcc
	s_cbranch_execz .LBB202_23
; %bb.22:
	v_add_u32_e32 v4, v0, v1
	v_mov_b32_e32 v5, 0
	v_lshlrev_b64 v[4:5], 1, v[4:5]
	v_mov_b32_e32 v6, s17
	v_add_co_u32_e32 v4, vcc, s16, v4
	v_addc_co_u32_e32 v5, vcc, v6, v5, vcc
	global_store_short v[4:5], v2, off
.LBB202_23:
	s_or_b64 exec, exec, s[0:1]
	v_add_u32_e32 v4, 32, v1
	v_cmp_gt_u32_e32 vcc, s13, v4
	s_and_saveexec_b64 s[0:1], vcc
	s_cbranch_execz .LBB202_25
; %bb.24:
	v_add_u32_e32 v4, v0, v4
	v_mov_b32_e32 v5, 0
	v_lshlrev_b64 v[4:5], 1, v[4:5]
	v_mov_b32_e32 v6, s17
	v_add_co_u32_e32 v4, vcc, s16, v4
	v_addc_co_u32_e32 v5, vcc, v6, v5, vcc
	global_store_short_d16_hi v[4:5], v2, off
.LBB202_25:
	s_or_b64 exec, exec, s[0:1]
	v_add_u32_e32 v2, 64, v1
	v_cmp_gt_u32_e32 vcc, s13, v2
	s_and_saveexec_b64 s[0:1], vcc
	s_cbranch_execz .LBB202_27
; %bb.26:
	v_add_u32_e32 v4, v0, v2
	v_mov_b32_e32 v5, 0
	v_lshlrev_b64 v[4:5], 1, v[4:5]
	v_mov_b32_e32 v2, s17
	v_add_co_u32_e32 v4, vcc, s16, v4
	v_addc_co_u32_e32 v5, vcc, v2, v5, vcc
	global_store_short v[4:5], v3, off
.LBB202_27:
	s_or_b64 exec, exec, s[0:1]
	v_add_u32_e32 v1, 0x60, v1
	v_cmp_gt_u32_e32 vcc, s13, v1
	s_and_b64 exec, exec, vcc
	s_cbranch_execz .LBB202_19
; %bb.28:
	v_add_u32_e32 v0, v0, v1
	v_mov_b32_e32 v1, 0
	v_lshlrev_b64 v[0:1], 1, v[0:1]
	v_mov_b32_e32 v2, s17
	v_add_co_u32_e32 v0, vcc, s16, v0
	v_addc_co_u32_e32 v1, vcc, v2, v1, vcc
	global_store_short_d16_hi v[0:1], v3, off
	s_endpgm
	.section	.rodata,"a",@progbits
	.p2align	6, 0x0
	.amdhsa_kernel _ZL8moe_q5_0IN3c104HalfELb1EEvPKvS3_PT_PKiS7_S7_iiiiiii
		.amdhsa_group_segment_fixed_size 38656
		.amdhsa_private_segment_fixed_size 0
		.amdhsa_kernarg_size 76
		.amdhsa_user_sgpr_count 6
		.amdhsa_user_sgpr_private_segment_buffer 1
		.amdhsa_user_sgpr_dispatch_ptr 0
		.amdhsa_user_sgpr_queue_ptr 0
		.amdhsa_user_sgpr_kernarg_segment_ptr 1
		.amdhsa_user_sgpr_dispatch_id 0
		.amdhsa_user_sgpr_flat_scratch_init 0
		.amdhsa_user_sgpr_kernarg_preload_length 0
		.amdhsa_user_sgpr_kernarg_preload_offset 0
		.amdhsa_user_sgpr_private_segment_size 0
		.amdhsa_uses_dynamic_stack 0
		.amdhsa_system_sgpr_private_segment_wavefront_offset 0
		.amdhsa_system_sgpr_workgroup_id_x 1
		.amdhsa_system_sgpr_workgroup_id_y 1
		.amdhsa_system_sgpr_workgroup_id_z 0
		.amdhsa_system_sgpr_workgroup_info 0
		.amdhsa_system_vgpr_workitem_id 1
		.amdhsa_next_free_vgpr 180
		.amdhsa_next_free_sgpr 26
		.amdhsa_accum_offset 180
		.amdhsa_reserve_vcc 1
		.amdhsa_reserve_flat_scratch 0
		.amdhsa_float_round_mode_32 0
		.amdhsa_float_round_mode_16_64 0
		.amdhsa_float_denorm_mode_32 3
		.amdhsa_float_denorm_mode_16_64 3
		.amdhsa_dx10_clamp 1
		.amdhsa_ieee_mode 1
		.amdhsa_fp16_overflow 0
		.amdhsa_tg_split 0
		.amdhsa_exception_fp_ieee_invalid_op 0
		.amdhsa_exception_fp_denorm_src 0
		.amdhsa_exception_fp_ieee_div_zero 0
		.amdhsa_exception_fp_ieee_overflow 0
		.amdhsa_exception_fp_ieee_underflow 0
		.amdhsa_exception_fp_ieee_inexact 0
		.amdhsa_exception_int_div_zero 0
	.end_amdhsa_kernel
	.section	.text._ZL8moe_q5_0IN3c104HalfELb1EEvPKvS3_PT_PKiS7_S7_iiiiiii,"axG",@progbits,_ZL8moe_q5_0IN3c104HalfELb1EEvPKvS3_PT_PKiS7_S7_iiiiiii,comdat
.Lfunc_end202:
	.size	_ZL8moe_q5_0IN3c104HalfELb1EEvPKvS3_PT_PKiS7_S7_iiiiiii, .Lfunc_end202-_ZL8moe_q5_0IN3c104HalfELb1EEvPKvS3_PT_PKiS7_S7_iiiiiii
                                        ; -- End function
	.section	.AMDGPU.csdata,"",@progbits
; Kernel info:
; codeLenInByte = 13112
; NumSgprs: 30
; NumVgprs: 180
; NumAgprs: 0
; TotalNumVgprs: 180
; ScratchSize: 0
; MemoryBound: 0
; FloatMode: 240
; IeeeMode: 1
; LDSByteSize: 38656 bytes/workgroup (compile time only)
; SGPRBlocks: 3
; VGPRBlocks: 22
; NumSGPRsForWavesPerEU: 30
; NumVGPRsForWavesPerEU: 180
; AccumOffset: 180
; Occupancy: 1
; WaveLimiterHint : 1
; COMPUTE_PGM_RSRC2:SCRATCH_EN: 0
; COMPUTE_PGM_RSRC2:USER_SGPR: 6
; COMPUTE_PGM_RSRC2:TRAP_HANDLER: 0
; COMPUTE_PGM_RSRC2:TGID_X_EN: 1
; COMPUTE_PGM_RSRC2:TGID_Y_EN: 1
; COMPUTE_PGM_RSRC2:TGID_Z_EN: 0
; COMPUTE_PGM_RSRC2:TIDIG_COMP_CNT: 1
; COMPUTE_PGM_RSRC3_GFX90A:ACCUM_OFFSET: 44
; COMPUTE_PGM_RSRC3_GFX90A:TG_SPLIT: 0
	.section	.text._ZL8moe_q5_1IN3c104HalfELb0EEvPKvS3_PT_PKiS7_S7_iiiiiii,"axG",@progbits,_ZL8moe_q5_1IN3c104HalfELb0EEvPKvS3_PT_PKiS7_S7_iiiiiii,comdat
	.globl	_ZL8moe_q5_1IN3c104HalfELb0EEvPKvS3_PT_PKiS7_S7_iiiiiii ; -- Begin function _ZL8moe_q5_1IN3c104HalfELb0EEvPKvS3_PT_PKiS7_S7_iiiiiii
	.p2align	8
	.type	_ZL8moe_q5_1IN3c104HalfELb0EEvPKvS3_PT_PKiS7_S7_iiiiiii,@function
_ZL8moe_q5_1IN3c104HalfELb0EEvPKvS3_PT_PKiS7_S7_iiiiiii: ; @_ZL8moe_q5_1IN3c104HalfELb0EEvPKvS3_PT_PKiS7_S7_iiiiiii
; %bb.0:
	s_load_dwordx4 s[0:3], s[4:5], 0x18
	s_mov_b32 s8, s7
	s_mov_b32 s9, 0
	s_lshl_b64 s[10:11], s[8:9], 2
	s_waitcnt lgkmcnt(0)
	s_add_u32 s2, s2, s10
	s_addc_u32 s3, s3, s11
	s_load_dword s2, s[2:3], 0x0
	s_waitcnt lgkmcnt(0)
	s_cmpk_gt_u32 s2, 0xff
	s_cbranch_scc1 .LBB203_19
; %bb.1:
	s_load_dwordx2 s[10:11], s[4:5], 0x28
	s_lshl_b32 s3, s8, 3
	s_waitcnt lgkmcnt(0)
	s_load_dword s7, s[10:11], 0x0
	s_waitcnt lgkmcnt(0)
	s_cmp_gt_u32 s3, s7
	s_cbranch_scc1 .LBB203_19
; %bb.2:
	v_bfe_u32 v1, v0, 10, 10
	v_add_u32_e32 v2, s3, v1
	v_mov_b32_e32 v3, 0
	v_lshlrev_b64 v[4:5], 2, v[2:3]
	v_mov_b32_e32 v2, s1
	v_add_co_u32_e32 v4, vcc, s0, v4
	v_addc_co_u32_e32 v5, vcc, v2, v5, vcc
	global_load_dword v97, v[4:5], off
	s_load_dwordx2 s[14:15], s[4:5], 0x30
	s_load_dwordx2 s[12:13], s[4:5], 0x10
	s_load_dwordx4 s[8:11], s[4:5], 0x3c
	s_lshl_b32 s18, s6, 7
	s_waitcnt lgkmcnt(0)
	s_cmp_lt_i32 s15, 32
	s_cbranch_scc1 .LBB203_18
; %bb.3:
	s_ashr_i32 s1, s9, 31
	s_lshr_b32 s1, s1, 27
	s_add_i32 s1, s9, s1
	v_and_b32_e32 v118, 0x3ff, v0
	s_ashr_i32 s9, s1, 5
	v_lshlrev_b32_e32 v3, 3, v118
	s_movk_i32 s1, 0x104
	s_ashr_i32 s0, s15, 31
	v_mad_u32_u24 v120, v1, s1, v3
	v_lshlrev_b32_e32 v3, 2, v1
	v_lshrrev_b32_e32 v136, 3, v118
	s_load_dwordx4 s[4:7], s[4:5], 0x0
	s_lshr_b32 s0, s0, 27
	v_and_b32_e32 v21, 7, v118
	v_add_u32_e32 v22, v136, v3
	s_add_i32 s0, s15, s0
	s_mul_i32 s14, s2, s14
	v_and_b32_e32 v23, 0x1ffc, v22
	v_lshlrev_b32_e32 v24, 2, v21
	s_mov_b32 s2, 0x8200
	s_ashr_i32 s19, s0, 5
	v_add3_u32 v100, v23, v24, s2
	v_add_u32_e32 v23, 32, v22
	v_lshlrev_b32_e32 v2, 2, v118
	v_mul_lo_u32 v89, s19, v22
	v_lshlrev_b32_e32 v101, 5, v22
	v_and_b32_e32 v25, 0x3ffc, v23
	v_lshlrev_b32_e32 v103, 5, v23
	v_add_u32_e32 v23, 64, v22
	v_add_u32_e32 v22, 0x60, v22
	v_and_b32_e32 v119, 12, v2
	v_add3_u32 v102, v25, v24, s2
	v_and_b32_e32 v25, 0x3ffc, v23
	v_lshlrev_b32_e32 v105, 5, v23
	v_and_b32_e32 v23, 0x3ffc, v22
	v_and_b32_e32 v2, 28, v2
	v_add3_u32 v104, v25, v24, s2
	v_add3_u32 v106, v23, v24, s2
	v_lshlrev_b32_e32 v107, 5, v22
	v_and_b32_e32 v24, 31, v118
	s_waitcnt lgkmcnt(0)
	v_add_co_u32_e32 v22, vcc, s6, v2
	v_lshlrev_b32_e32 v2, 7, v1
	v_lshl_or_b32 v24, v24, 2, v2
	v_add_u32_e32 v137, 0x9280, v24
	v_mov_b32_e32 v24, 0x9680
	v_mul_lo_u32 v5, s19, v1
	v_add_u32_e32 v139, 0x9280, v2
	v_lshl_add_u32 v140, v1, 4, v24
	v_and_b32_e32 v1, 0xfc, v118
	v_lshlrev_b32_e32 v2, 5, v118
	v_or_b32_e32 v3, v3, v118
	v_add3_u32 v142, v2, v1, s2
	v_add_u32_e32 v1, 32, v118
	v_lshl_add_u32 v138, v3, 2, v24
	v_and_b32_e32 v2, 0x1fc, v1
	v_lshlrev_b32_e32 v3, 5, v1
	v_add3_u32 v143, v3, v2, s2
	v_add_u32_e32 v2, 64, v118
	v_and_b32_e32 v3, 0x1fc, v2
	v_lshlrev_b32_e32 v2, 5, v2
	s_abs_i32 s3, s11
	v_add3_u32 v144, v2, v3, s2
	v_cvt_f32_u32_e32 v3, s3
	v_add_u32_e32 v2, 0x60, v118
	v_and_b32_e32 v24, 0x1fc, v2
	v_lshlrev_b32_e32 v2, 5, v2
	v_add3_u32 v145, v2, v24, s2
	v_rcp_iflag_f32_e32 v2, v3
	s_sub_i32 s2, 0, s3
	s_waitcnt vmcnt(0)
	v_sub_u32_e32 v3, 0, v97
	v_max_i32_e32 v3, v97, v3
	v_mul_f32_e32 v2, 0x4f7ffffe, v2
	v_cvt_u32_f32_e32 v2, v2
	v_mov_b32_e32 v23, s7
	v_addc_co_u32_e32 v23, vcc, 0, v23, vcc
	v_mul_lo_u32 v24, s2, v2
	v_mul_hi_u32 v24, v2, v24
	v_add_u32_e32 v2, v2, v24
	v_mul_hi_u32 v2, v3, v2
	v_mul_lo_u32 v24, v2, s3
	v_sub_u32_e32 v3, v3, v24
	v_add_u32_e32 v24, 1, v2
	v_cmp_le_u32_e32 vcc, s3, v3
	v_cndmask_b32_e32 v2, v2, v24, vcc
	v_subrev_u32_e32 v24, s3, v3
	v_cndmask_b32_e32 v3, v3, v24, vcc
	v_lshrrev_b32_e32 v146, 3, v1
	v_xor_b32_e32 v1, s11, v97
	v_add_u32_e32 v24, 1, v2
	v_cmp_le_u32_e32 vcc, s3, v3
	v_ashrrev_i32_e32 v1, 31, v1
	v_cndmask_b32_e32 v2, v2, v24, vcc
	v_xor_b32_e32 v2, v2, v1
	v_sub_u32_e32 v1, v2, v1
	v_cmp_gt_i32_e64 s[2:3], s8, v1
	v_mul_lo_u32 v1, v1, s9
	v_ashrrev_i32_e32 v2, 31, v1
	v_add_co_u32_e32 v3, vcc, v1, v118
	s_mul_i32 s17, s19, s18
	v_addc_co_u32_e32 v24, vcc, 0, v2, vcc
	v_mad_u64_u32 v[2:3], s[22:23], v3, 36, s[6:7]
	s_movk_i32 s21, 0x90
	v_mad_i32_i24 v3, v24, 36, v3
	v_add_co_u32_e32 v24, vcc, s21, v2
	s_mul_hi_i32 s21, s17, 24
	s_mul_i32 s22, s17, 24
	v_lshrrev_b32_e32 v4, 2, v118
	v_addc_co_u32_e32 v25, vcc, 0, v3, vcc
	v_mov_b32_e32 v2, s22
	v_mov_b32_e32 v3, s21
	s_lshl_b32 s1, s19, 3
	v_mad_u64_u32 v[2:3], s[22:23], v4, 24, v[2:3]
	v_add_u32_e32 v6, s1, v5
	v_mad_u64_u32 v[4:5], s[22:23], v5, 24, v[2:3]
	v_add_u32_e32 v147, v118, v1
	v_add_u32_e32 v148, v146, v1
	;; [unrolled: 1-line block ×3, first 2 shown]
	v_add_co_u32_e32 v1, vcc, v4, v119
	v_addc_co_u32_e32 v26, vcc, 0, v5, vcc
	v_mov_b32_e32 v85, s5
	v_add_co_u32_e32 v1, vcc, s4, v1
	v_addc_co_u32_e32 v27, vcc, v26, v85, vcc
	v_add_co_u32_e32 v26, vcc, 8, v1
	v_addc_co_u32_e32 v1, vcc, 0, v27, vcc
	v_mov_b32_e32 v27, s5
	v_add_co_u32_e32 v28, vcc, s4, v4
	v_addc_co_u32_e32 v27, vcc, v27, v5, vcc
	v_mad_u64_u32 v[4:5], s[22:23], v6, 24, v[2:3]
	v_add_co_u32_e32 v4, vcc, s4, v4
	v_addc_co_u32_e32 v5, vcc, v5, v85, vcc
	v_add_u32_e32 v7, s1, v6
	v_add_co_u32_e32 v6, vcc, v4, v119
	v_addc_co_u32_e32 v29, vcc, 0, v5, vcc
	v_add_co_u32_e32 v30, vcc, 8, v6
	v_addc_co_u32_e32 v29, vcc, 0, v29, vcc
	;; [unrolled: 2-line block ×3, first 2 shown]
	v_mad_u64_u32 v[4:5], s[22:23], v7, 24, v[2:3]
	v_add_co_u32_e32 v4, vcc, s4, v4
	v_addc_co_u32_e32 v5, vcc, v5, v85, vcc
	v_add_co_u32_e32 v6, vcc, v4, v119
	v_add_u32_e32 v8, s1, v7
	v_addc_co_u32_e32 v7, vcc, 0, v5, vcc
	v_add_co_u32_e32 v34, vcc, 8, v6
	v_addc_co_u32_e32 v33, vcc, 0, v7, vcc
	v_add_co_u32_e32 v36, vcc, 4, v4
	v_addc_co_u32_e32 v35, vcc, 0, v5, vcc
	v_mad_u64_u32 v[4:5], s[22:23], v8, 24, v[2:3]
	v_add_co_u32_e32 v4, vcc, s4, v4
	v_addc_co_u32_e32 v5, vcc, v5, v85, vcc
	v_add_co_u32_e32 v6, vcc, v4, v119
	v_addc_co_u32_e32 v7, vcc, 0, v5, vcc
	v_add_co_u32_e32 v38, vcc, 8, v6
	v_addc_co_u32_e32 v37, vcc, 0, v7, vcc
	v_add_u32_e32 v9, s1, v8
	v_add_co_u32_e32 v40, vcc, 4, v4
	v_addc_co_u32_e32 v39, vcc, 0, v5, vcc
	v_mad_u64_u32 v[4:5], s[22:23], v9, 24, v[2:3]
	v_add_co_u32_e32 v4, vcc, s4, v4
	v_addc_co_u32_e32 v5, vcc, v5, v85, vcc
	v_add_co_u32_e32 v6, vcc, v4, v119
	v_addc_co_u32_e32 v7, vcc, 0, v5, vcc
	v_add_co_u32_e32 v42, vcc, 8, v6
	v_addc_co_u32_e32 v41, vcc, 0, v7, vcc
	v_add_u32_e32 v10, s1, v9
	;; [unrolled: 10-line block ×12, first 2 shown]
	v_add_co_u32_e32 v84, vcc, 4, v4
	v_addc_co_u32_e32 v83, vcc, 0, v5, vcc
	v_mad_u64_u32 v[2:3], s[22:23], v20, 24, v[2:3]
	v_add_co_u32_e32 v2, vcc, s4, v2
	v_addc_co_u32_e32 v3, vcc, v3, v85, vcc
	v_add_co_u32_e32 v4, vcc, v2, v119
	v_addc_co_u32_e32 v5, vcc, 0, v3, vcc
	;; [unrolled: 2-line block ×4, first 2 shown]
	v_mad_u64_u32 v[2:3], s[22:23], v89, 24, 0
	v_mad_i64_i32 v[2:3], s[22:23], s17, 24, v[2:3]
	s_andn2_b32 s0, s0, 31
	v_mad_u64_u32 v[2:3], s[22:23], v21, 24, v[2:3]
	v_add_u32_e32 v91, s0, v89
	v_mov_b32_e32 v4, s5
	v_add_co_u32_e32 v90, vcc, s4, v2
	v_addc_co_u32_e32 v89, vcc, v4, v3, vcc
	v_mad_u64_u32 v[2:3], s[22:23], v91, 24, 0
	v_mad_i64_i32 v[2:3], s[22:23], s17, 24, v[2:3]
	v_mad_u64_u32 v[2:3], s[22:23], v21, 24, v[2:3]
	v_add_u32_e32 v93, s0, v91
	v_add_co_u32_e32 v92, vcc, s4, v2
	v_addc_co_u32_e32 v91, vcc, v4, v3, vcc
	v_mad_u64_u32 v[2:3], s[22:23], v93, 24, 0
	v_mad_i64_i32 v[2:3], s[22:23], s17, 24, v[2:3]
	v_mad_u64_u32 v[2:3], s[22:23], v21, 24, v[2:3]
	v_add_u32_e32 v95, s0, v93
	v_add_co_u32_e32 v94, vcc, s4, v2
	v_addc_co_u32_e32 v93, vcc, v4, v3, vcc
	v_mad_u64_u32 v[2:3], s[22:23], v95, 24, 0
	v_mad_i64_i32 v[2:3], s[22:23], s17, 24, v[2:3]
	s_mov_b32 s16, 0
	v_mad_u64_u32 v[2:3], s[22:23], v21, 24, v[2:3]
	v_add_co_u32_e32 v96, vcc, s4, v2
	s_mov_b32 s17, s16
	s_ashr_i32 s20, s14, 31
	v_add_u32_e32 v121, 0x820, v120
	v_add_u32_e32 v122, 0x1040, v120
	;; [unrolled: 1-line block ×15, first 2 shown]
	v_cmp_gt_u32_e64 s[0:1], 4, v118
	v_mul_u32_u24_e32 v141, 0x104, v118
	v_addc_co_u32_e32 v95, vcc, v4, v3, vcc
	s_movk_i32 s21, 0x80
	v_pk_mov_b32 v[98:99], s[16:17], s[16:17] op_sel:[0,1]
	v_add_u32_e32 v150, v100, v101
	v_add_u32_e32 v151, v102, v103
	;; [unrolled: 1-line block ×4, first 2 shown]
	v_pk_mov_b32 v[100:101], s[16:17], s[16:17] op_sel:[0,1]
	s_branch .LBB203_6
.LBB203_4:                              ;   in Loop: Header=BB203_6 Depth=1
	s_or_b64 exec, exec, s[4:5]
	s_waitcnt lgkmcnt(0)
	s_barrier
	ds_read_b128 v[14:17], v139
	ds_read_b128 v[18:21], v139 offset:16
	ds_read_b128 v[2:5], v140
	ds_read2_b32 v[102:103], v141 offset0:32 offset1:33
	ds_read_b128 v[10:13], v139 offset:32
	ds_read_b128 v[6:9], v139 offset:48
	ds_read2_b32 v[104:105], v142 offset0:4 offset1:5
	ds_read2_b32 v[106:107], v141 offset0:34 offset1:35
	v_mov_b32_e32 v110, 0
	s_waitcnt lgkmcnt(4)
	v_dot4c_i32_i8_e32 v110, v102, v14
	v_dot4c_i32_i8_e32 v110, v103, v18
	ds_read2_b32 v[102:103], v141 offset0:36 offset1:37
	ds_read2_b32 v[112:113], v141 offset0:38 offset1:39
	;; [unrolled: 1-line block ×3, first 2 shown]
	s_waitcnt lgkmcnt(3)
	v_dot4c_i32_i8_e32 v110, v106, v15
	v_dot4c_i32_i8_e32 v110, v107, v19
	s_waitcnt lgkmcnt(2)
	v_dot4c_i32_i8_e32 v110, v102, v16
	v_dot4c_i32_i8_e32 v110, v103, v20
	;; [unrolled: 3-line block ×3, first 2 shown]
	v_add_u32_e32 v102, 0x2100, v141
	ds_read2_b32 v[112:113], v141 offset0:58 offset1:59
	ds_read2_b32 v[114:115], v141 offset0:60 offset1:61
	;; [unrolled: 1-line block ×3, first 2 shown]
	ds_read2_b32 v[106:107], v102 offset1:1
	v_mov_b32_e32 v168, 0
	v_pk_mul_f16 v111, v2, v104
	v_add_u32_e32 v104, 0x2108, v141
	ds_read2_b32 v[154:155], v143 offset0:4 offset1:5
	ds_read2_b32 v[102:103], v145 offset0:6 offset1:7
	s_waitcnt lgkmcnt(2)
	v_dot4c_i32_i8_e32 v168, v106, v14
	v_dot4c_i32_i8_e32 v168, v107, v18
	ds_read2_b32 v[106:107], v104 offset1:1
	v_add_u32_e32 v156, 0x2110, v141
	v_add_u32_e32 v158, 0x2118, v141
	;; [unrolled: 1-line block ×3, first 2 shown]
	ds_read2_b32 v[156:157], v156 offset1:1
	ds_read2_b32 v[158:159], v158 offset1:1
	;; [unrolled: 1-line block ×3, first 2 shown]
	s_waitcnt lgkmcnt(3)
	v_dot4c_i32_i8_e32 v168, v106, v15
	v_dot4c_i32_i8_e32 v168, v107, v19
	s_waitcnt lgkmcnt(2)
	v_dot4c_i32_i8_e32 v168, v156, v16
	v_dot4c_i32_i8_e32 v168, v157, v20
	v_mov_b32_e32 v169, 0
	s_waitcnt lgkmcnt(1)
	v_dot4c_i32_i8_e32 v168, v158, v17
	s_waitcnt lgkmcnt(0)
	v_dot4c_i32_i8_e32 v169, v160, v14
	v_add_u32_e32 v104, 0x4188, v141
	v_add_u32_e32 v162, 0x4190, v141
	v_add_u32_e32 v164, 0x4198, v141
	v_dot4c_i32_i8_e32 v168, v159, v21
	ds_read2_b32 v[156:157], v144 offset0:4 offset1:5
	ds_read2_b32 v[106:107], v143 offset0:6 offset1:7
	ds_read2_b32 v[158:159], v142 offset0:6 offset1:7
	v_dot4c_i32_i8_e32 v169, v161, v18
	ds_read2_b32 v[160:161], v104 offset1:1
	v_add_u32_e32 v104, 0x6200, v141
	ds_read2_b32 v[162:163], v162 offset1:1
	ds_read2_b32 v[164:165], v164 offset1:1
	;; [unrolled: 1-line block ×3, first 2 shown]
	v_mov_b32_e32 v170, 0
	v_add_u32_e32 v104, 0x6218, v141
	s_waitcnt lgkmcnt(3)
	v_dot4c_i32_i8_e32 v169, v160, v15
	v_dot4c_i32_i8_e32 v169, v161, v19
	s_waitcnt lgkmcnt(0)
	v_dot4c_i32_i8_e32 v170, v166, v14
	v_add_u32_e32 v14, 0x6208, v141
	ds_read2_b32 v[160:161], v14 offset1:1
	v_dot4c_i32_i8_e32 v169, v162, v16
	v_dot4c_i32_i8_e32 v169, v163, v20
	;; [unrolled: 1-line block ×4, first 2 shown]
	v_add_u32_e32 v18, 0x6210, v141
	v_dot4c_i32_i8_e32 v169, v165, v21
	v_add_u32_e32 v14, 0x2120, v141
	ds_read2_b32 v[162:163], v18 offset1:1
	ds_read2_b32 v[164:165], v104 offset1:1
	;; [unrolled: 1-line block ×3, first 2 shown]
	s_waitcnt lgkmcnt(3)
	v_dot4c_i32_i8_e32 v170, v160, v15
	v_dot4c_i32_i8_e32 v170, v161, v19
	s_waitcnt lgkmcnt(2)
	v_dot4c_i32_i8_e32 v170, v162, v16
	v_dot4c_i32_i8_e32 v170, v163, v20
	ds_read2_b32 v[18:19], v145 offset0:4 offset1:5
	ds_read2_b32 v[14:15], v144 offset0:6 offset1:7
	s_waitcnt lgkmcnt(3)
	v_dot4c_i32_i8_e32 v170, v164, v17
	ds_read2_b32 v[16:17], v141 offset0:42 offset1:43
	v_mov_b32_e32 v163, 0
	v_dot4c_i32_i8_e32 v163, v108, v10
	v_dot4c_i32_i8_e32 v170, v165, v21
	;; [unrolled: 1-line block ×3, first 2 shown]
	ds_read2_b32 v[20:21], v141 offset0:44 offset1:45
	ds_read2_b32 v[108:109], v141 offset0:46 offset1:47
	;; [unrolled: 1-line block ×3, first 2 shown]
	v_pk_mul_f16 v154, v2, v154
	v_pk_mul_f16 v156, v2, v156
	s_waitcnt lgkmcnt(5)
	v_pk_mul_f16 v162, v2, v18
	s_waitcnt lgkmcnt(3)
	v_dot4c_i32_i8_e32 v163, v16, v11
	v_add_u32_e32 v2, 0x2128, v141
	v_dot4c_i32_i8_e32 v163, v17, v7
	ds_read2_b32 v[16:17], v2 offset1:1
	s_waitcnt lgkmcnt(3)
	v_dot4c_i32_i8_e32 v163, v20, v12
	v_dot4c_i32_i8_e32 v163, v21, v8
	v_mov_b32_e32 v165, 0
	s_waitcnt lgkmcnt(2)
	v_dot4c_i32_i8_e32 v163, v108, v13
	v_dot4c_i32_i8_e32 v165, v166, v10
	v_add_u32_e32 v18, 0x2130, v141
	v_add_u32_e32 v104, 0x2138, v141
	v_dot4c_i32_i8_e32 v163, v109, v9
	v_pk_mul_f16 v164, v3, v105
	v_dot4c_i32_i8_e32 v165, v167, v6
	v_add_u32_e32 v2, 0x41a0, v141
	ds_read2_b32 v[20:21], v18 offset1:1
	ds_read2_b32 v[104:105], v104 offset1:1
	;; [unrolled: 1-line block ×3, first 2 shown]
	s_waitcnt lgkmcnt(3)
	v_dot4c_i32_i8_e32 v165, v16, v11
	v_dot4c_i32_i8_e32 v165, v17, v7
	v_add_u32_e32 v2, 0x41a8, v141
	s_waitcnt lgkmcnt(2)
	v_dot4c_i32_i8_e32 v165, v20, v12
	ds_read2_b32 v[16:17], v2 offset1:1
	v_dot4c_i32_i8_e32 v165, v21, v8
	v_mov_b32_e32 v166, 0
	s_waitcnt lgkmcnt(2)
	v_dot4c_i32_i8_e32 v165, v104, v13
	s_waitcnt lgkmcnt(1)
	v_dot4c_i32_i8_e32 v166, v108, v10
	v_add_u32_e32 v18, 0x41b0, v141
	v_add_u32_e32 v104, 0x41b8, v141
	v_dot4c_i32_i8_e32 v165, v105, v9
	v_dot4c_i32_i8_e32 v166, v109, v6
	v_add_u32_e32 v2, 0x6220, v141
	ds_read2_b32 v[20:21], v18 offset1:1
	ds_read2_b32 v[104:105], v104 offset1:1
	;; [unrolled: 1-line block ×3, first 2 shown]
	s_waitcnt lgkmcnt(3)
	v_dot4c_i32_i8_e32 v166, v16, v11
	v_add_u32_e32 v2, 0x6228, v141
	v_dot4c_i32_i8_e32 v166, v17, v7
	ds_read2_b32 v[16:17], v2 offset1:1
	s_waitcnt lgkmcnt(3)
	v_dot4c_i32_i8_e32 v166, v20, v12
	v_mov_b32_e32 v167, 0
	v_dot4c_i32_i8_e32 v166, v21, v8
	s_waitcnt lgkmcnt(1)
	v_dot4c_i32_i8_e32 v167, v108, v10
	v_dot4c_i32_i8_e32 v166, v104, v13
	v_dot4c_i32_i8_e32 v167, v109, v6
	v_add_u32_e32 v6, 0x6230, v141
	v_dot4c_i32_i8_e32 v166, v105, v9
	v_add_u32_e32 v10, 0x6238, v141
	v_add_u32_e32 v2, 0x2140, v141
	ds_read2_b32 v[20:21], v6 offset1:1
	ds_read2_b32 v[104:105], v10 offset1:1
	;; [unrolled: 1-line block ×3, first 2 shown]
	s_waitcnt lgkmcnt(3)
	v_dot4c_i32_i8_e32 v167, v16, v11
	v_dot4c_i32_i8_e32 v167, v17, v7
	s_waitcnt lgkmcnt(2)
	v_dot4c_i32_i8_e32 v167, v20, v12
	v_dot4c_i32_i8_e32 v167, v21, v8
	s_waitcnt lgkmcnt(1)
	v_dot4c_i32_i8_e32 v167, v104, v13
	ds_read_b128 v[10:13], v139 offset:64
	v_dot4c_i32_i8_e32 v167, v105, v9
	ds_read_b128 v[6:9], v139 offset:80
	v_pk_mul_f16 v155, v3, v155
	v_pk_mul_f16 v157, v3, v157
	;; [unrolled: 1-line block ×3, first 2 shown]
	ds_read2_b32 v[2:3], v141 offset0:50 offset1:51
	v_mov_b32_e32 v172, 0
	s_waitcnt lgkmcnt(2)
	v_dot4c_i32_i8_e32 v172, v160, v10
	s_waitcnt lgkmcnt(1)
	v_dot4c_i32_i8_e32 v172, v161, v6
	ds_read2_b32 v[16:17], v141 offset0:52 offset1:53
	ds_read2_b32 v[18:19], v141 offset0:54 offset1:55
	;; [unrolled: 1-line block ×3, first 2 shown]
	s_waitcnt lgkmcnt(3)
	v_dot4c_i32_i8_e32 v172, v2, v11
	v_add_u32_e32 v2, 0x2148, v141
	v_dot4c_i32_i8_e32 v172, v3, v7
	ds_read2_b32 v[2:3], v2 offset1:1
	s_waitcnt lgkmcnt(3)
	v_dot4c_i32_i8_e32 v172, v16, v12
	v_dot4c_i32_i8_e32 v172, v17, v8
	v_mov_b32_e32 v160, 0
	s_waitcnt lgkmcnt(2)
	v_dot4c_i32_i8_e32 v172, v18, v13
	v_dot4c_i32_i8_e32 v160, v108, v10
	v_add_u32_e32 v16, 0x2150, v141
	v_add_u32_e32 v18, 0x2158, v141
	;; [unrolled: 1-line block ×3, first 2 shown]
	v_dot4c_i32_i8_e32 v172, v19, v9
	v_dot4c_i32_i8_e32 v160, v109, v6
	ds_read2_b32 v[16:17], v16 offset1:1
	ds_read2_b32 v[18:19], v18 offset1:1
	;; [unrolled: 1-line block ×3, first 2 shown]
	s_waitcnt lgkmcnt(3)
	v_dot4c_i32_i8_e32 v160, v2, v11
	v_dot4c_i32_i8_e32 v160, v3, v7
	v_add_u32_e32 v2, 0x41c8, v141
	s_waitcnt lgkmcnt(2)
	v_dot4c_i32_i8_e32 v160, v16, v12
	ds_read2_b32 v[2:3], v2 offset1:1
	v_dot4c_i32_i8_e32 v160, v17, v8
	v_mov_b32_e32 v161, 0
	s_waitcnt lgkmcnt(2)
	v_dot4c_i32_i8_e32 v160, v18, v13
	s_waitcnt lgkmcnt(1)
	v_dot4c_i32_i8_e32 v161, v104, v10
	v_add_u32_e32 v16, 0x41d0, v141
	v_add_u32_e32 v18, 0x41d8, v141
	;; [unrolled: 1-line block ×3, first 2 shown]
	v_dot4c_i32_i8_e32 v160, v19, v9
	v_dot4c_i32_i8_e32 v161, v105, v6
	ds_read2_b32 v[16:17], v16 offset1:1
	ds_read2_b32 v[18:19], v18 offset1:1
	;; [unrolled: 1-line block ×3, first 2 shown]
	s_waitcnt lgkmcnt(3)
	v_dot4c_i32_i8_e32 v161, v2, v11
	v_add_u32_e32 v2, 0x6248, v141
	v_dot4c_i32_i8_e32 v161, v3, v7
	ds_read2_b32 v[2:3], v2 offset1:1
	v_mov_b32_e32 v174, 0
	s_waitcnt lgkmcnt(1)
	v_dot4c_i32_i8_e32 v174, v104, v10
	v_dot4c_i32_i8_e32 v161, v16, v12
	;; [unrolled: 1-line block ×3, first 2 shown]
	v_add_u32_e32 v6, 0x6250, v141
	v_dot4c_i32_i8_e32 v161, v17, v8
	v_pk_mul_f16 v173, v4, v14
	v_add_u32_e32 v10, 0x6258, v141
	v_add_u32_e32 v14, 0x2160, v141
	ds_read2_b32 v[16:17], v6 offset1:1
	ds_read2_b32 v[104:105], v10 offset1:1
	;; [unrolled: 1-line block ×3, first 2 shown]
	s_waitcnt lgkmcnt(3)
	v_dot4c_i32_i8_e32 v174, v2, v11
	v_dot4c_i32_i8_e32 v174, v3, v7
	s_waitcnt lgkmcnt(2)
	v_dot4c_i32_i8_e32 v174, v16, v12
	v_dot4c_i32_i8_e32 v161, v18, v13
	;; [unrolled: 1-line block ×4, first 2 shown]
	s_waitcnt lgkmcnt(1)
	v_dot4c_i32_i8_e32 v174, v104, v13
	ds_read_b128 v[10:13], v139 offset:96
	ds_read_b128 v[16:19], v139 offset:112
	v_pk_mul_f16 v158, v4, v158
	v_pk_mul_f16 v106, v4, v106
	;; [unrolled: 1-line block ×3, first 2 shown]
	v_mov_b32_e32 v4, 0
	v_add_u32_e32 v2, 0x2168, v141
	s_waitcnt lgkmcnt(1)
	v_dot4c_i32_i8_e32 v4, v20, v10
	ds_read2_b32 v[2:3], v2 offset1:1
	s_waitcnt lgkmcnt(1)
	v_dot4c_i32_i8_e32 v4, v21, v16
	v_dot4c_i32_i8_e32 v4, v112, v11
	v_mov_b32_e32 v112, 0
	v_dot4c_i32_i8_e32 v112, v108, v10
	v_add_u32_e32 v6, 0x2170, v141
	v_add_u32_e32 v8, 0x2178, v141
	;; [unrolled: 1-line block ×3, first 2 shown]
	v_dot4c_i32_i8_e32 v174, v105, v9
	v_dot4c_i32_i8_e32 v112, v109, v16
	ds_read2_b32 v[6:7], v6 offset1:1
	ds_read2_b32 v[8:9], v8 offset1:1
	;; [unrolled: 1-line block ×3, first 2 shown]
	s_waitcnt lgkmcnt(3)
	v_dot4c_i32_i8_e32 v112, v2, v11
	v_dot4c_i32_i8_e32 v112, v3, v17
	s_waitcnt lgkmcnt(2)
	v_dot4c_i32_i8_e32 v112, v6, v12
	v_dot4c_i32_i8_e32 v112, v7, v18
	;; [unrolled: 3-line block ×3, first 2 shown]
	v_cvt_f32_f16_e32 v3, v154
	v_cvt_f32_f16_e32 v2, v111
	v_cvt_f32_f16_sdwa v7, v154 dst_sel:DWORD dst_unused:UNUSED_PAD src0_sel:WORD_1
	v_cvt_f32_f16_sdwa v6, v111 dst_sel:DWORD dst_unused:UNUSED_PAD src0_sel:WORD_1
	v_cvt_f32_i32_e32 v9, v168
	v_cvt_f32_i32_e32 v8, v110
	v_dot4c_i32_i8_e32 v4, v113, v17
	v_cvt_f32_f16_e32 v105, v155
	v_cvt_f32_f16_e32 v104, v164
	v_cvt_f32_f16_sdwa v109, v155 dst_sel:DWORD dst_unused:UNUSED_PAD src0_sel:WORD_1
	v_cvt_f32_f16_sdwa v108, v164 dst_sel:DWORD dst_unused:UNUSED_PAD src0_sel:WORD_1
	v_cvt_f32_i32_e32 v111, v165
	v_cvt_f32_i32_e32 v110, v163
	v_dot4c_i32_i8_e32 v4, v114, v12
	v_dot4c_i32_i8_e32 v4, v115, v18
	;; [unrolled: 1-line block ×3, first 2 shown]
	v_pk_fma_f32 v[2:3], v[2:3], v[8:9], v[6:7]
	v_dot4c_i32_i8_e32 v4, v117, v19
	v_pk_mul_f16 v14, v5, v159
	v_pk_mul_f16 v113, v5, v107
	v_pk_add_f32 v[2:3], v[98:99], v[2:3]
	v_pk_fma_f32 v[6:7], v[104:105], v[110:111], v[108:109]
	v_cvt_f32_f16_e32 v9, v106
	v_cvt_f32_f16_e32 v8, v158
	v_cvt_f32_f16_sdwa v99, v106 dst_sel:DWORD dst_unused:UNUSED_PAD src0_sel:WORD_1
	v_cvt_f32_f16_sdwa v98, v158 dst_sel:DWORD dst_unused:UNUSED_PAD src0_sel:WORD_1
	v_cvt_f32_i32_e32 v105, v160
	v_cvt_f32_i32_e32 v104, v172
	v_cvt_f32_f16_e32 v107, v113
	v_cvt_f32_f16_e32 v106, v14
	v_cvt_f32_f16_sdwa v109, v113 dst_sel:DWORD dst_unused:UNUSED_PAD src0_sel:WORD_1
	v_cvt_f32_f16_sdwa v108, v14 dst_sel:DWORD dst_unused:UNUSED_PAD src0_sel:WORD_1
	v_cvt_f32_i32_e32 v111, v112
	v_cvt_f32_i32_e32 v110, v4
	v_pk_add_f32 v[2:3], v[2:3], v[6:7]
	v_pk_fma_f32 v[6:7], v[8:9], v[104:105], v[98:99]
	v_pk_add_f32 v[2:3], v[2:3], v[6:7]
	v_pk_fma_f32 v[6:7], v[106:107], v[110:111], v[108:109]
	v_pk_add_f32 v[98:99], v[2:3], v[6:7]
	v_add_u32_e32 v2, 0x41e8, v141
	ds_read2_b32 v[2:3], v2 offset1:1
	v_mov_b32_e32 v104, 0
	s_waitcnt lgkmcnt(1)
	v_dot4c_i32_i8_e32 v104, v20, v10
	v_add_u32_e32 v4, 0x41f0, v141
	v_add_u32_e32 v8, 0x41f8, v141
	v_dot4c_i32_i8_e32 v104, v21, v16
	v_add_u32_e32 v14, 0x6260, v141
	ds_read2_b32 v[6:7], v4 offset1:1
	ds_read2_b32 v[8:9], v8 offset1:1
	;; [unrolled: 1-line block ×3, first 2 shown]
	s_waitcnt lgkmcnt(3)
	v_dot4c_i32_i8_e32 v104, v2, v11
	v_add_u32_e32 v2, 0x6268, v141
	v_dot4c_i32_i8_e32 v104, v3, v17
	ds_read2_b32 v[2:3], v2 offset1:1
	s_waitcnt lgkmcnt(3)
	v_dot4c_i32_i8_e32 v104, v6, v12
	v_add_u32_e32 v4, 0x6270, v141
	v_dot4c_i32_i8_e32 v104, v7, v18
	ds_read2_b32 v[6:7], v4 offset1:1
	v_mov_b32_e32 v106, 0
	s_waitcnt lgkmcnt(3)
	v_dot4c_i32_i8_e32 v104, v8, v13
	s_waitcnt lgkmcnt(2)
	v_dot4c_i32_i8_e32 v106, v20, v10
	v_add_u32_e32 v4, 0x6278, v141
	v_dot4c_i32_i8_e32 v104, v9, v19
	v_dot4c_i32_i8_e32 v106, v21, v16
	ds_read2_b32 v[8:9], v4 offset1:1
	s_waitcnt lgkmcnt(2)
	v_dot4c_i32_i8_e32 v106, v2, v11
	v_dot4c_i32_i8_e32 v106, v3, v17
	s_waitcnt lgkmcnt(1)
	v_dot4c_i32_i8_e32 v106, v6, v12
	v_dot4c_i32_i8_e32 v106, v7, v18
	s_waitcnt lgkmcnt(0)
	v_dot4c_i32_i8_e32 v106, v8, v13
	v_pk_mul_f16 v105, v5, v15
	v_dot4c_i32_i8_e32 v106, v9, v19
	v_cvt_f32_f16_e32 v3, v162
	v_cvt_f32_f16_e32 v2, v156
	v_cvt_f32_f16_sdwa v7, v162 dst_sel:DWORD dst_unused:UNUSED_PAD src0_sel:WORD_1
	v_cvt_f32_f16_sdwa v6, v156 dst_sel:DWORD dst_unused:UNUSED_PAD src0_sel:WORD_1
	v_cvt_f32_i32_e32 v9, v170
	v_cvt_f32_i32_e32 v8, v169
	v_cvt_f32_f16_e32 v11, v171
	v_cvt_f32_f16_e32 v10, v157
	v_cvt_f32_f16_sdwa v13, v171 dst_sel:DWORD dst_unused:UNUSED_PAD src0_sel:WORD_1
	v_cvt_f32_f16_sdwa v12, v157 dst_sel:DWORD dst_unused:UNUSED_PAD src0_sel:WORD_1
	v_cvt_f32_i32_e32 v15, v167
	v_cvt_f32_i32_e32 v14, v166
	v_pk_mul_f16 v16, v5, v103
	v_pk_fma_f32 v[2:3], v[2:3], v[8:9], v[6:7]
	v_cvt_f32_f16_e32 v7, v102
	v_pk_fma_f32 v[4:5], v[10:11], v[14:15], v[12:13]
	v_cvt_f32_f16_e32 v6, v173
	v_cvt_f32_f16_sdwa v9, v102 dst_sel:DWORD dst_unused:UNUSED_PAD src0_sel:WORD_1
	v_cvt_f32_f16_sdwa v8, v173 dst_sel:DWORD dst_unused:UNUSED_PAD src0_sel:WORD_1
	v_cvt_f32_i32_e32 v11, v174
	v_cvt_f32_i32_e32 v10, v161
	v_cvt_f32_f16_e32 v13, v16
	v_cvt_f32_f16_e32 v12, v105
	v_cvt_f32_f16_sdwa v15, v16 dst_sel:DWORD dst_unused:UNUSED_PAD src0_sel:WORD_1
	v_cvt_f32_f16_sdwa v14, v105 dst_sel:DWORD dst_unused:UNUSED_PAD src0_sel:WORD_1
	v_cvt_f32_i32_e32 v17, v106
	v_cvt_f32_i32_e32 v16, v104
	v_pk_add_f32 v[2:3], v[100:101], v[2:3]
	v_pk_add_f32 v[2:3], v[2:3], v[4:5]
	v_pk_fma_f32 v[4:5], v[6:7], v[10:11], v[8:9]
	v_pk_add_f32 v[2:3], v[2:3], v[4:5]
	v_pk_fma_f32 v[4:5], v[12:13], v[16:17], v[14:15]
	v_pk_add_f32 v[100:101], v[2:3], v[4:5]
	s_barrier
.LBB203_5:                              ;   in Loop: Header=BB203_6 Depth=1
	v_add_co_u32_e32 v24, vcc, 0x120, v24
	v_addc_co_u32_e32 v25, vcc, 0, v25, vcc
	v_add_co_u32_e32 v26, vcc, 0xc0, v26
	v_addc_co_u32_e32 v1, vcc, 0, v1, vcc
	;; [unrolled: 2-line block ×36, first 2 shown]
	s_add_i32 s16, s16, 8
	s_addk_i32 s21, 0x100
	v_add_co_u32_e32 v96, vcc, 0xc0, v96
	s_cmp_ge_i32 s16, s19
	v_addc_co_u32_e32 v95, vcc, 0, v95, vcc
	s_cbranch_scc1 .LBB203_20
.LBB203_6:                              ; =>This Inner Loop Header: Depth=1
	v_mov_b32_e32 v2, s20
	v_add_co_u32_e32 v4, vcc, s14, v26
	v_addc_co_u32_e32 v5, vcc, v1, v2, vcc
	global_load_dword v3, v[4:5], off
	v_add_co_u32_e32 v4, vcc, s14, v28
	v_addc_co_u32_e32 v5, vcc, v27, v2, vcc
	global_load_dword v8, v[4:5], off offset:4
	v_add_co_u32_e32 v4, vcc, s14, v30
	v_addc_co_u32_e32 v5, vcc, v29, v2, vcc
	v_add_co_u32_e32 v6, vcc, s14, v32
	v_addc_co_u32_e32 v7, vcc, v31, v2, vcc
	global_load_dword v9, v[6:7], off
	global_load_dword v10, v[4:5], off
	v_add_co_u32_e32 v4, vcc, s14, v36
	v_addc_co_u32_e32 v5, vcc, v35, v2, vcc
	global_load_dword v11, v[4:5], off
	v_add_co_u32_e32 v4, vcc, s14, v34
	v_addc_co_u32_e32 v5, vcc, v33, v2, vcc
	global_load_dword v12, v[4:5], off
	v_add_co_u32_e32 v4, vcc, s14, v38
	v_addc_co_u32_e32 v5, vcc, v37, v2, vcc
	v_add_co_u32_e32 v6, vcc, s14, v40
	v_addc_co_u32_e32 v7, vcc, v39, v2, vcc
	global_load_dword v13, v[4:5], off
	s_nop 0
	global_load_dword v6, v[6:7], off
	s_add_i32 s4, s21, 0xffffff80
	s_cmp_lt_i32 s4, s15
	s_waitcnt vmcnt(7)
	v_lshrrev_b32_e32 v5, 4, v3
	v_and_b32_e32 v3, 0xf0f0f0f, v3
	v_and_b32_e32 v5, 0xf0f0f0f, v5
	s_waitcnt vmcnt(6)
	v_ashrrev_i32_e32 v4, v119, v8
	v_lshlrev_b32_e32 v14, 11, v4
	v_lshrrev_b32_e32 v15, 12, v4
	v_lshrrev_b32_e32 v16, 5, v4
	v_lshlrev_b32_e32 v17, 2, v4
	v_lshlrev_b32_e32 v18, 18, v4
	;; [unrolled: 1-line block ×3, first 2 shown]
	v_and_b32_e32 v15, 16, v15
	s_waitcnt vmcnt(5)
	v_ashrrev_i32_e32 v7, v119, v9
	s_waitcnt vmcnt(4)
	v_lshrrev_b32_e32 v8, 4, v10
	v_and_b32_e32 v9, 0xf0f0f0f, v10
	v_lshlrev_b32_e32 v10, 4, v4
	v_lshlrev_b32_e32 v4, 25, v4
	v_and_b32_e32 v10, 16, v10
	v_and_b32_e32 v16, 0x1000, v16
	;; [unrolled: 1-line block ×7, first 2 shown]
	v_or3_b32 v3, v10, v3, v14
	v_or3_b32 v5, v15, v5, v16
	;; [unrolled: 1-line block ×4, first 2 shown]
	v_add_co_u32_e32 v4, vcc, s14, v44
	ds_write2_b32 v120, v3, v5 offset1:1
	v_addc_co_u32_e32 v5, vcc, v43, v2, vcc
	global_load_dword v3, v[4:5], off
	v_add_co_u32_e32 v4, vcc, s14, v42
	v_lshlrev_b32_e32 v20, 4, v7
	v_lshlrev_b32_e32 v21, 11, v7
	v_lshrrev_b32_e32 v102, 12, v7
	v_lshrrev_b32_e32 v103, 5, v7
	v_addc_co_u32_e32 v5, vcc, v41, v2, vcc
	v_and_b32_e32 v8, 0xf0f0f0f, v8
	v_lshlrev_b32_e32 v104, 2, v7
	v_lshlrev_b32_e32 v105, 18, v7
	;; [unrolled: 1-line block ×3, first 2 shown]
	v_and_b32_e32 v102, 16, v102
	v_and_b32_e32 v20, 16, v20
	;; [unrolled: 1-line block ×4, first 2 shown]
	global_load_dword v10, v[4:5], off
	v_lshlrev_b32_e32 v4, 25, v7
	v_and_b32_e32 v105, 0x100000, v105
	v_and_b32_e32 v104, 0x100000, v104
	v_or3_b32 v9, v20, v9, v21
	v_or3_b32 v8, v102, v8, v103
	v_and_b32_e32 v4, 0x10000000, v4
	v_and_b32_e32 v5, 0x10000000, v106
	v_or3_b32 v5, v8, v104, v5
	v_or3_b32 v4, v9, v105, v4
	s_waitcnt vmcnt(5)
	v_ashrrev_i32_e32 v7, v119, v11
	ds_write2_b32 v121, v4, v5 offset1:1
	v_lshlrev_b32_e32 v4, 4, v7
	v_lshlrev_b32_e32 v5, 11, v7
	s_waitcnt vmcnt(4)
	v_lshrrev_b32_e32 v8, 4, v12
	v_lshrrev_b32_e32 v9, 12, v7
	;; [unrolled: 1-line block ×3, first 2 shown]
	v_and_b32_e32 v12, 0xf0f0f0f, v12
	v_and_b32_e32 v4, 16, v4
	;; [unrolled: 1-line block ×6, first 2 shown]
	v_or3_b32 v12, v4, v12, v5
	v_lshlrev_b32_e32 v4, 2, v7
	v_or3_b32 v8, v9, v8, v11
	v_lshlrev_b32_e32 v5, 18, v7
	v_and_b32_e32 v11, 0x100000, v4
	v_add_co_u32_e32 v4, vcc, s14, v48
	v_and_b32_e32 v9, 0x100000, v5
	v_addc_co_u32_e32 v5, vcc, v47, v2, vcc
	global_load_dword v15, v[4:5], off
	v_add_co_u32_e32 v4, vcc, s14, v46
	v_addc_co_u32_e32 v5, vcc, v45, v2, vcc
	v_lshlrev_b32_e32 v14, 9, v7
	global_load_dword v16, v[4:5], off
	v_lshlrev_b32_e32 v4, 25, v7
	v_and_b32_e32 v4, 0x10000000, v4
	v_and_b32_e32 v5, 0x10000000, v14
	v_or3_b32 v5, v8, v11, v5
	v_or3_b32 v4, v12, v9, v4
	s_waitcnt vmcnt(4)
	v_ashrrev_i32_e32 v6, v119, v6
	ds_write2_b32 v122, v4, v5 offset1:1
	v_lshlrev_b32_e32 v4, 4, v6
	v_lshlrev_b32_e32 v5, 11, v6
	v_lshrrev_b32_e32 v7, 4, v13
	v_lshrrev_b32_e32 v8, 12, v6
	;; [unrolled: 1-line block ×3, first 2 shown]
	v_and_b32_e32 v11, 0xf0f0f0f, v13
	v_and_b32_e32 v4, 16, v4
	;; [unrolled: 1-line block ×6, first 2 shown]
	v_or3_b32 v11, v4, v11, v5
	v_lshlrev_b32_e32 v4, 2, v6
	v_or3_b32 v7, v8, v7, v9
	v_lshlrev_b32_e32 v5, 18, v6
	v_and_b32_e32 v9, 0x100000, v4
	v_add_co_u32_e32 v4, vcc, s14, v52
	v_and_b32_e32 v8, 0x100000, v5
	v_addc_co_u32_e32 v5, vcc, v51, v2, vcc
	global_load_dword v13, v[4:5], off
	v_add_co_u32_e32 v4, vcc, s14, v50
	v_addc_co_u32_e32 v5, vcc, v49, v2, vcc
	global_load_dword v14, v[4:5], off
	v_lshlrev_b32_e32 v12, 9, v6
	v_lshlrev_b32_e32 v4, 25, v6
	v_and_b32_e32 v4, 0x10000000, v4
	v_and_b32_e32 v5, 0x10000000, v12
	v_or3_b32 v5, v7, v9, v5
	v_or3_b32 v4, v11, v8, v4
	s_waitcnt vmcnt(5)
	v_ashrrev_i32_e32 v3, v119, v3
	ds_write2_b32 v123, v4, v5 offset1:1
	v_lshlrev_b32_e32 v4, 4, v3
	v_lshlrev_b32_e32 v5, 11, v3
	s_waitcnt vmcnt(4)
	v_lshrrev_b32_e32 v6, 4, v10
	v_lshrrev_b32_e32 v7, 12, v3
	;; [unrolled: 1-line block ×3, first 2 shown]
	v_and_b32_e32 v9, 0xf0f0f0f, v10
	v_and_b32_e32 v4, 16, v4
	;; [unrolled: 1-line block ×6, first 2 shown]
	v_or3_b32 v9, v4, v9, v5
	v_lshlrev_b32_e32 v4, 2, v3
	v_or3_b32 v6, v7, v6, v8
	v_lshlrev_b32_e32 v5, 18, v3
	v_and_b32_e32 v8, 0x100000, v4
	v_add_co_u32_e32 v4, vcc, s14, v56
	v_and_b32_e32 v7, 0x100000, v5
	v_addc_co_u32_e32 v5, vcc, v55, v2, vcc
	global_load_dword v11, v[4:5], off
	v_add_co_u32_e32 v4, vcc, s14, v54
	v_lshlrev_b32_e32 v10, 9, v3
	v_addc_co_u32_e32 v5, vcc, v53, v2, vcc
	v_lshlrev_b32_e32 v3, 25, v3
	global_load_dword v12, v[4:5], off
	v_and_b32_e32 v3, 0x10000000, v3
	v_and_b32_e32 v4, 0x10000000, v10
	v_or3_b32 v4, v6, v8, v4
	v_or3_b32 v3, v9, v7, v3
	ds_write2_b32 v124, v3, v4 offset1:1
	s_waitcnt vmcnt(5)
	v_ashrrev_i32_e32 v3, v119, v15
	v_lshlrev_b32_e32 v4, 4, v3
	v_lshlrev_b32_e32 v5, 11, v3
	s_waitcnt vmcnt(4)
	v_lshrrev_b32_e32 v6, 4, v16
	v_lshrrev_b32_e32 v7, 12, v3
	;; [unrolled: 1-line block ×3, first 2 shown]
	v_and_b32_e32 v9, 0xf0f0f0f, v16
	v_and_b32_e32 v4, 16, v4
	v_and_b32_e32 v5, 0x1000, v5
	v_and_b32_e32 v6, 0xf0f0f0f, v6
	v_and_b32_e32 v7, 16, v7
	v_and_b32_e32 v8, 0x1000, v8
	v_or3_b32 v9, v4, v9, v5
	v_lshlrev_b32_e32 v4, 2, v3
	v_or3_b32 v6, v7, v6, v8
	v_lshlrev_b32_e32 v5, 18, v3
	v_and_b32_e32 v8, 0x100000, v4
	v_add_co_u32_e32 v4, vcc, s14, v60
	v_and_b32_e32 v7, 0x100000, v5
	v_addc_co_u32_e32 v5, vcc, v59, v2, vcc
	global_load_dword v15, v[4:5], off
	v_add_co_u32_e32 v4, vcc, s14, v58
	v_lshlrev_b32_e32 v10, 9, v3
	v_addc_co_u32_e32 v5, vcc, v57, v2, vcc
	v_lshlrev_b32_e32 v3, 25, v3
	global_load_dword v16, v[4:5], off
	v_and_b32_e32 v3, 0x10000000, v3
	v_and_b32_e32 v4, 0x10000000, v10
	v_or3_b32 v4, v6, v8, v4
	v_or3_b32 v3, v9, v7, v3
	ds_write2_b32 v125, v3, v4 offset1:1
	s_waitcnt vmcnt(5)
	v_ashrrev_i32_e32 v3, v119, v13
	v_lshlrev_b32_e32 v4, 4, v3
	v_lshlrev_b32_e32 v5, 11, v3
	s_waitcnt vmcnt(4)
	v_lshrrev_b32_e32 v6, 4, v14
	v_lshrrev_b32_e32 v7, 12, v3
	v_lshrrev_b32_e32 v8, 5, v3
	v_and_b32_e32 v9, 0xf0f0f0f, v14
	v_and_b32_e32 v4, 16, v4
	;; [unrolled: 1-line block ×6, first 2 shown]
	v_or3_b32 v9, v4, v9, v5
	v_lshlrev_b32_e32 v4, 2, v3
	v_or3_b32 v6, v7, v6, v8
	v_lshlrev_b32_e32 v5, 18, v3
	v_and_b32_e32 v8, 0x100000, v4
	v_add_co_u32_e32 v4, vcc, s14, v64
	v_and_b32_e32 v7, 0x100000, v5
	v_addc_co_u32_e32 v5, vcc, v63, v2, vcc
	global_load_dword v13, v[4:5], off
	v_add_co_u32_e32 v4, vcc, s14, v62
	v_addc_co_u32_e32 v5, vcc, v61, v2, vcc
	global_load_dword v14, v[4:5], off
	v_lshlrev_b32_e32 v10, 9, v3
	v_lshlrev_b32_e32 v3, 25, v3
	v_and_b32_e32 v3, 0x10000000, v3
	v_and_b32_e32 v4, 0x10000000, v10
	v_or3_b32 v4, v6, v8, v4
	v_or3_b32 v3, v9, v7, v3
	ds_write2_b32 v126, v3, v4 offset1:1
	s_waitcnt vmcnt(5)
	v_ashrrev_i32_e32 v3, v119, v11
	v_lshlrev_b32_e32 v4, 4, v3
	v_lshlrev_b32_e32 v5, 11, v3
	v_lshrrev_b32_e32 v7, 12, v3
	s_waitcnt vmcnt(4)
	v_lshrrev_b32_e32 v6, 4, v12
	v_lshrrev_b32_e32 v8, 5, v3
	v_and_b32_e32 v9, 0xf0f0f0f, v12
	v_and_b32_e32 v4, 16, v4
	;; [unrolled: 1-line block ×6, first 2 shown]
	v_or3_b32 v9, v4, v9, v5
	v_lshlrev_b32_e32 v4, 2, v3
	v_or3_b32 v6, v7, v6, v8
	v_lshlrev_b32_e32 v5, 18, v3
	v_and_b32_e32 v8, 0x100000, v4
	v_add_co_u32_e32 v4, vcc, s14, v68
	v_and_b32_e32 v7, 0x100000, v5
	v_addc_co_u32_e32 v5, vcc, v67, v2, vcc
	global_load_dword v11, v[4:5], off
	v_add_co_u32_e32 v4, vcc, s14, v66
	v_lshlrev_b32_e32 v10, 9, v3
	v_addc_co_u32_e32 v5, vcc, v65, v2, vcc
	v_lshlrev_b32_e32 v3, 25, v3
	global_load_dword v12, v[4:5], off
	v_and_b32_e32 v3, 0x10000000, v3
	v_and_b32_e32 v4, 0x10000000, v10
	v_or3_b32 v4, v6, v8, v4
	v_or3_b32 v3, v9, v7, v3
	ds_write2_b32 v127, v3, v4 offset1:1
	s_waitcnt vmcnt(5)
	v_ashrrev_i32_e32 v3, v119, v15
	v_lshlrev_b32_e32 v4, 4, v3
	v_lshlrev_b32_e32 v5, 11, v3
	v_and_b32_e32 v4, 16, v4
	s_waitcnt vmcnt(4)
	v_and_b32_e32 v9, 0xf0f0f0f, v16
	v_and_b32_e32 v5, 0x1000, v5
	v_lshrrev_b32_e32 v6, 4, v16
	v_lshrrev_b32_e32 v7, 12, v3
	;; [unrolled: 1-line block ×3, first 2 shown]
	v_or3_b32 v9, v4, v9, v5
	v_add_co_u32_e32 v4, vcc, s14, v72
	v_and_b32_e32 v6, 0xf0f0f0f, v6
	v_and_b32_e32 v7, 16, v7
	;; [unrolled: 1-line block ×3, first 2 shown]
	v_addc_co_u32_e32 v5, vcc, v71, v2, vcc
	v_or3_b32 v6, v7, v6, v8
	global_load_dword v7, v[4:5], off
	v_add_co_u32_e32 v4, vcc, s14, v70
	v_addc_co_u32_e32 v5, vcc, v69, v2, vcc
	global_load_dword v8, v[4:5], off
	v_lshlrev_b32_e32 v4, 2, v3
	v_lshlrev_b32_e32 v5, 18, v3
	;; [unrolled: 1-line block ×4, first 2 shown]
	v_and_b32_e32 v5, 0x100000, v5
	v_and_b32_e32 v4, 0x100000, v4
	;; [unrolled: 1-line block ×4, first 2 shown]
	v_or3_b32 v4, v6, v4, v10
	v_or3_b32 v3, v9, v5, v3
	ds_write2_b32 v128, v3, v4 offset1:1
	s_waitcnt vmcnt(5)
	v_ashrrev_i32_e32 v3, v119, v13
	v_lshrrev_b32_e32 v5, 12, v3
	s_waitcnt vmcnt(4)
	v_lshrrev_b32_e32 v4, 4, v14
	v_and_b32_e32 v13, 0xf0f0f0f, v4
	v_add_co_u32_e32 v4, vcc, s14, v76
	v_and_b32_e32 v15, 16, v5
	v_addc_co_u32_e32 v5, vcc, v75, v2, vcc
	global_load_dword v16, v[4:5], off
	v_add_co_u32_e32 v4, vcc, s14, v74
	v_addc_co_u32_e32 v5, vcc, v73, v2, vcc
	global_load_dword v17, v[4:5], off
	v_lshlrev_b32_e32 v6, 4, v3
	v_lshlrev_b32_e32 v9, 11, v3
	v_lshrrev_b32_e32 v10, 5, v3
	v_and_b32_e32 v14, 0xf0f0f0f, v14
	v_and_b32_e32 v4, 16, v6
	;; [unrolled: 1-line block ×4, first 2 shown]
	v_or3_b32 v4, v4, v14, v6
	v_lshlrev_b32_e32 v6, 2, v3
	v_lshlrev_b32_e32 v9, 18, v3
	;; [unrolled: 1-line block ×4, first 2 shown]
	v_or3_b32 v5, v15, v13, v5
	v_and_b32_e32 v9, 0x100000, v9
	v_and_b32_e32 v6, 0x100000, v6
	;; [unrolled: 1-line block ×4, first 2 shown]
	v_or3_b32 v5, v5, v6, v10
	v_or3_b32 v3, v4, v9, v3
	ds_write2_b32 v129, v3, v5 offset1:1
	s_waitcnt vmcnt(5)
	v_ashrrev_i32_e32 v3, v119, v11
	v_lshlrev_b32_e32 v4, 4, v3
	v_lshlrev_b32_e32 v5, 11, v3
	v_lshrrev_b32_e32 v9, 12, v3
	s_waitcnt vmcnt(4)
	v_lshrrev_b32_e32 v6, 4, v12
	v_lshrrev_b32_e32 v10, 5, v3
	v_and_b32_e32 v11, 0xf0f0f0f, v12
	v_and_b32_e32 v4, 16, v4
	;; [unrolled: 1-line block ×6, first 2 shown]
	v_or3_b32 v11, v4, v11, v5
	v_lshlrev_b32_e32 v4, 2, v3
	v_or3_b32 v6, v9, v6, v10
	v_lshlrev_b32_e32 v5, 18, v3
	v_and_b32_e32 v10, 0x100000, v4
	v_add_co_u32_e32 v4, vcc, s14, v80
	v_and_b32_e32 v9, 0x100000, v5
	v_lshlrev_b32_e32 v12, 9, v3
	v_lshlrev_b32_e32 v3, 25, v3
	v_addc_co_u32_e32 v5, vcc, v79, v2, vcc
	v_and_b32_e32 v3, 0x10000000, v3
	global_load_dword v13, v[4:5], off
	v_and_b32_e32 v4, 0x10000000, v12
	v_or3_b32 v4, v6, v10, v4
	v_or3_b32 v3, v11, v9, v3
	ds_write2_b32 v130, v3, v4 offset1:1
	s_waitcnt vmcnt(4)
	v_ashrrev_i32_e32 v3, v119, v7
	v_lshlrev_b32_e32 v4, 4, v3
	v_lshlrev_b32_e32 v5, 11, v3
	s_waitcnt vmcnt(3)
	v_lshrrev_b32_e32 v6, 4, v8
	v_and_b32_e32 v8, 0xf0f0f0f, v8
	v_and_b32_e32 v4, 16, v4
	;; [unrolled: 1-line block ×3, first 2 shown]
	v_lshrrev_b32_e32 v7, 12, v3
	v_lshrrev_b32_e32 v9, 5, v3
	v_or3_b32 v8, v4, v8, v5
	v_add_co_u32_e32 v4, vcc, s14, v78
	v_and_b32_e32 v6, 0xf0f0f0f, v6
	v_and_b32_e32 v7, 16, v7
	;; [unrolled: 1-line block ×3, first 2 shown]
	v_addc_co_u32_e32 v5, vcc, v77, v2, vcc
	v_or3_b32 v6, v7, v6, v9
	global_load_dword v7, v[4:5], off
	v_lshlrev_b32_e32 v4, 2, v3
	v_lshlrev_b32_e32 v5, 18, v3
	;; [unrolled: 1-line block ×4, first 2 shown]
	v_and_b32_e32 v5, 0x100000, v5
	v_and_b32_e32 v4, 0x100000, v4
	;; [unrolled: 1-line block ×4, first 2 shown]
	v_or3_b32 v4, v6, v4, v9
	v_or3_b32 v3, v8, v5, v3
	ds_write2_b32 v131, v3, v4 offset1:1
	v_add_co_u32_e32 v4, vcc, s14, v84
	v_addc_co_u32_e32 v5, vcc, v83, v2, vcc
	global_load_dword v10, v[4:5], off
	v_add_co_u32_e32 v4, vcc, s14, v82
	s_waitcnt vmcnt(4)
	v_ashrrev_i32_e32 v3, v119, v16
	v_addc_co_u32_e32 v5, vcc, v81, v2, vcc
	v_lshlrev_b32_e32 v6, 4, v3
	v_lshlrev_b32_e32 v8, 11, v3
	s_waitcnt vmcnt(3)
	v_lshrrev_b32_e32 v9, 4, v17
	global_load_dword v11, v[4:5], off
	v_lshrrev_b32_e32 v4, 12, v3
	v_lshrrev_b32_e32 v5, 5, v3
	v_and_b32_e32 v9, 0xf0f0f0f, v9
	v_and_b32_e32 v12, 0xf0f0f0f, v17
	;; [unrolled: 1-line block ×6, first 2 shown]
	v_or3_b32 v6, v6, v12, v8
	v_or3_b32 v8, v4, v9, v5
	v_lshlrev_b32_e32 v4, 2, v3
	v_lshlrev_b32_e32 v5, 18, v3
	v_and_b32_e32 v12, 0x100000, v4
	v_add_co_u32_e32 v4, vcc, s14, v88
	v_and_b32_e32 v9, 0x100000, v5
	v_addc_co_u32_e32 v5, vcc, v87, v2, vcc
	global_load_dword v15, v[4:5], off
	v_add_co_u32_e32 v4, vcc, s14, v86
	v_lshlrev_b32_e32 v14, 9, v3
	v_addc_co_u32_e32 v5, vcc, v85, v2, vcc
	v_lshlrev_b32_e32 v3, 25, v3
	global_load_dword v16, v[4:5], off
	v_and_b32_e32 v3, 0x10000000, v3
	v_and_b32_e32 v4, 0x10000000, v14
	v_or3_b32 v4, v8, v12, v4
	v_or3_b32 v3, v6, v9, v3
	ds_write2_b32 v132, v3, v4 offset1:1
	v_add_co_u32_e32 v4, vcc, s14, v90
	v_addc_co_u32_e32 v5, vcc, v89, v2, vcc
	global_load_dword v6, v[4:5], off
	v_add_co_u32_e32 v4, vcc, s14, v92
	v_addc_co_u32_e32 v5, vcc, v91, v2, vcc
	global_load_dword v8, v[4:5], off
	v_add_co_u32_e32 v4, vcc, s14, v94
	v_addc_co_u32_e32 v5, vcc, v93, v2, vcc
	global_load_dword v9, v[4:5], off
	v_add_co_u32_e32 v4, vcc, s14, v96
	v_addc_co_u32_e32 v5, vcc, v95, v2, vcc
	global_load_dword v2, v[4:5], off
	s_waitcnt vmcnt(9)
	v_ashrrev_i32_e32 v3, v119, v13
	v_lshlrev_b32_e32 v4, 4, v3
	v_lshlrev_b32_e32 v5, 11, v3
	s_waitcnt vmcnt(8)
	v_lshrrev_b32_e32 v12, 4, v7
	v_lshrrev_b32_e32 v13, 12, v3
	;; [unrolled: 1-line block ×3, first 2 shown]
	v_and_b32_e32 v12, 0xf0f0f0f, v12
	v_and_b32_e32 v7, 0xf0f0f0f, v7
	;; [unrolled: 1-line block ×6, first 2 shown]
	v_or3_b32 v4, v4, v7, v5
	v_or3_b32 v5, v13, v12, v14
	v_lshlrev_b32_e32 v7, 2, v3
	v_lshlrev_b32_e32 v12, 18, v3
	;; [unrolled: 1-line block ×4, first 2 shown]
	v_and_b32_e32 v12, 0x100000, v12
	v_and_b32_e32 v7, 0x100000, v7
	;; [unrolled: 1-line block ×4, first 2 shown]
	v_or3_b32 v5, v5, v7, v13
	v_or3_b32 v3, v4, v12, v3
	ds_write2_b32 v133, v3, v5 offset1:1
	s_waitcnt vmcnt(7)
	v_ashrrev_i32_e32 v3, v119, v10
	v_lshlrev_b32_e32 v4, 4, v3
	v_lshlrev_b32_e32 v5, 11, v3
	s_waitcnt vmcnt(6)
	v_lshrrev_b32_e32 v7, 4, v11
	v_lshrrev_b32_e32 v10, 12, v3
	v_lshrrev_b32_e32 v12, 5, v3
	v_and_b32_e32 v7, 0xf0f0f0f, v7
	v_and_b32_e32 v11, 0xf0f0f0f, v11
	;; [unrolled: 1-line block ×6, first 2 shown]
	v_or3_b32 v4, v4, v11, v5
	v_or3_b32 v5, v10, v7, v12
	v_lshlrev_b32_e32 v7, 2, v3
	v_lshlrev_b32_e32 v10, 18, v3
	;; [unrolled: 1-line block ×4, first 2 shown]
	v_and_b32_e32 v10, 0x100000, v10
	v_and_b32_e32 v7, 0x100000, v7
	v_and_b32_e32 v3, 0x10000000, v3
	v_and_b32_e32 v11, 0x10000000, v11
	v_or3_b32 v5, v5, v7, v11
	v_or3_b32 v3, v4, v10, v3
	ds_write2_b32 v134, v3, v5 offset1:1
	s_waitcnt vmcnt(5)
	v_ashrrev_i32_e32 v3, v119, v15
	v_lshlrev_b32_e32 v4, 4, v3
	v_lshlrev_b32_e32 v5, 11, v3
	v_lshrrev_b32_e32 v10, 12, v3
	s_waitcnt vmcnt(4)
	v_lshrrev_b32_e32 v7, 4, v16
	v_lshrrev_b32_e32 v11, 5, v3
	v_and_b32_e32 v7, 0xf0f0f0f, v7
	v_and_b32_e32 v12, 0xf0f0f0f, v16
	;; [unrolled: 1-line block ×6, first 2 shown]
	v_or3_b32 v4, v4, v12, v5
	v_or3_b32 v5, v10, v7, v11
	v_lshlrev_b32_e32 v7, 2, v3
	v_lshlrev_b32_e32 v10, 18, v3
	;; [unrolled: 1-line block ×4, first 2 shown]
	v_and_b32_e32 v10, 0x100000, v10
	v_and_b32_e32 v7, 0x100000, v7
	;; [unrolled: 1-line block ×4, first 2 shown]
	v_or3_b32 v5, v5, v7, v11
	v_or3_b32 v3, v4, v10, v3
	ds_write2_b32 v135, v3, v5 offset1:1
	s_waitcnt vmcnt(3)
	ds_write_b32 v150, v6
	s_waitcnt vmcnt(2)
	ds_write_b32 v151, v8
	;; [unrolled: 2-line block ×4, first 2 shown]
	s_cbranch_scc0 .LBB203_5
; %bb.7:                                ;   in Loop: Header=BB203_6 Depth=1
	v_add_u32_e32 v2, s16, v136
	v_cmp_gt_i32_e32 vcc, s9, v2
	s_and_b64 s[22:23], s[2:3], vcc
	s_and_saveexec_b64 s[4:5], s[22:23]
	s_cbranch_execz .LBB203_9
; %bb.8:                                ;   in Loop: Header=BB203_6 Depth=1
	v_add_u32_e32 v2, s16, v149
	v_mad_i64_i32 v[2:3], s[22:23], v2, 36, v[22:23]
	global_load_dword v2, v[2:3], off offset:4
	s_waitcnt vmcnt(0)
	ds_write_b32 v137, v2
.LBB203_9:                              ;   in Loop: Header=BB203_6 Depth=1
	s_or_b64 exec, exec, s[4:5]
	s_and_saveexec_b64 s[4:5], s[0:1]
	s_cbranch_execz .LBB203_12
; %bb.10:                               ;   in Loop: Header=BB203_6 Depth=1
	v_add_u32_e32 v2, s16, v118
	v_cmp_gt_i32_e32 vcc, s9, v2
	s_and_b64 s[22:23], s[2:3], vcc
	s_and_b64 exec, exec, s[22:23]
	s_cbranch_execz .LBB203_12
; %bb.11:                               ;   in Loop: Header=BB203_6 Depth=1
	v_add_u32_e32 v2, s16, v147
	v_mad_i64_i32 v[2:3], s[22:23], v2, 36, s[6:7]
	global_load_dword v2, v[2:3], off
	s_waitcnt vmcnt(0)
	ds_write_b32 v138, v2
.LBB203_12:                             ;   in Loop: Header=BB203_6 Depth=1
	s_or_b64 exec, exec, s[4:5]
	s_waitcnt lgkmcnt(0)
	s_barrier
	ds_read_b128 v[14:17], v139
	ds_read_b128 v[18:21], v139 offset:16
	ds_read_b128 v[2:5], v140
	ds_read2_b32 v[102:103], v141 offset1:1
	ds_read_b128 v[10:13], v139 offset:32
	ds_read_b128 v[6:9], v139 offset:48
	ds_read2_b32 v[104:105], v142 offset1:1
	ds_read2_b32 v[106:107], v141 offset0:2 offset1:3
	v_mov_b32_e32 v111, 0
	s_waitcnt lgkmcnt(4)
	v_dot4c_i32_i8_e32 v111, v102, v14
	v_dot4c_i32_i8_e32 v111, v103, v18
	ds_read2_b32 v[102:103], v141 offset0:4 offset1:5
	ds_read2_b32 v[108:109], v141 offset0:6 offset1:7
	ds_read2_b32 v[114:115], v141 offset0:8 offset1:9
	s_waitcnt lgkmcnt(3)
	v_dot4c_i32_i8_e32 v111, v106, v15
	v_dot4c_i32_i8_e32 v111, v107, v19
	s_waitcnt lgkmcnt(2)
	v_dot4c_i32_i8_e32 v111, v102, v16
	v_add_u32_e32 v102, 0x2080, v141
	ds_read2_b32 v[154:155], v141 offset0:26 offset1:27
	ds_read2_b32 v[156:157], v141 offset0:28 offset1:29
	;; [unrolled: 1-line block ×3, first 2 shown]
	ds_read2_b32 v[106:107], v102 offset1:1
	ds_read2_b32 v[160:161], v143 offset1:1
	v_pk_mul_f16 v174, v2, v104
	v_mov_b32_e32 v104, 0
	v_dot4c_i32_i8_e32 v111, v103, v20
	s_waitcnt lgkmcnt(1)
	v_dot4c_i32_i8_e32 v104, v106, v14
	v_add_u32_e32 v106, 0x2088, v141
	ds_read2_b32 v[102:103], v145 offset0:2 offset1:3
	v_dot4c_i32_i8_e32 v104, v107, v18
	ds_read2_b32 v[106:107], v106 offset1:1
	v_dot4c_i32_i8_e32 v111, v108, v17
	v_dot4c_i32_i8_e32 v111, v109, v21
	v_add_u32_e32 v108, 0x2090, v141
	v_add_u32_e32 v113, 0x4100, v141
	s_waitcnt lgkmcnt(0)
	v_dot4c_i32_i8_e32 v104, v106, v15
	v_cvt_f32_i32_e32 v112, v111
	v_add_u32_e32 v111, 0x2098, v141
	ds_read2_b32 v[108:109], v108 offset1:1
	ds_read2_b32 v[116:117], v111 offset1:1
	;; [unrolled: 1-line block ×3, first 2 shown]
	v_dot4c_i32_i8_e32 v104, v107, v19
	v_add_u32_e32 v106, 0x4108, v141
	s_waitcnt lgkmcnt(2)
	v_dot4c_i32_i8_e32 v104, v108, v16
	v_dot4c_i32_i8_e32 v104, v109, v20
	s_waitcnt lgkmcnt(1)
	v_dot4c_i32_i8_e32 v104, v116, v17
	v_dot4c_i32_i8_e32 v104, v117, v21
	ds_read2_b32 v[164:165], v144 offset1:1
	ds_read2_b32 v[116:117], v143 offset0:2 offset1:3
	ds_read2_b32 v[166:167], v142 offset0:2 offset1:3
	ds_read2_b32 v[106:107], v106 offset1:1
	v_cvt_f32_i32_e32 v113, v104
	v_mov_b32_e32 v104, 0
	s_waitcnt lgkmcnt(4)
	v_dot4c_i32_i8_e32 v104, v162, v14
	v_add_u32_e32 v108, 0x4110, v141
	v_add_u32_e32 v162, 0x4118, v141
	v_add_u32_e32 v168, 0x6180, v141
	v_dot4c_i32_i8_e32 v104, v163, v18
	ds_read2_b32 v[108:109], v108 offset1:1
	ds_read2_b32 v[162:163], v162 offset1:1
	;; [unrolled: 1-line block ×3, first 2 shown]
	s_waitcnt lgkmcnt(3)
	v_dot4c_i32_i8_e32 v104, v106, v15
	v_dot4c_i32_i8_e32 v104, v107, v19
	s_waitcnt lgkmcnt(2)
	v_dot4c_i32_i8_e32 v104, v108, v16
	v_dot4c_i32_i8_e32 v104, v109, v20
	;; [unrolled: 3-line block ×3, first 2 shown]
	v_add_u32_e32 v107, 0x6198, v141
	v_pk_mul_f16 v160, v2, v160
	v_pk_mul_f16 v164, v2, v164
	v_cvt_f32_i32_e32 v108, v104
	v_mov_b32_e32 v104, 0
	s_waitcnt lgkmcnt(0)
	v_dot4c_i32_i8_e32 v104, v168, v14
	v_add_u32_e32 v14, 0x6188, v141
	ds_read2_b32 v[162:163], v14 offset1:1
	v_dot4c_i32_i8_e32 v104, v169, v18
	v_add_u32_e32 v18, 0x6190, v141
	v_add_u32_e32 v14, 0x20a0, v141
	ds_read2_b32 v[168:169], v18 offset1:1
	ds_read2_b32 v[170:171], v107 offset1:1
	ds_read2_b32 v[172:173], v14 offset1:1
	s_waitcnt lgkmcnt(3)
	v_dot4c_i32_i8_e32 v104, v162, v15
	v_dot4c_i32_i8_e32 v104, v163, v19
	s_waitcnt lgkmcnt(2)
	v_dot4c_i32_i8_e32 v104, v168, v16
	v_dot4c_i32_i8_e32 v104, v169, v20
	ds_read2_b32 v[18:19], v145 offset1:1
	ds_read2_b32 v[14:15], v144 offset0:2 offset1:3
	s_waitcnt lgkmcnt(3)
	v_dot4c_i32_i8_e32 v104, v170, v17
	ds_read2_b32 v[16:17], v141 offset0:10 offset1:11
	v_mov_b32_e32 v169, 0
	v_dot4c_i32_i8_e32 v169, v114, v10
	v_dot4c_i32_i8_e32 v104, v171, v21
	;; [unrolled: 1-line block ×3, first 2 shown]
	ds_read2_b32 v[20:21], v141 offset0:12 offset1:13
	ds_read2_b32 v[114:115], v141 offset0:14 offset1:15
	;; [unrolled: 1-line block ×3, first 2 shown]
	s_waitcnt lgkmcnt(5)
	v_pk_mul_f16 v168, v2, v18
	s_waitcnt lgkmcnt(3)
	v_dot4c_i32_i8_e32 v169, v16, v11
	v_add_u32_e32 v2, 0x20a8, v141
	v_dot4c_i32_i8_e32 v169, v17, v7
	ds_read2_b32 v[16:17], v2 offset1:1
	s_waitcnt lgkmcnt(3)
	v_dot4c_i32_i8_e32 v169, v20, v12
	v_dot4c_i32_i8_e32 v169, v21, v8
	v_mov_b32_e32 v171, 0
	v_cvt_f32_i32_e32 v109, v104
	s_waitcnt lgkmcnt(2)
	v_dot4c_i32_i8_e32 v169, v114, v13
	v_dot4c_i32_i8_e32 v171, v172, v10
	v_add_u32_e32 v18, 0x20b0, v141
	v_add_u32_e32 v104, 0x20b8, v141
	v_dot4c_i32_i8_e32 v169, v115, v9
	v_pk_mul_f16 v170, v3, v105
	v_dot4c_i32_i8_e32 v171, v173, v6
	v_add_u32_e32 v2, 0x4120, v141
	ds_read2_b32 v[20:21], v18 offset1:1
	ds_read2_b32 v[104:105], v104 offset1:1
	;; [unrolled: 1-line block ×3, first 2 shown]
	s_waitcnt lgkmcnt(3)
	v_dot4c_i32_i8_e32 v171, v16, v11
	v_dot4c_i32_i8_e32 v171, v17, v7
	v_add_u32_e32 v2, 0x4128, v141
	s_waitcnt lgkmcnt(2)
	v_dot4c_i32_i8_e32 v171, v20, v12
	ds_read2_b32 v[16:17], v2 offset1:1
	v_dot4c_i32_i8_e32 v171, v21, v8
	v_mov_b32_e32 v172, 0
	s_waitcnt lgkmcnt(2)
	v_dot4c_i32_i8_e32 v171, v104, v13
	s_waitcnt lgkmcnt(1)
	v_dot4c_i32_i8_e32 v172, v114, v10
	v_add_u32_e32 v18, 0x4130, v141
	v_add_u32_e32 v104, 0x4138, v141
	v_dot4c_i32_i8_e32 v171, v105, v9
	v_dot4c_i32_i8_e32 v172, v115, v6
	v_add_u32_e32 v2, 0x61a0, v141
	ds_read2_b32 v[20:21], v18 offset1:1
	ds_read2_b32 v[104:105], v104 offset1:1
	;; [unrolled: 1-line block ×3, first 2 shown]
	s_waitcnt lgkmcnt(3)
	v_dot4c_i32_i8_e32 v172, v16, v11
	v_add_u32_e32 v2, 0x61a8, v141
	v_dot4c_i32_i8_e32 v172, v17, v7
	ds_read2_b32 v[16:17], v2 offset1:1
	s_waitcnt lgkmcnt(3)
	v_dot4c_i32_i8_e32 v172, v20, v12
	v_mov_b32_e32 v173, 0
	v_dot4c_i32_i8_e32 v172, v21, v8
	s_waitcnt lgkmcnt(1)
	v_dot4c_i32_i8_e32 v173, v114, v10
	v_dot4c_i32_i8_e32 v172, v104, v13
	;; [unrolled: 1-line block ×3, first 2 shown]
	v_add_u32_e32 v6, 0x61b0, v141
	v_dot4c_i32_i8_e32 v172, v105, v9
	v_add_u32_e32 v10, 0x61b8, v141
	v_add_u32_e32 v2, 0x20c0, v141
	ds_read2_b32 v[20:21], v6 offset1:1
	ds_read2_b32 v[104:105], v10 offset1:1
	;; [unrolled: 1-line block ×3, first 2 shown]
	s_waitcnt lgkmcnt(3)
	v_dot4c_i32_i8_e32 v173, v16, v11
	v_dot4c_i32_i8_e32 v173, v17, v7
	s_waitcnt lgkmcnt(2)
	v_dot4c_i32_i8_e32 v173, v20, v12
	v_dot4c_i32_i8_e32 v173, v21, v8
	s_waitcnt lgkmcnt(1)
	v_dot4c_i32_i8_e32 v173, v104, v13
	ds_read_b128 v[10:13], v139 offset:64
	v_dot4c_i32_i8_e32 v173, v105, v9
	ds_read_b128 v[6:9], v139 offset:80
	v_pk_mul_f16 v161, v3, v161
	v_pk_mul_f16 v165, v3, v165
	;; [unrolled: 1-line block ×3, first 2 shown]
	ds_read2_b32 v[2:3], v141 offset0:18 offset1:19
	v_mov_b32_e32 v176, 0
	s_waitcnt lgkmcnt(2)
	v_dot4c_i32_i8_e32 v176, v162, v10
	s_waitcnt lgkmcnt(1)
	v_dot4c_i32_i8_e32 v176, v163, v6
	ds_read2_b32 v[16:17], v141 offset0:20 offset1:21
	ds_read2_b32 v[18:19], v141 offset0:22 offset1:23
	;; [unrolled: 1-line block ×3, first 2 shown]
	s_waitcnt lgkmcnt(3)
	v_dot4c_i32_i8_e32 v176, v2, v11
	v_add_u32_e32 v2, 0x20c8, v141
	v_dot4c_i32_i8_e32 v176, v3, v7
	ds_read2_b32 v[2:3], v2 offset1:1
	s_waitcnt lgkmcnt(3)
	v_dot4c_i32_i8_e32 v176, v16, v12
	v_dot4c_i32_i8_e32 v176, v17, v8
	v_mov_b32_e32 v163, 0
	s_waitcnt lgkmcnt(2)
	v_dot4c_i32_i8_e32 v176, v18, v13
	v_dot4c_i32_i8_e32 v163, v114, v10
	v_add_u32_e32 v16, 0x20d0, v141
	v_add_u32_e32 v18, 0x20d8, v141
	v_add_u32_e32 v104, 0x4140, v141
	v_dot4c_i32_i8_e32 v176, v19, v9
	v_dot4c_i32_i8_e32 v163, v115, v6
	ds_read2_b32 v[16:17], v16 offset1:1
	ds_read2_b32 v[18:19], v18 offset1:1
	;; [unrolled: 1-line block ×3, first 2 shown]
	s_waitcnt lgkmcnt(3)
	v_dot4c_i32_i8_e32 v163, v2, v11
	v_dot4c_i32_i8_e32 v163, v3, v7
	v_add_u32_e32 v2, 0x4148, v141
	s_waitcnt lgkmcnt(2)
	v_dot4c_i32_i8_e32 v163, v16, v12
	ds_read2_b32 v[2:3], v2 offset1:1
	v_pk_mul_f16 v162, v4, v166
	v_dot4c_i32_i8_e32 v163, v17, v8
	v_mov_b32_e32 v166, 0
	s_waitcnt lgkmcnt(2)
	v_dot4c_i32_i8_e32 v163, v18, v13
	s_waitcnt lgkmcnt(1)
	v_dot4c_i32_i8_e32 v166, v104, v10
	v_add_u32_e32 v16, 0x4150, v141
	v_add_u32_e32 v18, 0x4158, v141
	;; [unrolled: 1-line block ×3, first 2 shown]
	v_dot4c_i32_i8_e32 v163, v19, v9
	v_dot4c_i32_i8_e32 v166, v105, v6
	ds_read2_b32 v[16:17], v16 offset1:1
	ds_read2_b32 v[18:19], v18 offset1:1
	;; [unrolled: 1-line block ×3, first 2 shown]
	s_waitcnt lgkmcnt(3)
	v_dot4c_i32_i8_e32 v166, v2, v11
	v_add_u32_e32 v2, 0x61c8, v141
	v_dot4c_i32_i8_e32 v166, v3, v7
	ds_read2_b32 v[2:3], v2 offset1:1
	v_mov_b32_e32 v177, 0
	s_waitcnt lgkmcnt(3)
	v_dot4c_i32_i8_e32 v166, v16, v12
	s_waitcnt lgkmcnt(1)
	v_dot4c_i32_i8_e32 v177, v104, v10
	v_dot4c_i32_i8_e32 v166, v17, v8
	;; [unrolled: 1-line block ×3, first 2 shown]
	v_add_u32_e32 v6, 0x61d0, v141
	v_dot4c_i32_i8_e32 v166, v18, v13
	v_add_u32_e32 v10, 0x61d8, v141
	v_add_u32_e32 v18, 0x20e0, v141
	ds_read2_b32 v[16:17], v6 offset1:1
	ds_read2_b32 v[104:105], v10 offset1:1
	;; [unrolled: 1-line block ×3, first 2 shown]
	s_waitcnt lgkmcnt(3)
	v_dot4c_i32_i8_e32 v177, v2, v11
	v_dot4c_i32_i8_e32 v177, v3, v7
	s_waitcnt lgkmcnt(2)
	v_dot4c_i32_i8_e32 v177, v16, v12
	v_dot4c_i32_i8_e32 v177, v17, v8
	;; [unrolled: 1-line block ×3, first 2 shown]
	s_waitcnt lgkmcnt(1)
	v_dot4c_i32_i8_e32 v177, v104, v13
	ds_read_b128 v[10:13], v139 offset:96
	ds_read_b128 v[16:19], v139 offset:112
	v_pk_mul_f16 v116, v4, v116
	v_pk_mul_f16 v14, v4, v14
	;; [unrolled: 1-line block ×3, first 2 shown]
	v_mov_b32_e32 v4, 0
	s_waitcnt lgkmcnt(1)
	v_dot4c_i32_i8_e32 v4, v20, v10
	v_add_u32_e32 v2, 0x20e8, v141
	s_waitcnt lgkmcnt(0)
	v_dot4c_i32_i8_e32 v4, v21, v16
	ds_read2_b32 v[2:3], v2 offset1:1
	v_dot4c_i32_i8_e32 v4, v154, v11
	v_dot4c_i32_i8_e32 v4, v155, v17
	v_mov_b32_e32 v155, 0
	v_dot4c_i32_i8_e32 v155, v114, v10
	v_add_u32_e32 v6, 0x20f0, v141
	v_add_u32_e32 v8, 0x20f8, v141
	;; [unrolled: 1-line block ×3, first 2 shown]
	v_dot4c_i32_i8_e32 v177, v105, v9
	v_dot4c_i32_i8_e32 v155, v115, v16
	ds_read2_b32 v[6:7], v6 offset1:1
	ds_read2_b32 v[8:9], v8 offset1:1
	;; [unrolled: 1-line block ×3, first 2 shown]
	s_waitcnt lgkmcnt(3)
	v_dot4c_i32_i8_e32 v155, v2, v11
	v_dot4c_i32_i8_e32 v155, v3, v17
	s_waitcnt lgkmcnt(2)
	v_dot4c_i32_i8_e32 v155, v6, v12
	v_dot4c_i32_i8_e32 v155, v7, v18
	v_cvt_f32_f16_e32 v110, v174
	v_cvt_f32_f16_e32 v111, v160
	s_waitcnt lgkmcnt(1)
	v_dot4c_i32_i8_e32 v155, v8, v13
	v_cvt_f32_f16_sdwa v3, v160 dst_sel:DWORD dst_unused:UNUSED_PAD src0_sel:WORD_1
	v_cvt_f32_f16_sdwa v2, v174 dst_sel:DWORD dst_unused:UNUSED_PAD src0_sel:WORD_1
	v_dot4c_i32_i8_e32 v155, v9, v19
	v_cvt_f32_f16_e32 v7, v161
	v_cvt_f32_f16_e32 v6, v170
	v_cvt_f32_f16_sdwa v9, v161 dst_sel:DWORD dst_unused:UNUSED_PAD src0_sel:WORD_1
	v_cvt_f32_f16_sdwa v8, v170 dst_sel:DWORD dst_unused:UNUSED_PAD src0_sel:WORD_1
	v_cvt_f32_i32_e32 v105, v171
	v_cvt_f32_i32_e32 v104, v169
	v_dot4c_i32_i8_e32 v4, v156, v12
	v_dot4c_i32_i8_e32 v4, v157, v18
	;; [unrolled: 1-line block ×3, first 2 shown]
	v_pk_fma_f32 v[2:3], v[110:111], v[112:113], v[2:3]
	v_dot4c_i32_i8_e32 v4, v159, v19
	v_pk_mul_f16 v154, v5, v167
	v_pk_mul_f16 v114, v5, v117
	v_pk_add_f32 v[2:3], v[98:99], v[2:3]
	v_pk_fma_f32 v[6:7], v[6:7], v[104:105], v[8:9]
	v_cvt_f32_f16_e32 v9, v116
	v_cvt_f32_f16_e32 v8, v162
	v_cvt_f32_f16_sdwa v99, v116 dst_sel:DWORD dst_unused:UNUSED_PAD src0_sel:WORD_1
	v_cvt_f32_f16_sdwa v98, v162 dst_sel:DWORD dst_unused:UNUSED_PAD src0_sel:WORD_1
	v_cvt_f32_i32_e32 v105, v163
	v_cvt_f32_i32_e32 v104, v176
	v_cvt_f32_f16_e32 v111, v114
	v_cvt_f32_f16_e32 v110, v154
	v_cvt_f32_f16_sdwa v113, v114 dst_sel:DWORD dst_unused:UNUSED_PAD src0_sel:WORD_1
	v_cvt_f32_f16_sdwa v112, v154 dst_sel:DWORD dst_unused:UNUSED_PAD src0_sel:WORD_1
	v_cvt_f32_i32_e32 v115, v155
	v_cvt_f32_i32_e32 v114, v4
	v_pk_add_f32 v[2:3], v[2:3], v[6:7]
	v_pk_fma_f32 v[6:7], v[8:9], v[104:105], v[98:99]
	v_pk_add_f32 v[2:3], v[2:3], v[6:7]
	v_pk_fma_f32 v[6:7], v[110:111], v[114:115], v[112:113]
	v_pk_add_f32 v[98:99], v[2:3], v[6:7]
	v_add_u32_e32 v2, 0x4168, v141
	ds_read2_b32 v[2:3], v2 offset1:1
	v_mov_b32_e32 v104, 0
	s_waitcnt lgkmcnt(1)
	v_dot4c_i32_i8_e32 v104, v20, v10
	v_add_u32_e32 v4, 0x4170, v141
	v_add_u32_e32 v8, 0x4178, v141
	v_add_u32_e32 v20, 0x61e0, v141
	v_dot4c_i32_i8_e32 v104, v21, v16
	ds_read2_b32 v[6:7], v4 offset1:1
	ds_read2_b32 v[8:9], v8 offset1:1
	;; [unrolled: 1-line block ×3, first 2 shown]
	s_waitcnt lgkmcnt(3)
	v_dot4c_i32_i8_e32 v104, v2, v11
	v_add_u32_e32 v2, 0x61e8, v141
	v_dot4c_i32_i8_e32 v104, v3, v17
	ds_read2_b32 v[2:3], v2 offset1:1
	s_waitcnt lgkmcnt(3)
	v_dot4c_i32_i8_e32 v104, v6, v12
	v_add_u32_e32 v4, 0x61f0, v141
	v_dot4c_i32_i8_e32 v104, v7, v18
	ds_read2_b32 v[6:7], v4 offset1:1
	v_mov_b32_e32 v110, 0
	s_waitcnt lgkmcnt(3)
	v_dot4c_i32_i8_e32 v104, v8, v13
	s_waitcnt lgkmcnt(2)
	v_dot4c_i32_i8_e32 v110, v20, v10
	v_add_u32_e32 v4, 0x61f8, v141
	v_dot4c_i32_i8_e32 v104, v9, v19
	v_dot4c_i32_i8_e32 v110, v21, v16
	ds_read2_b32 v[8:9], v4 offset1:1
	s_waitcnt lgkmcnt(2)
	v_dot4c_i32_i8_e32 v110, v2, v11
	v_dot4c_i32_i8_e32 v110, v3, v17
	s_waitcnt lgkmcnt(1)
	v_dot4c_i32_i8_e32 v110, v6, v12
	v_dot4c_i32_i8_e32 v110, v7, v18
	;; [unrolled: 3-line block ×3, first 2 shown]
	v_cvt_f32_f16_e32 v7, v175
	v_cvt_f32_f16_e32 v6, v165
	v_cvt_f32_f16_sdwa v9, v175 dst_sel:DWORD dst_unused:UNUSED_PAD src0_sel:WORD_1
	v_cvt_f32_f16_sdwa v8, v165 dst_sel:DWORD dst_unused:UNUSED_PAD src0_sel:WORD_1
	v_cvt_f32_i32_e32 v11, v173
	v_cvt_f32_i32_e32 v10, v172
	v_cvt_f32_f16_e32 v106, v164
	v_cvt_f32_f16_e32 v107, v168
	v_cvt_f32_f16_sdwa v3, v168 dst_sel:DWORD dst_unused:UNUSED_PAD src0_sel:WORD_1
	v_cvt_f32_f16_sdwa v2, v164 dst_sel:DWORD dst_unused:UNUSED_PAD src0_sel:WORD_1
	v_pk_mul_f16 v105, v5, v15
	v_pk_mul_f16 v15, v5, v103
	v_pk_fma_f32 v[4:5], v[6:7], v[10:11], v[8:9]
	v_cvt_f32_f16_e32 v7, v102
	v_cvt_f32_f16_e32 v6, v14
	v_cvt_f32_f16_sdwa v9, v102 dst_sel:DWORD dst_unused:UNUSED_PAD src0_sel:WORD_1
	v_cvt_f32_f16_sdwa v8, v14 dst_sel:DWORD dst_unused:UNUSED_PAD src0_sel:WORD_1
	v_cvt_f32_i32_e32 v11, v177
	v_cvt_f32_i32_e32 v10, v166
	v_cvt_f32_f16_e32 v13, v15
	v_cvt_f32_f16_e32 v12, v105
	v_cvt_f32_f16_sdwa v15, v15 dst_sel:DWORD dst_unused:UNUSED_PAD src0_sel:WORD_1
	v_cvt_f32_f16_sdwa v14, v105 dst_sel:DWORD dst_unused:UNUSED_PAD src0_sel:WORD_1
	v_cvt_f32_i32_e32 v17, v110
	v_cvt_f32_i32_e32 v16, v104
	v_pk_fma_f32 v[2:3], v[106:107], v[108:109], v[2:3]
	v_pk_add_f32 v[2:3], v[100:101], v[2:3]
	v_pk_add_f32 v[2:3], v[2:3], v[4:5]
	v_pk_fma_f32 v[4:5], v[6:7], v[10:11], v[8:9]
	v_pk_add_f32 v[2:3], v[2:3], v[4:5]
	v_pk_fma_f32 v[4:5], v[12:13], v[16:17], v[14:15]
	v_pk_add_f32 v[100:101], v[2:3], v[4:5]
	s_cmp_ge_i32 s21, s15
	s_barrier
	s_cbranch_scc1 .LBB203_5
; %bb.13:                               ;   in Loop: Header=BB203_6 Depth=1
	v_add_u32_e32 v2, s16, v146
	v_cmp_gt_i32_e32 vcc, s9, v2
	s_and_b64 s[22:23], s[2:3], vcc
	s_and_saveexec_b64 s[4:5], s[22:23]
	s_cbranch_execz .LBB203_15
; %bb.14:                               ;   in Loop: Header=BB203_6 Depth=1
	v_add_u32_e32 v2, s16, v148
	v_mad_i64_i32 v[2:3], s[22:23], v2, 36, v[22:23]
	global_load_dword v2, v[2:3], off offset:4
	s_waitcnt vmcnt(0)
	ds_write_b32 v137, v2
.LBB203_15:                             ;   in Loop: Header=BB203_6 Depth=1
	s_or_b64 exec, exec, s[4:5]
	s_and_saveexec_b64 s[4:5], s[0:1]
	s_cbranch_execz .LBB203_4
; %bb.16:                               ;   in Loop: Header=BB203_6 Depth=1
	v_add3_u32 v2, v118, s16, 4
	v_cmp_gt_i32_e32 vcc, s9, v2
	s_and_b64 s[22:23], s[2:3], vcc
	s_and_b64 exec, exec, s[22:23]
	s_cbranch_execz .LBB203_4
; %bb.17:                               ;   in Loop: Header=BB203_6 Depth=1
	global_load_dword v2, v[24:25], off
	s_waitcnt vmcnt(0)
	ds_write_b32 v138, v2
	s_branch .LBB203_4
.LBB203_18:
	v_mov_b32_e32 v1, 0
	v_mov_b32_e32 v2, 0
	;; [unrolled: 1-line block ×3, first 2 shown]
	s_mul_i32 s0, s11, s8
	s_waitcnt vmcnt(0)
	v_cmp_gt_i32_e32 vcc, s0, v97
	s_and_saveexec_b64 s[0:1], vcc
	s_cbranch_execnz .LBB203_21
.LBB203_19:
	s_endpgm
.LBB203_20:
	v_cvt_f16_f32_e32 v5, v98
	v_cvt_f16_f32_e32 v2, v99
	;; [unrolled: 1-line block ×4, first 2 shown]
	s_mul_i32 s0, s11, s8
	v_cmp_gt_i32_e32 vcc, s0, v97
	s_and_saveexec_b64 s[0:1], vcc
	s_cbranch_execz .LBB203_19
.LBB203_21:
	v_and_b32_e32 v0, 0x3ff, v0
	v_add_u32_e32 v4, s18, v0
	v_mul_lo_u32 v0, v97, s10
	v_cmp_gt_u32_e32 vcc, s10, v4
	s_and_saveexec_b64 s[0:1], vcc
	s_cbranch_execz .LBB203_23
; %bb.22:
	v_add_u32_e32 v6, v0, v4
	v_mov_b32_e32 v7, 0
	v_lshlrev_b64 v[6:7], 1, v[6:7]
	v_mov_b32_e32 v8, s13
	v_add_co_u32_e32 v6, vcc, s12, v6
	v_addc_co_u32_e32 v7, vcc, v8, v7, vcc
	global_store_short v[6:7], v5, off
.LBB203_23:
	s_or_b64 exec, exec, s[0:1]
	v_add_u32_e32 v5, 32, v4
	v_cmp_gt_u32_e32 vcc, s10, v5
	s_and_saveexec_b64 s[0:1], vcc
	s_cbranch_execz .LBB203_25
; %bb.24:
	v_add_u32_e32 v6, v0, v5
	v_mov_b32_e32 v7, 0
	v_lshlrev_b64 v[6:7], 1, v[6:7]
	v_mov_b32_e32 v5, s13
	v_add_co_u32_e32 v6, vcc, s12, v6
	v_addc_co_u32_e32 v7, vcc, v5, v7, vcc
	global_store_short v[6:7], v2, off
.LBB203_25:
	s_or_b64 exec, exec, s[0:1]
	v_add_u32_e32 v2, 64, v4
	;; [unrolled: 14-line block ×3, first 2 shown]
	v_cmp_gt_u32_e32 vcc, s10, v1
	s_and_b64 exec, exec, vcc
	s_cbranch_execz .LBB203_19
; %bb.28:
	v_add_u32_e32 v0, v0, v1
	v_mov_b32_e32 v1, 0
	v_lshlrev_b64 v[0:1], 1, v[0:1]
	v_mov_b32_e32 v2, s13
	v_add_co_u32_e32 v0, vcc, s12, v0
	v_addc_co_u32_e32 v1, vcc, v2, v1, vcc
	global_store_short v[0:1], v3, off
	s_endpgm
	.section	.rodata,"a",@progbits
	.p2align	6, 0x0
	.amdhsa_kernel _ZL8moe_q5_1IN3c104HalfELb0EEvPKvS3_PT_PKiS7_S7_iiiiiii
		.amdhsa_group_segment_fixed_size 38656
		.amdhsa_private_segment_fixed_size 0
		.amdhsa_kernarg_size 76
		.amdhsa_user_sgpr_count 6
		.amdhsa_user_sgpr_private_segment_buffer 1
		.amdhsa_user_sgpr_dispatch_ptr 0
		.amdhsa_user_sgpr_queue_ptr 0
		.amdhsa_user_sgpr_kernarg_segment_ptr 1
		.amdhsa_user_sgpr_dispatch_id 0
		.amdhsa_user_sgpr_flat_scratch_init 0
		.amdhsa_user_sgpr_kernarg_preload_length 0
		.amdhsa_user_sgpr_kernarg_preload_offset 0
		.amdhsa_user_sgpr_private_segment_size 0
		.amdhsa_uses_dynamic_stack 0
		.amdhsa_system_sgpr_private_segment_wavefront_offset 0
		.amdhsa_system_sgpr_workgroup_id_x 1
		.amdhsa_system_sgpr_workgroup_id_y 1
		.amdhsa_system_sgpr_workgroup_id_z 0
		.amdhsa_system_sgpr_workgroup_info 0
		.amdhsa_system_vgpr_workitem_id 1
		.amdhsa_next_free_vgpr 178
		.amdhsa_next_free_sgpr 24
		.amdhsa_accum_offset 180
		.amdhsa_reserve_vcc 1
		.amdhsa_reserve_flat_scratch 0
		.amdhsa_float_round_mode_32 0
		.amdhsa_float_round_mode_16_64 0
		.amdhsa_float_denorm_mode_32 3
		.amdhsa_float_denorm_mode_16_64 3
		.amdhsa_dx10_clamp 1
		.amdhsa_ieee_mode 1
		.amdhsa_fp16_overflow 0
		.amdhsa_tg_split 0
		.amdhsa_exception_fp_ieee_invalid_op 0
		.amdhsa_exception_fp_denorm_src 0
		.amdhsa_exception_fp_ieee_div_zero 0
		.amdhsa_exception_fp_ieee_overflow 0
		.amdhsa_exception_fp_ieee_underflow 0
		.amdhsa_exception_fp_ieee_inexact 0
		.amdhsa_exception_int_div_zero 0
	.end_amdhsa_kernel
	.section	.text._ZL8moe_q5_1IN3c104HalfELb0EEvPKvS3_PT_PKiS7_S7_iiiiiii,"axG",@progbits,_ZL8moe_q5_1IN3c104HalfELb0EEvPKvS3_PT_PKiS7_S7_iiiiiii,comdat
.Lfunc_end203:
	.size	_ZL8moe_q5_1IN3c104HalfELb0EEvPKvS3_PT_PKiS7_S7_iiiiiii, .Lfunc_end203-_ZL8moe_q5_1IN3c104HalfELb0EEvPKvS3_PT_PKiS7_S7_iiiiiii
                                        ; -- End function
	.section	.AMDGPU.csdata,"",@progbits
; Kernel info:
; codeLenInByte = 10776
; NumSgprs: 28
; NumVgprs: 178
; NumAgprs: 0
; TotalNumVgprs: 178
; ScratchSize: 0
; MemoryBound: 0
; FloatMode: 240
; IeeeMode: 1
; LDSByteSize: 38656 bytes/workgroup (compile time only)
; SGPRBlocks: 3
; VGPRBlocks: 22
; NumSGPRsForWavesPerEU: 28
; NumVGPRsForWavesPerEU: 178
; AccumOffset: 180
; Occupancy: 1
; WaveLimiterHint : 1
; COMPUTE_PGM_RSRC2:SCRATCH_EN: 0
; COMPUTE_PGM_RSRC2:USER_SGPR: 6
; COMPUTE_PGM_RSRC2:TRAP_HANDLER: 0
; COMPUTE_PGM_RSRC2:TGID_X_EN: 1
; COMPUTE_PGM_RSRC2:TGID_Y_EN: 1
; COMPUTE_PGM_RSRC2:TGID_Z_EN: 0
; COMPUTE_PGM_RSRC2:TIDIG_COMP_CNT: 1
; COMPUTE_PGM_RSRC3_GFX90A:ACCUM_OFFSET: 44
; COMPUTE_PGM_RSRC3_GFX90A:TG_SPLIT: 0
	.section	.text._ZL8moe_q5_1IN3c104HalfELb1EEvPKvS3_PT_PKiS7_S7_iiiiiii,"axG",@progbits,_ZL8moe_q5_1IN3c104HalfELb1EEvPKvS3_PT_PKiS7_S7_iiiiiii,comdat
	.globl	_ZL8moe_q5_1IN3c104HalfELb1EEvPKvS3_PT_PKiS7_S7_iiiiiii ; -- Begin function _ZL8moe_q5_1IN3c104HalfELb1EEvPKvS3_PT_PKiS7_S7_iiiiiii
	.p2align	8
	.type	_ZL8moe_q5_1IN3c104HalfELb1EEvPKvS3_PT_PKiS7_S7_iiiiiii,@function
_ZL8moe_q5_1IN3c104HalfELb1EEvPKvS3_PT_PKiS7_S7_iiiiiii: ; @_ZL8moe_q5_1IN3c104HalfELb1EEvPKvS3_PT_PKiS7_S7_iiiiiii
; %bb.0:
	s_load_dwordx4 s[0:3], s[4:5], 0x18
	s_mov_b32 s8, s7
	s_mov_b32 s9, 0
	s_lshl_b64 s[10:11], s[8:9], 2
	s_waitcnt lgkmcnt(0)
	s_add_u32 s2, s2, s10
	s_addc_u32 s3, s3, s11
	s_load_dword s2, s[2:3], 0x0
	s_waitcnt lgkmcnt(0)
	s_cmpk_gt_u32 s2, 0xff
	s_cbranch_scc1 .LBB204_19
; %bb.1:
	s_load_dwordx2 s[10:11], s[4:5], 0x28
	s_lshl_b32 s3, s8, 3
	s_waitcnt lgkmcnt(0)
	s_load_dword s7, s[10:11], 0x0
	s_waitcnt lgkmcnt(0)
	s_cmp_gt_u32 s3, s7
	s_cbranch_scc1 .LBB204_19
; %bb.2:
	v_bfe_u32 v1, v0, 10, 10
	v_add_u32_e32 v2, s3, v1
	v_mov_b32_e32 v3, 0
	v_lshlrev_b64 v[4:5], 2, v[2:3]
	v_mov_b32_e32 v2, s1
	v_add_co_u32_e32 v4, vcc, s0, v4
	v_addc_co_u32_e32 v5, vcc, v2, v5, vcc
	global_load_dword v97, v[4:5], off
	s_load_dwordx8 s[8:15], s[4:5], 0x30
	s_load_dwordx2 s[16:17], s[4:5], 0x10
	s_waitcnt lgkmcnt(0)
	s_lshl_b32 s15, s6, 7
	s_cmp_lt_i32 s9, 32
	s_cbranch_scc1 .LBB204_18
; %bb.3:
	s_ashr_i32 s0, s9, 31
	s_lshr_b32 s0, s0, 27
	s_add_i32 s0, s9, s0
	s_ashr_i32 s20, s0, 5
	s_ashr_i32 s0, s12, 31
	s_lshr_b32 s0, s0, 27
	s_add_i32 s0, s12, s0
	s_ashr_i32 s12, s0, 5
	s_not_b32 s0, s15
	s_mul_i32 s8, s2, s8
	s_add_i32 s2, s0, s10
	v_and_b32_e32 v99, 0x3ff, v0
	v_lshlrev_b32_e32 v3, 2, v99
	v_min_i32_e32 v5, s2, v1
	v_lshlrev_b32_e32 v2, 3, v99
	s_movk_i32 s3, 0x104
	v_mul_lo_u32 v6, v5, s20
	v_mad_u64_u32 v[22:23], s[0:1], v5, s3, v[2:3]
	v_add_u32_e32 v5, 8, v1
	v_min_i32_e32 v5, s2, v5
	v_mul_lo_u32 v7, v5, s20
	v_mad_u64_u32 v[24:25], s[0:1], v5, s3, v[2:3]
	v_add_u32_e32 v5, 16, v1
	v_min_i32_e32 v5, s2, v5
	;; [unrolled: 4-line block ×15, first 2 shown]
	v_mad_u64_u32 v[52:53], s[0:1], v5, s3, v[2:3]
	v_lshlrev_b32_e32 v2, 2, v1
	v_lshrrev_b32_e32 v103, 3, v99
	v_mul_lo_u32 v21, v5, s20
	v_add_u32_e32 v5, v103, v2
	v_min_i32_e32 v23, s2, v5
	v_ashrrev_i32_e32 v25, 31, v23
	v_lshrrev_b32_e32 v25, 30, v25
	v_and_b32_e32 v95, 7, v99
	v_mul_lo_u32 v89, v23, s20
	v_add_u32_e32 v25, v23, v25
	v_lshlrev_b32_e32 v133, 5, v23
	v_add_u32_e32 v23, 32, v5
	v_and_b32_e32 v25, -4, v25
	v_lshlrev_b32_e32 v27, 2, v95
	s_mov_b32 s3, 0x8200
	v_min_i32_e32 v23, s2, v23
	v_add3_u32 v132, v25, v27, s3
	v_ashrrev_i32_e32 v25, 31, v23
	v_lshrrev_b32_e32 v25, 30, v25
	v_mul_lo_u32 v91, v23, s20
	v_add_u32_e32 v25, v23, v25
	v_lshlrev_b32_e32 v135, 5, v23
	v_add_u32_e32 v23, 64, v5
	s_load_dwordx4 s[4:7], s[4:5], 0x0
	v_and_b32_e32 v25, -4, v25
	v_min_i32_e32 v23, s2, v23
	v_add3_u32 v134, v25, v27, s3
	v_ashrrev_i32_e32 v25, 31, v23
	v_add_u32_e32 v5, 0x60, v5
	v_lshrrev_b32_e32 v25, 30, v25
	v_min_i32_e32 v5, s2, v5
	v_mul_lo_u32 v93, v23, s20
	v_add_u32_e32 v25, v23, v25
	v_lshlrev_b32_e32 v137, 5, v23
	v_ashrrev_i32_e32 v23, 31, v5
	v_and_b32_e32 v101, 12, v3
	v_lshrrev_b32_e32 v23, 30, v23
	v_and_b32_e32 v3, 28, v3
	v_mul_lo_u32 v128, v5, s20
	v_add_u32_e32 v23, v5, v23
	v_lshlrev_b32_e32 v139, 5, v5
	v_and_b32_e32 v5, 31, v99
	s_waitcnt lgkmcnt(0)
	v_add_co_u32_e32 v54, vcc, s6, v3
	v_lshlrev_b32_e32 v3, 7, v1
	v_lshl_or_b32 v5, v5, 2, v3
	v_add_u32_e32 v105, 0x9280, v5
	v_or_b32_e32 v2, v2, v99
	v_mov_b32_e32 v5, 0x9680
	v_lshl_add_u32 v107, v2, 2, v5
	v_lshl_add_u32 v111, v1, 4, v5
	v_and_b32_e32 v1, 0xfc, v99
	v_lshlrev_b32_e32 v2, 5, v99
	v_add3_u32 v115, v2, v1, s3
	v_add_u32_e32 v1, 32, v99
	v_add_u32_e32 v109, 0x9280, v3
	v_and_b32_e32 v2, 0x1fc, v1
	v_lshlrev_b32_e32 v3, 5, v1
	v_add3_u32 v117, v3, v2, s3
	v_add_u32_e32 v2, 64, v99
	v_and_b32_e32 v3, 0x1fc, v2
	v_lshlrev_b32_e32 v2, 5, v2
	s_abs_i32 s2, s14
	v_add3_u32 v119, v2, v3, s3
	v_cvt_f32_u32_e32 v3, s2
	v_add_u32_e32 v2, 0x60, v99
	v_and_b32_e32 v5, 0x1fc, v2
	v_lshlrev_b32_e32 v2, 5, v2
	v_add3_u32 v121, v2, v5, s3
	v_rcp_iflag_f32_e32 v2, v3
	v_and_b32_e32 v25, -4, v25
	v_and_b32_e32 v23, -4, v23
	v_add3_u32 v136, v25, v27, s3
	v_mul_f32_e32 v2, 0x4f7ffffe, v2
	v_cvt_u32_f32_e32 v2, v2
	v_add3_u32 v138, v23, v27, s3
	s_sub_i32 s3, 0, s2
	s_waitcnt vmcnt(0)
	v_sub_u32_e32 v3, 0, v97
	v_mul_lo_u32 v5, s3, v2
	v_mul_hi_u32 v5, v2, v5
	v_max_i32_e32 v3, v97, v3
	v_add_u32_e32 v2, v2, v5
	v_mul_hi_u32 v2, v3, v2
	v_mov_b32_e32 v23, s7
	v_mul_lo_u32 v5, v2, s2
	v_addc_co_u32_e32 v55, vcc, 0, v23, vcc
	v_sub_u32_e32 v3, v3, v5
	v_add_u32_e32 v5, 1, v2
	v_cmp_le_u32_e32 vcc, s2, v3
	v_cndmask_b32_e32 v2, v2, v5, vcc
	v_subrev_u32_e32 v5, s2, v3
	v_cndmask_b32_e32 v3, v3, v5, vcc
	v_lshrrev_b32_e32 v123, 3, v1
	v_xor_b32_e32 v1, s14, v97
	v_add_u32_e32 v5, 1, v2
	v_cmp_le_u32_e32 vcc, s2, v3
	v_ashrrev_i32_e32 v1, 31, v1
	v_cndmask_b32_e32 v2, v2, v5, vcc
	v_xor_b32_e32 v2, v2, v1
	v_sub_u32_e32 v1, v2, v1
	v_cmp_gt_i32_e64 s[2:3], s11, v1
	v_mul_lo_u32 v1, v1, s12
	v_ashrrev_i32_e32 v2, 31, v1
	v_add_co_u32_e32 v3, vcc, v1, v99
	s_mul_i32 s19, s20, s15
	v_addc_co_u32_e32 v5, vcc, 0, v2, vcc
	v_mad_u64_u32 v[2:3], s[22:23], v3, 36, s[6:7]
	s_movk_i32 s10, 0x90
	v_mad_i32_i24 v3, v5, 36, v3
	v_add_co_u32_e32 v56, vcc, s10, v2
	s_mul_hi_i32 s10, s19, 24
	s_mul_i32 s22, s19, 24
	v_lshrrev_b32_e32 v4, 2, v99
	v_addc_co_u32_e32 v57, vcc, 0, v3, vcc
	v_mov_b32_e32 v2, s22
	v_mov_b32_e32 v3, s10
	v_mad_u64_u32 v[2:3], s[22:23], v4, 24, v[2:3]
	v_mad_i64_i32 v[4:5], s[22:23], v6, 24, v[2:3]
	v_add_u32_e32 v125, v99, v1
	v_add_u32_e32 v127, v123, v1
	;; [unrolled: 1-line block ×3, first 2 shown]
	v_add_co_u32_e32 v1, vcc, v4, v101
	v_addc_co_u32_e32 v6, vcc, 0, v5, vcc
	v_mov_b32_e32 v85, s5
	v_add_co_u32_e32 v1, vcc, s4, v1
	v_addc_co_u32_e32 v6, vcc, v6, v85, vcc
	v_add_co_u32_e32 v58, vcc, 8, v1
	v_addc_co_u32_e32 v1, vcc, 0, v6, vcc
	v_mov_b32_e32 v6, s5
	v_add_co_u32_e32 v60, vcc, s4, v4
	v_addc_co_u32_e32 v23, vcc, v6, v5, vcc
	v_mad_i64_i32 v[4:5], s[22:23], v7, 24, v[2:3]
	v_add_co_u32_e32 v4, vcc, s4, v4
	v_addc_co_u32_e32 v5, vcc, v5, v85, vcc
	v_add_co_u32_e32 v6, vcc, v4, v101
	v_addc_co_u32_e32 v7, vcc, 0, v5, vcc
	v_add_co_u32_e32 v62, vcc, 8, v6
	v_addc_co_u32_e32 v25, vcc, 0, v7, vcc
	v_add_co_u32_e32 v64, vcc, 4, v4
	v_addc_co_u32_e32 v27, vcc, 0, v5, vcc
	v_mad_i64_i32 v[4:5], s[22:23], v8, 24, v[2:3]
	v_add_co_u32_e32 v4, vcc, s4, v4
	v_addc_co_u32_e32 v5, vcc, v5, v85, vcc
	v_add_co_u32_e32 v6, vcc, v4, v101
	v_addc_co_u32_e32 v7, vcc, 0, v5, vcc
	v_add_co_u32_e32 v66, vcc, 8, v6
	v_addc_co_u32_e32 v29, vcc, 0, v7, vcc
	;; [unrolled: 9-line block ×15, first 2 shown]
	v_add_co_u32_e32 v120, vcc, 4, v2
	v_addc_co_u32_e32 v87, vcc, 0, v3, vcc
	v_mad_i64_i32 v[2:3], s[22:23], v89, 24, 0
	v_mad_i64_i32 v[2:3], s[22:23], s19, 24, v[2:3]
	v_mad_u64_u32 v[2:3], s[22:23], v95, 24, v[2:3]
	v_mov_b32_e32 v4, s5
	v_add_co_u32_e32 v122, vcc, s4, v2
	v_addc_co_u32_e32 v89, vcc, v4, v3, vcc
	v_mad_i64_i32 v[2:3], s[22:23], v91, 24, 0
	v_mad_i64_i32 v[2:3], s[22:23], s19, 24, v[2:3]
	v_mad_u64_u32 v[2:3], s[22:23], v95, 24, v[2:3]
	v_add_co_u32_e32 v124, vcc, s4, v2
	v_addc_co_u32_e32 v91, vcc, v4, v3, vcc
	v_mad_i64_i32 v[2:3], s[22:23], v93, 24, 0
	v_mad_i64_i32 v[2:3], s[22:23], s19, 24, v[2:3]
	v_mad_u64_u32 v[2:3], s[22:23], v95, 24, v[2:3]
	v_add_co_u32_e32 v126, vcc, s4, v2
	v_addc_co_u32_e32 v93, vcc, v4, v3, vcc
	v_mad_i64_i32 v[2:3], s[22:23], v128, 24, 0
	v_mad_i64_i32 v[2:3], s[22:23], s19, 24, v[2:3]
	s_mov_b32 s18, 0
	v_mad_u64_u32 v[2:3], s[22:23], v95, 24, v[2:3]
	v_add_co_u32_e32 v128, vcc, s4, v2
	s_mov_b32 s19, s18
	s_ashr_i32 s21, s8, 31
	v_cmp_gt_u32_e64 s[0:1], 4, v99
	v_mul_u32_u24_e32 v113, 0x104, v99
	v_addc_co_u32_e32 v95, vcc, v4, v3, vcc
	s_movk_i32 s10, 0x80
	v_pk_mov_b32 v[130:131], s[18:19], s[18:19] op_sel:[0,1]
	v_add_u32_e32 v150, v132, v133
	v_add_u32_e32 v151, v134, v135
	;; [unrolled: 1-line block ×4, first 2 shown]
	v_pk_mov_b32 v[132:133], s[18:19], s[18:19] op_sel:[0,1]
	s_branch .LBB204_6
.LBB204_4:                              ;   in Loop: Header=BB204_6 Depth=1
	s_or_b64 exec, exec, s[4:5]
	s_waitcnt lgkmcnt(0)
	s_barrier
	ds_read_b128 v[14:17], v109
	ds_read_b128 v[18:21], v109 offset:16
	ds_read_b128 v[2:5], v111
	ds_read2_b32 v[134:135], v113 offset0:32 offset1:33
	ds_read_b128 v[10:13], v109 offset:32
	ds_read_b128 v[6:9], v109 offset:48
	ds_read2_b32 v[136:137], v115 offset0:4 offset1:5
	ds_read2_b32 v[138:139], v113 offset0:34 offset1:35
	v_mov_b32_e32 v142, 0
	s_waitcnt lgkmcnt(4)
	v_dot4c_i32_i8_e32 v142, v134, v14
	v_dot4c_i32_i8_e32 v142, v135, v18
	ds_read2_b32 v[134:135], v113 offset0:36 offset1:37
	ds_read2_b32 v[144:145], v113 offset0:38 offset1:39
	;; [unrolled: 1-line block ×3, first 2 shown]
	s_waitcnt lgkmcnt(3)
	v_dot4c_i32_i8_e32 v142, v138, v15
	v_dot4c_i32_i8_e32 v142, v139, v19
	s_waitcnt lgkmcnt(2)
	v_dot4c_i32_i8_e32 v142, v134, v16
	v_dot4c_i32_i8_e32 v142, v135, v20
	;; [unrolled: 3-line block ×3, first 2 shown]
	v_add_u32_e32 v134, 0x2100, v113
	ds_read2_b32 v[144:145], v113 offset0:58 offset1:59
	ds_read2_b32 v[146:147], v113 offset0:60 offset1:61
	;; [unrolled: 1-line block ×3, first 2 shown]
	ds_read2_b32 v[138:139], v134 offset1:1
	v_mov_b32_e32 v168, 0
	v_pk_mul_f16 v143, v2, v136
	v_add_u32_e32 v136, 0x2108, v113
	ds_read2_b32 v[154:155], v117 offset0:4 offset1:5
	ds_read2_b32 v[134:135], v121 offset0:6 offset1:7
	s_waitcnt lgkmcnt(2)
	v_dot4c_i32_i8_e32 v168, v138, v14
	v_dot4c_i32_i8_e32 v168, v139, v18
	ds_read2_b32 v[138:139], v136 offset1:1
	v_add_u32_e32 v156, 0x2110, v113
	v_add_u32_e32 v158, 0x2118, v113
	;; [unrolled: 1-line block ×3, first 2 shown]
	ds_read2_b32 v[156:157], v156 offset1:1
	ds_read2_b32 v[158:159], v158 offset1:1
	;; [unrolled: 1-line block ×3, first 2 shown]
	s_waitcnt lgkmcnt(3)
	v_dot4c_i32_i8_e32 v168, v138, v15
	v_dot4c_i32_i8_e32 v168, v139, v19
	s_waitcnt lgkmcnt(2)
	v_dot4c_i32_i8_e32 v168, v156, v16
	v_dot4c_i32_i8_e32 v168, v157, v20
	v_mov_b32_e32 v169, 0
	s_waitcnt lgkmcnt(1)
	v_dot4c_i32_i8_e32 v168, v158, v17
	s_waitcnt lgkmcnt(0)
	v_dot4c_i32_i8_e32 v169, v160, v14
	v_add_u32_e32 v136, 0x4188, v113
	v_add_u32_e32 v162, 0x4190, v113
	;; [unrolled: 1-line block ×3, first 2 shown]
	v_dot4c_i32_i8_e32 v168, v159, v21
	ds_read2_b32 v[156:157], v119 offset0:4 offset1:5
	ds_read2_b32 v[138:139], v117 offset0:6 offset1:7
	;; [unrolled: 1-line block ×3, first 2 shown]
	v_dot4c_i32_i8_e32 v169, v161, v18
	ds_read2_b32 v[160:161], v136 offset1:1
	v_add_u32_e32 v136, 0x6200, v113
	ds_read2_b32 v[162:163], v162 offset1:1
	ds_read2_b32 v[164:165], v164 offset1:1
	;; [unrolled: 1-line block ×3, first 2 shown]
	v_mov_b32_e32 v170, 0
	v_add_u32_e32 v136, 0x6218, v113
	s_waitcnt lgkmcnt(3)
	v_dot4c_i32_i8_e32 v169, v160, v15
	v_dot4c_i32_i8_e32 v169, v161, v19
	s_waitcnt lgkmcnt(0)
	v_dot4c_i32_i8_e32 v170, v166, v14
	v_add_u32_e32 v14, 0x6208, v113
	ds_read2_b32 v[160:161], v14 offset1:1
	v_dot4c_i32_i8_e32 v169, v162, v16
	v_dot4c_i32_i8_e32 v169, v163, v20
	;; [unrolled: 1-line block ×4, first 2 shown]
	v_add_u32_e32 v18, 0x6210, v113
	v_dot4c_i32_i8_e32 v169, v165, v21
	v_add_u32_e32 v14, 0x2120, v113
	ds_read2_b32 v[162:163], v18 offset1:1
	ds_read2_b32 v[164:165], v136 offset1:1
	;; [unrolled: 1-line block ×3, first 2 shown]
	s_waitcnt lgkmcnt(3)
	v_dot4c_i32_i8_e32 v170, v160, v15
	v_dot4c_i32_i8_e32 v170, v161, v19
	s_waitcnt lgkmcnt(2)
	v_dot4c_i32_i8_e32 v170, v162, v16
	v_dot4c_i32_i8_e32 v170, v163, v20
	ds_read2_b32 v[18:19], v121 offset0:4 offset1:5
	ds_read2_b32 v[14:15], v119 offset0:6 offset1:7
	s_waitcnt lgkmcnt(3)
	v_dot4c_i32_i8_e32 v170, v164, v17
	ds_read2_b32 v[16:17], v113 offset0:42 offset1:43
	v_mov_b32_e32 v163, 0
	v_dot4c_i32_i8_e32 v163, v140, v10
	v_dot4c_i32_i8_e32 v170, v165, v21
	;; [unrolled: 1-line block ×3, first 2 shown]
	ds_read2_b32 v[20:21], v113 offset0:44 offset1:45
	ds_read2_b32 v[140:141], v113 offset0:46 offset1:47
	;; [unrolled: 1-line block ×3, first 2 shown]
	v_pk_mul_f16 v154, v2, v154
	v_pk_mul_f16 v156, v2, v156
	s_waitcnt lgkmcnt(5)
	v_pk_mul_f16 v162, v2, v18
	s_waitcnt lgkmcnt(3)
	v_dot4c_i32_i8_e32 v163, v16, v11
	v_add_u32_e32 v2, 0x2128, v113
	v_dot4c_i32_i8_e32 v163, v17, v7
	ds_read2_b32 v[16:17], v2 offset1:1
	s_waitcnt lgkmcnt(3)
	v_dot4c_i32_i8_e32 v163, v20, v12
	v_dot4c_i32_i8_e32 v163, v21, v8
	v_mov_b32_e32 v165, 0
	s_waitcnt lgkmcnt(2)
	v_dot4c_i32_i8_e32 v163, v140, v13
	v_dot4c_i32_i8_e32 v165, v166, v10
	v_add_u32_e32 v18, 0x2130, v113
	v_add_u32_e32 v136, 0x2138, v113
	v_dot4c_i32_i8_e32 v163, v141, v9
	v_pk_mul_f16 v164, v3, v137
	v_dot4c_i32_i8_e32 v165, v167, v6
	v_add_u32_e32 v2, 0x41a0, v113
	ds_read2_b32 v[20:21], v18 offset1:1
	ds_read2_b32 v[136:137], v136 offset1:1
	;; [unrolled: 1-line block ×3, first 2 shown]
	s_waitcnt lgkmcnt(3)
	v_dot4c_i32_i8_e32 v165, v16, v11
	v_dot4c_i32_i8_e32 v165, v17, v7
	v_add_u32_e32 v2, 0x41a8, v113
	s_waitcnt lgkmcnt(2)
	v_dot4c_i32_i8_e32 v165, v20, v12
	ds_read2_b32 v[16:17], v2 offset1:1
	v_dot4c_i32_i8_e32 v165, v21, v8
	v_mov_b32_e32 v166, 0
	s_waitcnt lgkmcnt(2)
	v_dot4c_i32_i8_e32 v165, v136, v13
	s_waitcnt lgkmcnt(1)
	v_dot4c_i32_i8_e32 v166, v140, v10
	v_add_u32_e32 v18, 0x41b0, v113
	v_add_u32_e32 v136, 0x41b8, v113
	v_dot4c_i32_i8_e32 v165, v137, v9
	v_dot4c_i32_i8_e32 v166, v141, v6
	v_add_u32_e32 v2, 0x6220, v113
	ds_read2_b32 v[20:21], v18 offset1:1
	ds_read2_b32 v[136:137], v136 offset1:1
	;; [unrolled: 1-line block ×3, first 2 shown]
	s_waitcnt lgkmcnt(3)
	v_dot4c_i32_i8_e32 v166, v16, v11
	v_add_u32_e32 v2, 0x6228, v113
	v_dot4c_i32_i8_e32 v166, v17, v7
	ds_read2_b32 v[16:17], v2 offset1:1
	s_waitcnt lgkmcnt(3)
	v_dot4c_i32_i8_e32 v166, v20, v12
	v_mov_b32_e32 v167, 0
	v_dot4c_i32_i8_e32 v166, v21, v8
	s_waitcnt lgkmcnt(1)
	v_dot4c_i32_i8_e32 v167, v140, v10
	v_dot4c_i32_i8_e32 v166, v136, v13
	;; [unrolled: 1-line block ×3, first 2 shown]
	v_add_u32_e32 v6, 0x6230, v113
	v_dot4c_i32_i8_e32 v166, v137, v9
	v_add_u32_e32 v10, 0x6238, v113
	v_add_u32_e32 v2, 0x2140, v113
	ds_read2_b32 v[20:21], v6 offset1:1
	ds_read2_b32 v[136:137], v10 offset1:1
	;; [unrolled: 1-line block ×3, first 2 shown]
	s_waitcnt lgkmcnt(3)
	v_dot4c_i32_i8_e32 v167, v16, v11
	v_dot4c_i32_i8_e32 v167, v17, v7
	s_waitcnt lgkmcnt(2)
	v_dot4c_i32_i8_e32 v167, v20, v12
	v_dot4c_i32_i8_e32 v167, v21, v8
	s_waitcnt lgkmcnt(1)
	v_dot4c_i32_i8_e32 v167, v136, v13
	ds_read_b128 v[10:13], v109 offset:64
	v_dot4c_i32_i8_e32 v167, v137, v9
	ds_read_b128 v[6:9], v109 offset:80
	v_pk_mul_f16 v155, v3, v155
	v_pk_mul_f16 v157, v3, v157
	v_pk_mul_f16 v171, v3, v19
	ds_read2_b32 v[2:3], v113 offset0:50 offset1:51
	v_mov_b32_e32 v172, 0
	s_waitcnt lgkmcnt(2)
	v_dot4c_i32_i8_e32 v172, v160, v10
	s_waitcnt lgkmcnt(1)
	v_dot4c_i32_i8_e32 v172, v161, v6
	ds_read2_b32 v[16:17], v113 offset0:52 offset1:53
	ds_read2_b32 v[18:19], v113 offset0:54 offset1:55
	;; [unrolled: 1-line block ×3, first 2 shown]
	s_waitcnt lgkmcnt(3)
	v_dot4c_i32_i8_e32 v172, v2, v11
	v_add_u32_e32 v2, 0x2148, v113
	v_dot4c_i32_i8_e32 v172, v3, v7
	ds_read2_b32 v[2:3], v2 offset1:1
	s_waitcnt lgkmcnt(3)
	v_dot4c_i32_i8_e32 v172, v16, v12
	v_dot4c_i32_i8_e32 v172, v17, v8
	v_mov_b32_e32 v160, 0
	s_waitcnt lgkmcnt(2)
	v_dot4c_i32_i8_e32 v172, v18, v13
	v_dot4c_i32_i8_e32 v160, v140, v10
	v_add_u32_e32 v16, 0x2150, v113
	v_add_u32_e32 v18, 0x2158, v113
	;; [unrolled: 1-line block ×3, first 2 shown]
	v_dot4c_i32_i8_e32 v172, v19, v9
	v_dot4c_i32_i8_e32 v160, v141, v6
	ds_read2_b32 v[16:17], v16 offset1:1
	ds_read2_b32 v[18:19], v18 offset1:1
	;; [unrolled: 1-line block ×3, first 2 shown]
	s_waitcnt lgkmcnt(3)
	v_dot4c_i32_i8_e32 v160, v2, v11
	v_dot4c_i32_i8_e32 v160, v3, v7
	v_add_u32_e32 v2, 0x41c8, v113
	s_waitcnt lgkmcnt(2)
	v_dot4c_i32_i8_e32 v160, v16, v12
	ds_read2_b32 v[2:3], v2 offset1:1
	v_dot4c_i32_i8_e32 v160, v17, v8
	v_mov_b32_e32 v161, 0
	s_waitcnt lgkmcnt(2)
	v_dot4c_i32_i8_e32 v160, v18, v13
	s_waitcnt lgkmcnt(1)
	v_dot4c_i32_i8_e32 v161, v136, v10
	v_add_u32_e32 v16, 0x41d0, v113
	v_add_u32_e32 v18, 0x41d8, v113
	;; [unrolled: 1-line block ×3, first 2 shown]
	v_dot4c_i32_i8_e32 v160, v19, v9
	v_dot4c_i32_i8_e32 v161, v137, v6
	ds_read2_b32 v[16:17], v16 offset1:1
	ds_read2_b32 v[18:19], v18 offset1:1
	;; [unrolled: 1-line block ×3, first 2 shown]
	s_waitcnt lgkmcnt(3)
	v_dot4c_i32_i8_e32 v161, v2, v11
	v_add_u32_e32 v2, 0x6248, v113
	v_dot4c_i32_i8_e32 v161, v3, v7
	ds_read2_b32 v[2:3], v2 offset1:1
	v_mov_b32_e32 v174, 0
	s_waitcnt lgkmcnt(1)
	v_dot4c_i32_i8_e32 v174, v136, v10
	v_dot4c_i32_i8_e32 v161, v16, v12
	;; [unrolled: 1-line block ×3, first 2 shown]
	v_add_u32_e32 v6, 0x6250, v113
	v_dot4c_i32_i8_e32 v161, v17, v8
	v_pk_mul_f16 v173, v4, v14
	v_add_u32_e32 v10, 0x6258, v113
	v_add_u32_e32 v14, 0x2160, v113
	ds_read2_b32 v[16:17], v6 offset1:1
	ds_read2_b32 v[136:137], v10 offset1:1
	;; [unrolled: 1-line block ×3, first 2 shown]
	s_waitcnt lgkmcnt(3)
	v_dot4c_i32_i8_e32 v174, v2, v11
	v_dot4c_i32_i8_e32 v174, v3, v7
	s_waitcnt lgkmcnt(2)
	v_dot4c_i32_i8_e32 v174, v16, v12
	v_dot4c_i32_i8_e32 v161, v18, v13
	;; [unrolled: 1-line block ×4, first 2 shown]
	s_waitcnt lgkmcnt(1)
	v_dot4c_i32_i8_e32 v174, v136, v13
	ds_read_b128 v[10:13], v109 offset:96
	ds_read_b128 v[16:19], v109 offset:112
	v_pk_mul_f16 v158, v4, v158
	v_pk_mul_f16 v138, v4, v138
	v_pk_mul_f16 v134, v4, v134
	v_mov_b32_e32 v4, 0
	v_add_u32_e32 v2, 0x2168, v113
	s_waitcnt lgkmcnt(1)
	v_dot4c_i32_i8_e32 v4, v20, v10
	ds_read2_b32 v[2:3], v2 offset1:1
	s_waitcnt lgkmcnt(1)
	v_dot4c_i32_i8_e32 v4, v21, v16
	v_dot4c_i32_i8_e32 v4, v144, v11
	v_mov_b32_e32 v144, 0
	v_dot4c_i32_i8_e32 v144, v140, v10
	v_add_u32_e32 v6, 0x2170, v113
	v_add_u32_e32 v8, 0x2178, v113
	;; [unrolled: 1-line block ×3, first 2 shown]
	v_dot4c_i32_i8_e32 v174, v137, v9
	v_dot4c_i32_i8_e32 v144, v141, v16
	ds_read2_b32 v[6:7], v6 offset1:1
	ds_read2_b32 v[8:9], v8 offset1:1
	;; [unrolled: 1-line block ×3, first 2 shown]
	s_waitcnt lgkmcnt(3)
	v_dot4c_i32_i8_e32 v144, v2, v11
	v_dot4c_i32_i8_e32 v144, v3, v17
	s_waitcnt lgkmcnt(2)
	v_dot4c_i32_i8_e32 v144, v6, v12
	v_dot4c_i32_i8_e32 v144, v7, v18
	;; [unrolled: 3-line block ×3, first 2 shown]
	v_cvt_f32_f16_e32 v3, v154
	v_cvt_f32_f16_e32 v2, v143
	v_cvt_f32_f16_sdwa v7, v154 dst_sel:DWORD dst_unused:UNUSED_PAD src0_sel:WORD_1
	v_cvt_f32_f16_sdwa v6, v143 dst_sel:DWORD dst_unused:UNUSED_PAD src0_sel:WORD_1
	v_cvt_f32_i32_e32 v9, v168
	v_cvt_f32_i32_e32 v8, v142
	v_dot4c_i32_i8_e32 v4, v145, v17
	v_cvt_f32_f16_e32 v137, v155
	v_cvt_f32_f16_e32 v136, v164
	v_cvt_f32_f16_sdwa v141, v155 dst_sel:DWORD dst_unused:UNUSED_PAD src0_sel:WORD_1
	v_cvt_f32_f16_sdwa v140, v164 dst_sel:DWORD dst_unused:UNUSED_PAD src0_sel:WORD_1
	v_cvt_f32_i32_e32 v143, v165
	v_cvt_f32_i32_e32 v142, v163
	v_dot4c_i32_i8_e32 v4, v146, v12
	v_dot4c_i32_i8_e32 v4, v147, v18
	;; [unrolled: 1-line block ×3, first 2 shown]
	v_pk_fma_f32 v[2:3], v[2:3], v[8:9], v[6:7]
	v_dot4c_i32_i8_e32 v4, v149, v19
	v_pk_mul_f16 v14, v5, v159
	v_pk_mul_f16 v145, v5, v139
	v_pk_add_f32 v[2:3], v[130:131], v[2:3]
	v_pk_fma_f32 v[6:7], v[136:137], v[142:143], v[140:141]
	v_cvt_f32_f16_e32 v9, v138
	v_cvt_f32_f16_e32 v8, v158
	v_cvt_f32_f16_sdwa v131, v138 dst_sel:DWORD dst_unused:UNUSED_PAD src0_sel:WORD_1
	v_cvt_f32_f16_sdwa v130, v158 dst_sel:DWORD dst_unused:UNUSED_PAD src0_sel:WORD_1
	v_cvt_f32_i32_e32 v137, v160
	v_cvt_f32_i32_e32 v136, v172
	v_cvt_f32_f16_e32 v139, v145
	v_cvt_f32_f16_e32 v138, v14
	v_cvt_f32_f16_sdwa v141, v145 dst_sel:DWORD dst_unused:UNUSED_PAD src0_sel:WORD_1
	v_cvt_f32_f16_sdwa v140, v14 dst_sel:DWORD dst_unused:UNUSED_PAD src0_sel:WORD_1
	v_cvt_f32_i32_e32 v143, v144
	v_cvt_f32_i32_e32 v142, v4
	v_pk_add_f32 v[2:3], v[2:3], v[6:7]
	v_pk_fma_f32 v[6:7], v[8:9], v[136:137], v[130:131]
	v_pk_add_f32 v[2:3], v[2:3], v[6:7]
	v_pk_fma_f32 v[6:7], v[138:139], v[142:143], v[140:141]
	v_pk_add_f32 v[130:131], v[2:3], v[6:7]
	v_add_u32_e32 v2, 0x41e8, v113
	ds_read2_b32 v[2:3], v2 offset1:1
	v_mov_b32_e32 v136, 0
	s_waitcnt lgkmcnt(1)
	v_dot4c_i32_i8_e32 v136, v20, v10
	v_add_u32_e32 v4, 0x41f0, v113
	v_add_u32_e32 v8, 0x41f8, v113
	v_dot4c_i32_i8_e32 v136, v21, v16
	v_add_u32_e32 v14, 0x6260, v113
	ds_read2_b32 v[6:7], v4 offset1:1
	ds_read2_b32 v[8:9], v8 offset1:1
	ds_read2_b32 v[20:21], v14 offset1:1
	s_waitcnt lgkmcnt(3)
	v_dot4c_i32_i8_e32 v136, v2, v11
	v_add_u32_e32 v2, 0x6268, v113
	v_dot4c_i32_i8_e32 v136, v3, v17
	ds_read2_b32 v[2:3], v2 offset1:1
	s_waitcnt lgkmcnt(3)
	v_dot4c_i32_i8_e32 v136, v6, v12
	v_add_u32_e32 v4, 0x6270, v113
	v_dot4c_i32_i8_e32 v136, v7, v18
	ds_read2_b32 v[6:7], v4 offset1:1
	v_mov_b32_e32 v138, 0
	s_waitcnt lgkmcnt(3)
	v_dot4c_i32_i8_e32 v136, v8, v13
	s_waitcnt lgkmcnt(2)
	v_dot4c_i32_i8_e32 v138, v20, v10
	v_add_u32_e32 v4, 0x6278, v113
	v_dot4c_i32_i8_e32 v136, v9, v19
	v_dot4c_i32_i8_e32 v138, v21, v16
	ds_read2_b32 v[8:9], v4 offset1:1
	s_waitcnt lgkmcnt(2)
	v_dot4c_i32_i8_e32 v138, v2, v11
	v_dot4c_i32_i8_e32 v138, v3, v17
	s_waitcnt lgkmcnt(1)
	v_dot4c_i32_i8_e32 v138, v6, v12
	v_dot4c_i32_i8_e32 v138, v7, v18
	s_waitcnt lgkmcnt(0)
	v_dot4c_i32_i8_e32 v138, v8, v13
	v_pk_mul_f16 v137, v5, v15
	v_dot4c_i32_i8_e32 v138, v9, v19
	v_cvt_f32_f16_e32 v3, v162
	v_cvt_f32_f16_e32 v2, v156
	v_cvt_f32_f16_sdwa v7, v162 dst_sel:DWORD dst_unused:UNUSED_PAD src0_sel:WORD_1
	v_cvt_f32_f16_sdwa v6, v156 dst_sel:DWORD dst_unused:UNUSED_PAD src0_sel:WORD_1
	v_cvt_f32_i32_e32 v9, v170
	v_cvt_f32_i32_e32 v8, v169
	v_cvt_f32_f16_e32 v11, v171
	v_cvt_f32_f16_e32 v10, v157
	v_cvt_f32_f16_sdwa v13, v171 dst_sel:DWORD dst_unused:UNUSED_PAD src0_sel:WORD_1
	v_cvt_f32_f16_sdwa v12, v157 dst_sel:DWORD dst_unused:UNUSED_PAD src0_sel:WORD_1
	v_cvt_f32_i32_e32 v15, v167
	v_cvt_f32_i32_e32 v14, v166
	v_pk_mul_f16 v16, v5, v135
	v_pk_fma_f32 v[2:3], v[2:3], v[8:9], v[6:7]
	v_cvt_f32_f16_e32 v7, v134
	v_pk_fma_f32 v[4:5], v[10:11], v[14:15], v[12:13]
	v_cvt_f32_f16_e32 v6, v173
	v_cvt_f32_f16_sdwa v9, v134 dst_sel:DWORD dst_unused:UNUSED_PAD src0_sel:WORD_1
	v_cvt_f32_f16_sdwa v8, v173 dst_sel:DWORD dst_unused:UNUSED_PAD src0_sel:WORD_1
	v_cvt_f32_i32_e32 v11, v174
	v_cvt_f32_i32_e32 v10, v161
	v_cvt_f32_f16_e32 v13, v16
	v_cvt_f32_f16_e32 v12, v137
	v_cvt_f32_f16_sdwa v15, v16 dst_sel:DWORD dst_unused:UNUSED_PAD src0_sel:WORD_1
	v_cvt_f32_f16_sdwa v14, v137 dst_sel:DWORD dst_unused:UNUSED_PAD src0_sel:WORD_1
	v_cvt_f32_i32_e32 v17, v138
	v_cvt_f32_i32_e32 v16, v136
	v_pk_add_f32 v[2:3], v[132:133], v[2:3]
	v_pk_add_f32 v[2:3], v[2:3], v[4:5]
	v_pk_fma_f32 v[4:5], v[6:7], v[10:11], v[8:9]
	v_pk_add_f32 v[2:3], v[2:3], v[4:5]
	v_pk_fma_f32 v[4:5], v[12:13], v[16:17], v[14:15]
	v_pk_add_f32 v[132:133], v[2:3], v[4:5]
	s_barrier
.LBB204_5:                              ;   in Loop: Header=BB204_6 Depth=1
	v_add_co_u32_e32 v56, vcc, 0x120, v56
	v_addc_co_u32_e32 v57, vcc, 0, v57, vcc
	v_add_co_u32_e32 v58, vcc, 0xc0, v58
	v_addc_co_u32_e32 v1, vcc, 0, v1, vcc
	;; [unrolled: 2-line block ×36, first 2 shown]
	s_add_i32 s18, s18, 8
	s_addk_i32 s10, 0x100
	v_add_co_u32_e32 v128, vcc, 0xc0, v128
	s_cmp_ge_i32 s18, s20
	v_addc_co_u32_e32 v95, vcc, 0, v95, vcc
	s_cbranch_scc1 .LBB204_20
.LBB204_6:                              ; =>This Inner Loop Header: Depth=1
	v_mov_b32_e32 v2, s21
	v_add_co_u32_e32 v4, vcc, s8, v58
	v_addc_co_u32_e32 v5, vcc, v1, v2, vcc
	global_load_dword v3, v[4:5], off
	v_add_co_u32_e32 v4, vcc, s8, v60
	v_addc_co_u32_e32 v5, vcc, v23, v2, vcc
	global_load_dword v8, v[4:5], off offset:4
	v_add_co_u32_e32 v4, vcc, s8, v62
	v_addc_co_u32_e32 v5, vcc, v25, v2, vcc
	v_add_co_u32_e32 v6, vcc, s8, v64
	v_addc_co_u32_e32 v7, vcc, v27, v2, vcc
	global_load_dword v9, v[6:7], off
	global_load_dword v10, v[4:5], off
	v_add_co_u32_e32 v4, vcc, s8, v68
	v_addc_co_u32_e32 v5, vcc, v31, v2, vcc
	global_load_dword v11, v[4:5], off
	v_add_co_u32_e32 v4, vcc, s8, v66
	v_addc_co_u32_e32 v5, vcc, v29, v2, vcc
	;; [unrolled: 3-line block ×3, first 2 shown]
	v_add_co_u32_e32 v6, vcc, s8, v72
	v_addc_co_u32_e32 v7, vcc, v35, v2, vcc
	global_load_dword v13, v[4:5], off
	s_nop 0
	global_load_dword v6, v[6:7], off
	s_add_i32 s4, s10, 0xffffff80
	s_cmp_lt_i32 s4, s9
	s_waitcnt vmcnt(7)
	v_lshrrev_b32_e32 v5, 4, v3
	v_and_b32_e32 v3, 0xf0f0f0f, v3
	v_and_b32_e32 v5, 0xf0f0f0f, v5
	s_waitcnt vmcnt(6)
	v_ashrrev_i32_e32 v4, v101, v8
	v_lshlrev_b32_e32 v14, 11, v4
	v_lshrrev_b32_e32 v15, 12, v4
	v_lshrrev_b32_e32 v16, 5, v4
	v_lshlrev_b32_e32 v17, 2, v4
	v_lshlrev_b32_e32 v18, 18, v4
	;; [unrolled: 1-line block ×3, first 2 shown]
	v_and_b32_e32 v15, 16, v15
	s_waitcnt vmcnt(5)
	v_ashrrev_i32_e32 v7, v101, v9
	s_waitcnt vmcnt(4)
	v_lshrrev_b32_e32 v8, 4, v10
	v_and_b32_e32 v9, 0xf0f0f0f, v10
	v_lshlrev_b32_e32 v10, 4, v4
	v_lshlrev_b32_e32 v4, 25, v4
	v_and_b32_e32 v10, 16, v10
	v_and_b32_e32 v16, 0x1000, v16
	;; [unrolled: 1-line block ×7, first 2 shown]
	v_or3_b32 v3, v10, v3, v14
	v_or3_b32 v5, v15, v5, v16
	v_or3_b32 v5, v5, v17, v19
	v_or3_b32 v3, v3, v18, v4
	v_add_co_u32_e32 v4, vcc, s8, v76
	ds_write2_b32 v22, v3, v5 offset1:1
	v_addc_co_u32_e32 v5, vcc, v39, v2, vcc
	global_load_dword v3, v[4:5], off
	v_add_co_u32_e32 v4, vcc, s8, v74
	v_lshlrev_b32_e32 v20, 4, v7
	v_lshlrev_b32_e32 v21, 11, v7
	v_lshrrev_b32_e32 v134, 12, v7
	v_lshrrev_b32_e32 v135, 5, v7
	v_addc_co_u32_e32 v5, vcc, v37, v2, vcc
	v_and_b32_e32 v8, 0xf0f0f0f, v8
	v_lshlrev_b32_e32 v136, 2, v7
	v_lshlrev_b32_e32 v137, 18, v7
	;; [unrolled: 1-line block ×3, first 2 shown]
	v_and_b32_e32 v134, 16, v134
	v_and_b32_e32 v20, 16, v20
	;; [unrolled: 1-line block ×4, first 2 shown]
	global_load_dword v10, v[4:5], off
	v_lshlrev_b32_e32 v4, 25, v7
	v_and_b32_e32 v137, 0x100000, v137
	v_and_b32_e32 v136, 0x100000, v136
	v_or3_b32 v9, v20, v9, v21
	v_or3_b32 v8, v134, v8, v135
	v_and_b32_e32 v4, 0x10000000, v4
	v_and_b32_e32 v5, 0x10000000, v138
	v_or3_b32 v5, v8, v136, v5
	v_or3_b32 v4, v9, v137, v4
	s_waitcnt vmcnt(5)
	v_ashrrev_i32_e32 v7, v101, v11
	ds_write2_b32 v24, v4, v5 offset1:1
	v_lshlrev_b32_e32 v4, 4, v7
	v_lshlrev_b32_e32 v5, 11, v7
	s_waitcnt vmcnt(4)
	v_lshrrev_b32_e32 v8, 4, v12
	v_lshrrev_b32_e32 v9, 12, v7
	v_lshrrev_b32_e32 v11, 5, v7
	v_and_b32_e32 v12, 0xf0f0f0f, v12
	v_and_b32_e32 v4, 16, v4
	;; [unrolled: 1-line block ×6, first 2 shown]
	v_or3_b32 v12, v4, v12, v5
	v_lshlrev_b32_e32 v4, 2, v7
	v_or3_b32 v8, v9, v8, v11
	v_lshlrev_b32_e32 v5, 18, v7
	v_and_b32_e32 v11, 0x100000, v4
	v_add_co_u32_e32 v4, vcc, s8, v80
	v_and_b32_e32 v9, 0x100000, v5
	v_addc_co_u32_e32 v5, vcc, v43, v2, vcc
	global_load_dword v15, v[4:5], off
	v_add_co_u32_e32 v4, vcc, s8, v78
	v_addc_co_u32_e32 v5, vcc, v41, v2, vcc
	v_lshlrev_b32_e32 v14, 9, v7
	global_load_dword v16, v[4:5], off
	v_lshlrev_b32_e32 v4, 25, v7
	v_and_b32_e32 v4, 0x10000000, v4
	v_and_b32_e32 v5, 0x10000000, v14
	v_or3_b32 v5, v8, v11, v5
	v_or3_b32 v4, v12, v9, v4
	s_waitcnt vmcnt(4)
	v_ashrrev_i32_e32 v6, v101, v6
	ds_write2_b32 v26, v4, v5 offset1:1
	v_lshlrev_b32_e32 v4, 4, v6
	v_lshlrev_b32_e32 v5, 11, v6
	v_lshrrev_b32_e32 v7, 4, v13
	v_lshrrev_b32_e32 v8, 12, v6
	;; [unrolled: 1-line block ×3, first 2 shown]
	v_and_b32_e32 v11, 0xf0f0f0f, v13
	v_and_b32_e32 v4, 16, v4
	;; [unrolled: 1-line block ×6, first 2 shown]
	v_or3_b32 v11, v4, v11, v5
	v_lshlrev_b32_e32 v4, 2, v6
	v_or3_b32 v7, v8, v7, v9
	v_lshlrev_b32_e32 v5, 18, v6
	v_and_b32_e32 v9, 0x100000, v4
	v_add_co_u32_e32 v4, vcc, s8, v84
	v_and_b32_e32 v8, 0x100000, v5
	v_addc_co_u32_e32 v5, vcc, v47, v2, vcc
	global_load_dword v13, v[4:5], off
	v_add_co_u32_e32 v4, vcc, s8, v82
	v_addc_co_u32_e32 v5, vcc, v45, v2, vcc
	global_load_dword v14, v[4:5], off
	v_lshlrev_b32_e32 v12, 9, v6
	v_lshlrev_b32_e32 v4, 25, v6
	v_and_b32_e32 v4, 0x10000000, v4
	v_and_b32_e32 v5, 0x10000000, v12
	v_or3_b32 v5, v7, v9, v5
	v_or3_b32 v4, v11, v8, v4
	s_waitcnt vmcnt(5)
	v_ashrrev_i32_e32 v3, v101, v3
	ds_write2_b32 v28, v4, v5 offset1:1
	v_lshlrev_b32_e32 v4, 4, v3
	v_lshlrev_b32_e32 v5, 11, v3
	s_waitcnt vmcnt(4)
	v_lshrrev_b32_e32 v6, 4, v10
	v_lshrrev_b32_e32 v7, 12, v3
	;; [unrolled: 1-line block ×3, first 2 shown]
	v_and_b32_e32 v9, 0xf0f0f0f, v10
	v_and_b32_e32 v4, 16, v4
	;; [unrolled: 1-line block ×6, first 2 shown]
	v_or3_b32 v9, v4, v9, v5
	v_lshlrev_b32_e32 v4, 2, v3
	v_or3_b32 v6, v7, v6, v8
	v_lshlrev_b32_e32 v5, 18, v3
	v_and_b32_e32 v8, 0x100000, v4
	v_add_co_u32_e32 v4, vcc, s8, v88
	v_and_b32_e32 v7, 0x100000, v5
	v_addc_co_u32_e32 v5, vcc, v51, v2, vcc
	global_load_dword v11, v[4:5], off
	v_add_co_u32_e32 v4, vcc, s8, v86
	v_lshlrev_b32_e32 v10, 9, v3
	v_addc_co_u32_e32 v5, vcc, v49, v2, vcc
	v_lshlrev_b32_e32 v3, 25, v3
	global_load_dword v12, v[4:5], off
	v_and_b32_e32 v3, 0x10000000, v3
	v_and_b32_e32 v4, 0x10000000, v10
	v_or3_b32 v4, v6, v8, v4
	v_or3_b32 v3, v9, v7, v3
	ds_write2_b32 v30, v3, v4 offset1:1
	s_waitcnt vmcnt(5)
	v_ashrrev_i32_e32 v3, v101, v15
	v_lshlrev_b32_e32 v4, 4, v3
	v_lshlrev_b32_e32 v5, 11, v3
	s_waitcnt vmcnt(4)
	v_lshrrev_b32_e32 v6, 4, v16
	v_lshrrev_b32_e32 v7, 12, v3
	;; [unrolled: 1-line block ×3, first 2 shown]
	v_and_b32_e32 v9, 0xf0f0f0f, v16
	v_and_b32_e32 v4, 16, v4
	;; [unrolled: 1-line block ×6, first 2 shown]
	v_or3_b32 v9, v4, v9, v5
	v_lshlrev_b32_e32 v4, 2, v3
	v_or3_b32 v6, v7, v6, v8
	v_lshlrev_b32_e32 v5, 18, v3
	v_and_b32_e32 v8, 0x100000, v4
	v_add_co_u32_e32 v4, vcc, s8, v92
	v_and_b32_e32 v7, 0x100000, v5
	v_addc_co_u32_e32 v5, vcc, v59, v2, vcc
	global_load_dword v15, v[4:5], off
	v_add_co_u32_e32 v4, vcc, s8, v90
	v_lshlrev_b32_e32 v10, 9, v3
	v_addc_co_u32_e32 v5, vcc, v53, v2, vcc
	v_lshlrev_b32_e32 v3, 25, v3
	global_load_dword v16, v[4:5], off
	v_and_b32_e32 v3, 0x10000000, v3
	v_and_b32_e32 v4, 0x10000000, v10
	v_or3_b32 v4, v6, v8, v4
	v_or3_b32 v3, v9, v7, v3
	ds_write2_b32 v32, v3, v4 offset1:1
	s_waitcnt vmcnt(5)
	v_ashrrev_i32_e32 v3, v101, v13
	v_lshlrev_b32_e32 v4, 4, v3
	v_lshlrev_b32_e32 v5, 11, v3
	s_waitcnt vmcnt(4)
	v_lshrrev_b32_e32 v6, 4, v14
	v_lshrrev_b32_e32 v7, 12, v3
	;; [unrolled: 1-line block ×3, first 2 shown]
	v_and_b32_e32 v9, 0xf0f0f0f, v14
	v_and_b32_e32 v4, 16, v4
	;; [unrolled: 1-line block ×6, first 2 shown]
	v_or3_b32 v9, v4, v9, v5
	v_lshlrev_b32_e32 v4, 2, v3
	v_or3_b32 v6, v7, v6, v8
	v_lshlrev_b32_e32 v5, 18, v3
	v_and_b32_e32 v8, 0x100000, v4
	v_add_co_u32_e32 v4, vcc, s8, v96
	v_and_b32_e32 v7, 0x100000, v5
	v_addc_co_u32_e32 v5, vcc, v63, v2, vcc
	global_load_dword v13, v[4:5], off
	v_add_co_u32_e32 v4, vcc, s8, v94
	v_addc_co_u32_e32 v5, vcc, v61, v2, vcc
	global_load_dword v14, v[4:5], off
	v_lshlrev_b32_e32 v10, 9, v3
	v_lshlrev_b32_e32 v3, 25, v3
	v_and_b32_e32 v3, 0x10000000, v3
	v_and_b32_e32 v4, 0x10000000, v10
	v_or3_b32 v4, v6, v8, v4
	v_or3_b32 v3, v9, v7, v3
	ds_write2_b32 v34, v3, v4 offset1:1
	s_waitcnt vmcnt(5)
	v_ashrrev_i32_e32 v3, v101, v11
	v_lshlrev_b32_e32 v4, 4, v3
	v_lshlrev_b32_e32 v5, 11, v3
	v_lshrrev_b32_e32 v7, 12, v3
	s_waitcnt vmcnt(4)
	v_lshrrev_b32_e32 v6, 4, v12
	v_lshrrev_b32_e32 v8, 5, v3
	v_and_b32_e32 v9, 0xf0f0f0f, v12
	v_and_b32_e32 v4, 16, v4
	;; [unrolled: 1-line block ×6, first 2 shown]
	v_or3_b32 v9, v4, v9, v5
	v_lshlrev_b32_e32 v4, 2, v3
	v_or3_b32 v6, v7, v6, v8
	v_lshlrev_b32_e32 v5, 18, v3
	v_and_b32_e32 v8, 0x100000, v4
	v_add_co_u32_e32 v4, vcc, s8, v100
	v_and_b32_e32 v7, 0x100000, v5
	v_addc_co_u32_e32 v5, vcc, v67, v2, vcc
	global_load_dword v11, v[4:5], off
	v_add_co_u32_e32 v4, vcc, s8, v98
	v_lshlrev_b32_e32 v10, 9, v3
	v_addc_co_u32_e32 v5, vcc, v65, v2, vcc
	v_lshlrev_b32_e32 v3, 25, v3
	global_load_dword v12, v[4:5], off
	v_and_b32_e32 v3, 0x10000000, v3
	v_and_b32_e32 v4, 0x10000000, v10
	v_or3_b32 v4, v6, v8, v4
	v_or3_b32 v3, v9, v7, v3
	ds_write2_b32 v36, v3, v4 offset1:1
	s_waitcnt vmcnt(5)
	v_ashrrev_i32_e32 v3, v101, v15
	v_lshlrev_b32_e32 v4, 4, v3
	v_lshlrev_b32_e32 v5, 11, v3
	v_and_b32_e32 v4, 16, v4
	s_waitcnt vmcnt(4)
	v_and_b32_e32 v9, 0xf0f0f0f, v16
	v_and_b32_e32 v5, 0x1000, v5
	v_lshrrev_b32_e32 v6, 4, v16
	v_lshrrev_b32_e32 v7, 12, v3
	;; [unrolled: 1-line block ×3, first 2 shown]
	v_or3_b32 v9, v4, v9, v5
	v_add_co_u32_e32 v4, vcc, s8, v104
	v_and_b32_e32 v6, 0xf0f0f0f, v6
	v_and_b32_e32 v7, 16, v7
	v_and_b32_e32 v8, 0x1000, v8
	v_addc_co_u32_e32 v5, vcc, v71, v2, vcc
	v_or3_b32 v6, v7, v6, v8
	global_load_dword v7, v[4:5], off
	v_add_co_u32_e32 v4, vcc, s8, v102
	v_addc_co_u32_e32 v5, vcc, v69, v2, vcc
	global_load_dword v8, v[4:5], off
	v_lshlrev_b32_e32 v4, 2, v3
	v_lshlrev_b32_e32 v5, 18, v3
	;; [unrolled: 1-line block ×4, first 2 shown]
	v_and_b32_e32 v5, 0x100000, v5
	v_and_b32_e32 v4, 0x100000, v4
	;; [unrolled: 1-line block ×4, first 2 shown]
	v_or3_b32 v4, v6, v4, v10
	v_or3_b32 v3, v9, v5, v3
	ds_write2_b32 v38, v3, v4 offset1:1
	s_waitcnt vmcnt(5)
	v_ashrrev_i32_e32 v3, v101, v13
	v_lshrrev_b32_e32 v5, 12, v3
	s_waitcnt vmcnt(4)
	v_lshrrev_b32_e32 v4, 4, v14
	v_and_b32_e32 v13, 0xf0f0f0f, v4
	v_add_co_u32_e32 v4, vcc, s8, v108
	v_and_b32_e32 v15, 16, v5
	v_addc_co_u32_e32 v5, vcc, v75, v2, vcc
	global_load_dword v16, v[4:5], off
	v_add_co_u32_e32 v4, vcc, s8, v106
	v_addc_co_u32_e32 v5, vcc, v73, v2, vcc
	global_load_dword v17, v[4:5], off
	v_lshlrev_b32_e32 v6, 4, v3
	v_lshlrev_b32_e32 v9, 11, v3
	v_lshrrev_b32_e32 v10, 5, v3
	v_and_b32_e32 v14, 0xf0f0f0f, v14
	v_and_b32_e32 v4, 16, v6
	;; [unrolled: 1-line block ×4, first 2 shown]
	v_or3_b32 v4, v4, v14, v6
	v_lshlrev_b32_e32 v6, 2, v3
	v_lshlrev_b32_e32 v9, 18, v3
	;; [unrolled: 1-line block ×4, first 2 shown]
	v_or3_b32 v5, v15, v13, v5
	v_and_b32_e32 v9, 0x100000, v9
	v_and_b32_e32 v6, 0x100000, v6
	v_and_b32_e32 v3, 0x10000000, v3
	v_and_b32_e32 v10, 0x10000000, v10
	v_or3_b32 v5, v5, v6, v10
	v_or3_b32 v3, v4, v9, v3
	ds_write2_b32 v40, v3, v5 offset1:1
	s_waitcnt vmcnt(5)
	v_ashrrev_i32_e32 v3, v101, v11
	v_lshlrev_b32_e32 v4, 4, v3
	v_lshlrev_b32_e32 v5, 11, v3
	v_lshrrev_b32_e32 v9, 12, v3
	s_waitcnt vmcnt(4)
	v_lshrrev_b32_e32 v6, 4, v12
	v_lshrrev_b32_e32 v10, 5, v3
	v_and_b32_e32 v11, 0xf0f0f0f, v12
	v_and_b32_e32 v4, 16, v4
	;; [unrolled: 1-line block ×6, first 2 shown]
	v_or3_b32 v11, v4, v11, v5
	v_lshlrev_b32_e32 v4, 2, v3
	v_or3_b32 v6, v9, v6, v10
	v_lshlrev_b32_e32 v5, 18, v3
	v_and_b32_e32 v10, 0x100000, v4
	v_add_co_u32_e32 v4, vcc, s8, v112
	v_and_b32_e32 v9, 0x100000, v5
	v_lshlrev_b32_e32 v12, 9, v3
	v_lshlrev_b32_e32 v3, 25, v3
	v_addc_co_u32_e32 v5, vcc, v79, v2, vcc
	v_and_b32_e32 v3, 0x10000000, v3
	global_load_dword v13, v[4:5], off
	v_and_b32_e32 v4, 0x10000000, v12
	v_or3_b32 v4, v6, v10, v4
	v_or3_b32 v3, v11, v9, v3
	ds_write2_b32 v42, v3, v4 offset1:1
	s_waitcnt vmcnt(4)
	v_ashrrev_i32_e32 v3, v101, v7
	v_lshlrev_b32_e32 v4, 4, v3
	v_lshlrev_b32_e32 v5, 11, v3
	s_waitcnt vmcnt(3)
	v_lshrrev_b32_e32 v6, 4, v8
	v_and_b32_e32 v8, 0xf0f0f0f, v8
	v_and_b32_e32 v4, 16, v4
	;; [unrolled: 1-line block ×3, first 2 shown]
	v_lshrrev_b32_e32 v7, 12, v3
	v_lshrrev_b32_e32 v9, 5, v3
	v_or3_b32 v8, v4, v8, v5
	v_add_co_u32_e32 v4, vcc, s8, v110
	v_and_b32_e32 v6, 0xf0f0f0f, v6
	v_and_b32_e32 v7, 16, v7
	;; [unrolled: 1-line block ×3, first 2 shown]
	v_addc_co_u32_e32 v5, vcc, v77, v2, vcc
	v_or3_b32 v6, v7, v6, v9
	global_load_dword v7, v[4:5], off
	v_lshlrev_b32_e32 v4, 2, v3
	v_lshlrev_b32_e32 v5, 18, v3
	;; [unrolled: 1-line block ×4, first 2 shown]
	v_and_b32_e32 v5, 0x100000, v5
	v_and_b32_e32 v4, 0x100000, v4
	;; [unrolled: 1-line block ×4, first 2 shown]
	v_or3_b32 v4, v6, v4, v9
	v_or3_b32 v3, v8, v5, v3
	ds_write2_b32 v44, v3, v4 offset1:1
	v_add_co_u32_e32 v4, vcc, s8, v116
	v_addc_co_u32_e32 v5, vcc, v83, v2, vcc
	global_load_dword v10, v[4:5], off
	v_add_co_u32_e32 v4, vcc, s8, v114
	s_waitcnt vmcnt(4)
	v_ashrrev_i32_e32 v3, v101, v16
	v_addc_co_u32_e32 v5, vcc, v81, v2, vcc
	v_lshlrev_b32_e32 v6, 4, v3
	v_lshlrev_b32_e32 v8, 11, v3
	s_waitcnt vmcnt(3)
	v_lshrrev_b32_e32 v9, 4, v17
	global_load_dword v11, v[4:5], off
	v_lshrrev_b32_e32 v4, 12, v3
	v_lshrrev_b32_e32 v5, 5, v3
	v_and_b32_e32 v9, 0xf0f0f0f, v9
	v_and_b32_e32 v12, 0xf0f0f0f, v17
	;; [unrolled: 1-line block ×6, first 2 shown]
	v_or3_b32 v6, v6, v12, v8
	v_or3_b32 v8, v4, v9, v5
	v_lshlrev_b32_e32 v4, 2, v3
	v_lshlrev_b32_e32 v5, 18, v3
	v_and_b32_e32 v12, 0x100000, v4
	v_add_co_u32_e32 v4, vcc, s8, v120
	v_and_b32_e32 v9, 0x100000, v5
	v_addc_co_u32_e32 v5, vcc, v87, v2, vcc
	global_load_dword v15, v[4:5], off
	v_add_co_u32_e32 v4, vcc, s8, v118
	v_lshlrev_b32_e32 v14, 9, v3
	v_addc_co_u32_e32 v5, vcc, v85, v2, vcc
	v_lshlrev_b32_e32 v3, 25, v3
	global_load_dword v16, v[4:5], off
	v_and_b32_e32 v3, 0x10000000, v3
	v_and_b32_e32 v4, 0x10000000, v14
	v_or3_b32 v4, v8, v12, v4
	v_or3_b32 v3, v6, v9, v3
	ds_write2_b32 v46, v3, v4 offset1:1
	v_add_co_u32_e32 v4, vcc, s8, v122
	v_addc_co_u32_e32 v5, vcc, v89, v2, vcc
	global_load_dword v6, v[4:5], off
	v_add_co_u32_e32 v4, vcc, s8, v124
	v_addc_co_u32_e32 v5, vcc, v91, v2, vcc
	global_load_dword v8, v[4:5], off
	;; [unrolled: 3-line block ×4, first 2 shown]
	s_waitcnt vmcnt(9)
	v_ashrrev_i32_e32 v3, v101, v13
	v_lshlrev_b32_e32 v4, 4, v3
	v_lshlrev_b32_e32 v5, 11, v3
	s_waitcnt vmcnt(8)
	v_lshrrev_b32_e32 v12, 4, v7
	v_lshrrev_b32_e32 v13, 12, v3
	;; [unrolled: 1-line block ×3, first 2 shown]
	v_and_b32_e32 v12, 0xf0f0f0f, v12
	v_and_b32_e32 v7, 0xf0f0f0f, v7
	v_and_b32_e32 v13, 16, v13
	v_and_b32_e32 v4, 16, v4
	v_and_b32_e32 v14, 0x1000, v14
	v_and_b32_e32 v5, 0x1000, v5
	v_or3_b32 v4, v4, v7, v5
	v_or3_b32 v5, v13, v12, v14
	v_lshlrev_b32_e32 v7, 2, v3
	v_lshlrev_b32_e32 v12, 18, v3
	;; [unrolled: 1-line block ×4, first 2 shown]
	v_and_b32_e32 v12, 0x100000, v12
	v_and_b32_e32 v7, 0x100000, v7
	;; [unrolled: 1-line block ×4, first 2 shown]
	v_or3_b32 v5, v5, v7, v13
	v_or3_b32 v3, v4, v12, v3
	ds_write2_b32 v48, v3, v5 offset1:1
	s_waitcnt vmcnt(7)
	v_ashrrev_i32_e32 v3, v101, v10
	v_lshlrev_b32_e32 v4, 4, v3
	v_lshlrev_b32_e32 v5, 11, v3
	s_waitcnt vmcnt(6)
	v_lshrrev_b32_e32 v7, 4, v11
	v_lshrrev_b32_e32 v10, 12, v3
	;; [unrolled: 1-line block ×3, first 2 shown]
	v_and_b32_e32 v7, 0xf0f0f0f, v7
	v_and_b32_e32 v11, 0xf0f0f0f, v11
	;; [unrolled: 1-line block ×6, first 2 shown]
	v_or3_b32 v4, v4, v11, v5
	v_or3_b32 v5, v10, v7, v12
	v_lshlrev_b32_e32 v7, 2, v3
	v_lshlrev_b32_e32 v10, 18, v3
	;; [unrolled: 1-line block ×4, first 2 shown]
	v_and_b32_e32 v10, 0x100000, v10
	v_and_b32_e32 v7, 0x100000, v7
	;; [unrolled: 1-line block ×4, first 2 shown]
	v_or3_b32 v5, v5, v7, v11
	v_or3_b32 v3, v4, v10, v3
	ds_write2_b32 v50, v3, v5 offset1:1
	s_waitcnt vmcnt(5)
	v_ashrrev_i32_e32 v3, v101, v15
	v_lshlrev_b32_e32 v4, 4, v3
	v_lshlrev_b32_e32 v5, 11, v3
	v_lshrrev_b32_e32 v10, 12, v3
	s_waitcnt vmcnt(4)
	v_lshrrev_b32_e32 v7, 4, v16
	v_lshrrev_b32_e32 v11, 5, v3
	v_and_b32_e32 v7, 0xf0f0f0f, v7
	v_and_b32_e32 v12, 0xf0f0f0f, v16
	v_and_b32_e32 v10, 16, v10
	v_and_b32_e32 v4, 16, v4
	v_and_b32_e32 v11, 0x1000, v11
	v_and_b32_e32 v5, 0x1000, v5
	v_or3_b32 v4, v4, v12, v5
	v_or3_b32 v5, v10, v7, v11
	v_lshlrev_b32_e32 v7, 2, v3
	v_lshlrev_b32_e32 v10, 18, v3
	;; [unrolled: 1-line block ×4, first 2 shown]
	v_and_b32_e32 v10, 0x100000, v10
	v_and_b32_e32 v7, 0x100000, v7
	;; [unrolled: 1-line block ×4, first 2 shown]
	v_or3_b32 v5, v5, v7, v11
	v_or3_b32 v3, v4, v10, v3
	ds_write2_b32 v52, v3, v5 offset1:1
	s_waitcnt vmcnt(3)
	ds_write_b32 v150, v6
	s_waitcnt vmcnt(2)
	ds_write_b32 v151, v8
	;; [unrolled: 2-line block ×4, first 2 shown]
	s_cbranch_scc0 .LBB204_5
; %bb.7:                                ;   in Loop: Header=BB204_6 Depth=1
	v_add_u32_e32 v2, s18, v103
	v_cmp_gt_i32_e32 vcc, s12, v2
	s_and_b64 s[22:23], s[2:3], vcc
	s_and_saveexec_b64 s[4:5], s[22:23]
	s_cbranch_execz .LBB204_9
; %bb.8:                                ;   in Loop: Header=BB204_6 Depth=1
	v_add_u32_e32 v2, s18, v129
	v_mad_i64_i32 v[2:3], s[22:23], v2, 36, v[54:55]
	global_load_dword v2, v[2:3], off offset:4
	s_waitcnt vmcnt(0)
	ds_write_b32 v105, v2
.LBB204_9:                              ;   in Loop: Header=BB204_6 Depth=1
	s_or_b64 exec, exec, s[4:5]
	s_and_saveexec_b64 s[4:5], s[0:1]
	s_cbranch_execz .LBB204_12
; %bb.10:                               ;   in Loop: Header=BB204_6 Depth=1
	v_add_u32_e32 v2, s18, v99
	v_cmp_gt_i32_e32 vcc, s12, v2
	s_and_b64 s[22:23], s[2:3], vcc
	s_and_b64 exec, exec, s[22:23]
	s_cbranch_execz .LBB204_12
; %bb.11:                               ;   in Loop: Header=BB204_6 Depth=1
	v_add_u32_e32 v2, s18, v125
	v_mad_i64_i32 v[2:3], s[22:23], v2, 36, s[6:7]
	global_load_dword v2, v[2:3], off
	s_waitcnt vmcnt(0)
	ds_write_b32 v107, v2
.LBB204_12:                             ;   in Loop: Header=BB204_6 Depth=1
	s_or_b64 exec, exec, s[4:5]
	s_waitcnt lgkmcnt(0)
	s_barrier
	ds_read_b128 v[14:17], v109
	ds_read_b128 v[18:21], v109 offset:16
	ds_read_b128 v[2:5], v111
	ds_read2_b32 v[134:135], v113 offset1:1
	ds_read_b128 v[10:13], v109 offset:32
	ds_read_b128 v[6:9], v109 offset:48
	ds_read2_b32 v[136:137], v115 offset1:1
	ds_read2_b32 v[138:139], v113 offset0:2 offset1:3
	v_mov_b32_e32 v143, 0
	s_waitcnt lgkmcnt(4)
	v_dot4c_i32_i8_e32 v143, v134, v14
	v_dot4c_i32_i8_e32 v143, v135, v18
	ds_read2_b32 v[134:135], v113 offset0:4 offset1:5
	ds_read2_b32 v[140:141], v113 offset0:6 offset1:7
	;; [unrolled: 1-line block ×3, first 2 shown]
	s_waitcnt lgkmcnt(3)
	v_dot4c_i32_i8_e32 v143, v138, v15
	v_dot4c_i32_i8_e32 v143, v139, v19
	s_waitcnt lgkmcnt(2)
	v_dot4c_i32_i8_e32 v143, v134, v16
	v_add_u32_e32 v134, 0x2080, v113
	ds_read2_b32 v[154:155], v113 offset0:26 offset1:27
	ds_read2_b32 v[156:157], v113 offset0:28 offset1:29
	;; [unrolled: 1-line block ×3, first 2 shown]
	ds_read2_b32 v[138:139], v134 offset1:1
	v_pk_mul_f16 v174, v2, v136
	v_mov_b32_e32 v136, 0
	v_dot4c_i32_i8_e32 v143, v135, v20
	ds_read2_b32 v[160:161], v117 offset1:1
	ds_read2_b32 v[134:135], v121 offset0:2 offset1:3
	s_waitcnt lgkmcnt(2)
	v_dot4c_i32_i8_e32 v136, v138, v14
	v_add_u32_e32 v138, 0x2088, v113
	v_dot4c_i32_i8_e32 v136, v139, v18
	ds_read2_b32 v[138:139], v138 offset1:1
	v_dot4c_i32_i8_e32 v143, v140, v17
	v_dot4c_i32_i8_e32 v143, v141, v21
	v_add_u32_e32 v140, 0x2090, v113
	v_add_u32_e32 v145, 0x4100, v113
	s_waitcnt lgkmcnt(0)
	v_dot4c_i32_i8_e32 v136, v138, v15
	v_cvt_f32_i32_e32 v144, v143
	v_add_u32_e32 v143, 0x2098, v113
	ds_read2_b32 v[140:141], v140 offset1:1
	ds_read2_b32 v[148:149], v143 offset1:1
	ds_read2_b32 v[162:163], v145 offset1:1
	v_dot4c_i32_i8_e32 v136, v139, v19
	v_add_u32_e32 v138, 0x4108, v113
	s_waitcnt lgkmcnt(2)
	v_dot4c_i32_i8_e32 v136, v140, v16
	v_dot4c_i32_i8_e32 v136, v141, v20
	s_waitcnt lgkmcnt(1)
	v_dot4c_i32_i8_e32 v136, v148, v17
	v_dot4c_i32_i8_e32 v136, v149, v21
	ds_read2_b32 v[164:165], v119 offset1:1
	ds_read2_b32 v[148:149], v117 offset0:2 offset1:3
	ds_read2_b32 v[166:167], v115 offset0:2 offset1:3
	ds_read2_b32 v[138:139], v138 offset1:1
	v_cvt_f32_i32_e32 v145, v136
	v_mov_b32_e32 v136, 0
	s_waitcnt lgkmcnt(4)
	v_dot4c_i32_i8_e32 v136, v162, v14
	v_add_u32_e32 v140, 0x4110, v113
	v_add_u32_e32 v162, 0x4118, v113
	;; [unrolled: 1-line block ×3, first 2 shown]
	v_dot4c_i32_i8_e32 v136, v163, v18
	ds_read2_b32 v[140:141], v140 offset1:1
	ds_read2_b32 v[162:163], v162 offset1:1
	ds_read2_b32 v[168:169], v168 offset1:1
	s_waitcnt lgkmcnt(3)
	v_dot4c_i32_i8_e32 v136, v138, v15
	v_dot4c_i32_i8_e32 v136, v139, v19
	s_waitcnt lgkmcnt(2)
	v_dot4c_i32_i8_e32 v136, v140, v16
	v_dot4c_i32_i8_e32 v136, v141, v20
	;; [unrolled: 3-line block ×3, first 2 shown]
	v_add_u32_e32 v139, 0x6198, v113
	v_pk_mul_f16 v160, v2, v160
	v_pk_mul_f16 v164, v2, v164
	v_cvt_f32_i32_e32 v140, v136
	v_mov_b32_e32 v136, 0
	s_waitcnt lgkmcnt(0)
	v_dot4c_i32_i8_e32 v136, v168, v14
	v_add_u32_e32 v14, 0x6188, v113
	ds_read2_b32 v[162:163], v14 offset1:1
	v_dot4c_i32_i8_e32 v136, v169, v18
	v_add_u32_e32 v18, 0x6190, v113
	v_add_u32_e32 v14, 0x20a0, v113
	ds_read2_b32 v[168:169], v18 offset1:1
	ds_read2_b32 v[170:171], v139 offset1:1
	ds_read2_b32 v[172:173], v14 offset1:1
	s_waitcnt lgkmcnt(3)
	v_dot4c_i32_i8_e32 v136, v162, v15
	v_dot4c_i32_i8_e32 v136, v163, v19
	s_waitcnt lgkmcnt(2)
	v_dot4c_i32_i8_e32 v136, v168, v16
	v_dot4c_i32_i8_e32 v136, v169, v20
	ds_read2_b32 v[18:19], v121 offset1:1
	ds_read2_b32 v[14:15], v119 offset0:2 offset1:3
	s_waitcnt lgkmcnt(3)
	v_dot4c_i32_i8_e32 v136, v170, v17
	ds_read2_b32 v[16:17], v113 offset0:10 offset1:11
	v_mov_b32_e32 v169, 0
	v_dot4c_i32_i8_e32 v169, v146, v10
	v_dot4c_i32_i8_e32 v136, v171, v21
	;; [unrolled: 1-line block ×3, first 2 shown]
	ds_read2_b32 v[20:21], v113 offset0:12 offset1:13
	ds_read2_b32 v[146:147], v113 offset0:14 offset1:15
	ds_read2_b32 v[162:163], v113 offset0:16 offset1:17
	s_waitcnt lgkmcnt(5)
	v_pk_mul_f16 v168, v2, v18
	s_waitcnt lgkmcnt(3)
	v_dot4c_i32_i8_e32 v169, v16, v11
	v_add_u32_e32 v2, 0x20a8, v113
	v_dot4c_i32_i8_e32 v169, v17, v7
	ds_read2_b32 v[16:17], v2 offset1:1
	s_waitcnt lgkmcnt(3)
	v_dot4c_i32_i8_e32 v169, v20, v12
	v_dot4c_i32_i8_e32 v169, v21, v8
	v_mov_b32_e32 v171, 0
	v_cvt_f32_i32_e32 v141, v136
	s_waitcnt lgkmcnt(2)
	v_dot4c_i32_i8_e32 v169, v146, v13
	v_dot4c_i32_i8_e32 v171, v172, v10
	v_add_u32_e32 v18, 0x20b0, v113
	v_add_u32_e32 v136, 0x20b8, v113
	v_dot4c_i32_i8_e32 v169, v147, v9
	v_pk_mul_f16 v170, v3, v137
	v_dot4c_i32_i8_e32 v171, v173, v6
	v_add_u32_e32 v2, 0x4120, v113
	ds_read2_b32 v[20:21], v18 offset1:1
	ds_read2_b32 v[136:137], v136 offset1:1
	;; [unrolled: 1-line block ×3, first 2 shown]
	s_waitcnt lgkmcnt(3)
	v_dot4c_i32_i8_e32 v171, v16, v11
	v_dot4c_i32_i8_e32 v171, v17, v7
	v_add_u32_e32 v2, 0x4128, v113
	s_waitcnt lgkmcnt(2)
	v_dot4c_i32_i8_e32 v171, v20, v12
	ds_read2_b32 v[16:17], v2 offset1:1
	v_dot4c_i32_i8_e32 v171, v21, v8
	v_mov_b32_e32 v172, 0
	s_waitcnt lgkmcnt(2)
	v_dot4c_i32_i8_e32 v171, v136, v13
	s_waitcnt lgkmcnt(1)
	v_dot4c_i32_i8_e32 v172, v146, v10
	v_add_u32_e32 v18, 0x4130, v113
	v_add_u32_e32 v136, 0x4138, v113
	v_dot4c_i32_i8_e32 v171, v137, v9
	v_dot4c_i32_i8_e32 v172, v147, v6
	v_add_u32_e32 v2, 0x61a0, v113
	ds_read2_b32 v[20:21], v18 offset1:1
	ds_read2_b32 v[136:137], v136 offset1:1
	;; [unrolled: 1-line block ×3, first 2 shown]
	s_waitcnt lgkmcnt(3)
	v_dot4c_i32_i8_e32 v172, v16, v11
	v_add_u32_e32 v2, 0x61a8, v113
	v_dot4c_i32_i8_e32 v172, v17, v7
	ds_read2_b32 v[16:17], v2 offset1:1
	s_waitcnt lgkmcnt(3)
	v_dot4c_i32_i8_e32 v172, v20, v12
	v_mov_b32_e32 v173, 0
	v_dot4c_i32_i8_e32 v172, v21, v8
	s_waitcnt lgkmcnt(1)
	v_dot4c_i32_i8_e32 v173, v146, v10
	v_dot4c_i32_i8_e32 v172, v136, v13
	;; [unrolled: 1-line block ×3, first 2 shown]
	v_add_u32_e32 v6, 0x61b0, v113
	v_dot4c_i32_i8_e32 v172, v137, v9
	v_add_u32_e32 v10, 0x61b8, v113
	v_add_u32_e32 v2, 0x20c0, v113
	ds_read2_b32 v[20:21], v6 offset1:1
	ds_read2_b32 v[136:137], v10 offset1:1
	;; [unrolled: 1-line block ×3, first 2 shown]
	s_waitcnt lgkmcnt(3)
	v_dot4c_i32_i8_e32 v173, v16, v11
	v_dot4c_i32_i8_e32 v173, v17, v7
	s_waitcnt lgkmcnt(2)
	v_dot4c_i32_i8_e32 v173, v20, v12
	v_dot4c_i32_i8_e32 v173, v21, v8
	s_waitcnt lgkmcnt(1)
	v_dot4c_i32_i8_e32 v173, v136, v13
	ds_read_b128 v[10:13], v109 offset:64
	v_dot4c_i32_i8_e32 v173, v137, v9
	ds_read_b128 v[6:9], v109 offset:80
	v_pk_mul_f16 v161, v3, v161
	v_pk_mul_f16 v165, v3, v165
	;; [unrolled: 1-line block ×3, first 2 shown]
	ds_read2_b32 v[2:3], v113 offset0:18 offset1:19
	v_mov_b32_e32 v176, 0
	s_waitcnt lgkmcnt(2)
	v_dot4c_i32_i8_e32 v176, v162, v10
	s_waitcnt lgkmcnt(1)
	v_dot4c_i32_i8_e32 v176, v163, v6
	ds_read2_b32 v[16:17], v113 offset0:20 offset1:21
	ds_read2_b32 v[18:19], v113 offset0:22 offset1:23
	;; [unrolled: 1-line block ×3, first 2 shown]
	s_waitcnt lgkmcnt(3)
	v_dot4c_i32_i8_e32 v176, v2, v11
	v_add_u32_e32 v2, 0x20c8, v113
	v_dot4c_i32_i8_e32 v176, v3, v7
	ds_read2_b32 v[2:3], v2 offset1:1
	s_waitcnt lgkmcnt(3)
	v_dot4c_i32_i8_e32 v176, v16, v12
	v_dot4c_i32_i8_e32 v176, v17, v8
	v_mov_b32_e32 v163, 0
	s_waitcnt lgkmcnt(2)
	v_dot4c_i32_i8_e32 v176, v18, v13
	v_dot4c_i32_i8_e32 v163, v146, v10
	v_add_u32_e32 v16, 0x20d0, v113
	v_add_u32_e32 v18, 0x20d8, v113
	v_add_u32_e32 v136, 0x4140, v113
	v_dot4c_i32_i8_e32 v176, v19, v9
	v_dot4c_i32_i8_e32 v163, v147, v6
	ds_read2_b32 v[16:17], v16 offset1:1
	ds_read2_b32 v[18:19], v18 offset1:1
	ds_read2_b32 v[136:137], v136 offset1:1
	s_waitcnt lgkmcnt(3)
	v_dot4c_i32_i8_e32 v163, v2, v11
	v_dot4c_i32_i8_e32 v163, v3, v7
	v_add_u32_e32 v2, 0x4148, v113
	s_waitcnt lgkmcnt(2)
	v_dot4c_i32_i8_e32 v163, v16, v12
	ds_read2_b32 v[2:3], v2 offset1:1
	v_pk_mul_f16 v162, v4, v166
	v_dot4c_i32_i8_e32 v163, v17, v8
	v_mov_b32_e32 v166, 0
	s_waitcnt lgkmcnt(2)
	v_dot4c_i32_i8_e32 v163, v18, v13
	s_waitcnt lgkmcnt(1)
	v_dot4c_i32_i8_e32 v166, v136, v10
	v_add_u32_e32 v16, 0x4150, v113
	v_add_u32_e32 v18, 0x4158, v113
	;; [unrolled: 1-line block ×3, first 2 shown]
	v_dot4c_i32_i8_e32 v163, v19, v9
	v_dot4c_i32_i8_e32 v166, v137, v6
	ds_read2_b32 v[16:17], v16 offset1:1
	ds_read2_b32 v[18:19], v18 offset1:1
	;; [unrolled: 1-line block ×3, first 2 shown]
	s_waitcnt lgkmcnt(3)
	v_dot4c_i32_i8_e32 v166, v2, v11
	v_add_u32_e32 v2, 0x61c8, v113
	v_dot4c_i32_i8_e32 v166, v3, v7
	ds_read2_b32 v[2:3], v2 offset1:1
	v_mov_b32_e32 v177, 0
	s_waitcnt lgkmcnt(3)
	v_dot4c_i32_i8_e32 v166, v16, v12
	s_waitcnt lgkmcnt(1)
	v_dot4c_i32_i8_e32 v177, v136, v10
	v_dot4c_i32_i8_e32 v166, v17, v8
	v_dot4c_i32_i8_e32 v177, v137, v6
	v_add_u32_e32 v6, 0x61d0, v113
	v_dot4c_i32_i8_e32 v166, v18, v13
	v_add_u32_e32 v10, 0x61d8, v113
	v_add_u32_e32 v18, 0x20e0, v113
	ds_read2_b32 v[16:17], v6 offset1:1
	ds_read2_b32 v[136:137], v10 offset1:1
	;; [unrolled: 1-line block ×3, first 2 shown]
	s_waitcnt lgkmcnt(3)
	v_dot4c_i32_i8_e32 v177, v2, v11
	v_dot4c_i32_i8_e32 v177, v3, v7
	s_waitcnt lgkmcnt(2)
	v_dot4c_i32_i8_e32 v177, v16, v12
	v_dot4c_i32_i8_e32 v177, v17, v8
	;; [unrolled: 1-line block ×3, first 2 shown]
	s_waitcnt lgkmcnt(1)
	v_dot4c_i32_i8_e32 v177, v136, v13
	ds_read_b128 v[10:13], v109 offset:96
	ds_read_b128 v[16:19], v109 offset:112
	v_pk_mul_f16 v148, v4, v148
	v_pk_mul_f16 v14, v4, v14
	;; [unrolled: 1-line block ×3, first 2 shown]
	v_mov_b32_e32 v4, 0
	s_waitcnt lgkmcnt(1)
	v_dot4c_i32_i8_e32 v4, v20, v10
	v_add_u32_e32 v2, 0x20e8, v113
	s_waitcnt lgkmcnt(0)
	v_dot4c_i32_i8_e32 v4, v21, v16
	ds_read2_b32 v[2:3], v2 offset1:1
	v_dot4c_i32_i8_e32 v4, v154, v11
	v_dot4c_i32_i8_e32 v4, v155, v17
	v_mov_b32_e32 v155, 0
	v_dot4c_i32_i8_e32 v155, v146, v10
	v_add_u32_e32 v6, 0x20f0, v113
	v_add_u32_e32 v8, 0x20f8, v113
	;; [unrolled: 1-line block ×3, first 2 shown]
	v_dot4c_i32_i8_e32 v177, v137, v9
	v_dot4c_i32_i8_e32 v155, v147, v16
	ds_read2_b32 v[6:7], v6 offset1:1
	ds_read2_b32 v[8:9], v8 offset1:1
	;; [unrolled: 1-line block ×3, first 2 shown]
	s_waitcnt lgkmcnt(3)
	v_dot4c_i32_i8_e32 v155, v2, v11
	v_dot4c_i32_i8_e32 v155, v3, v17
	s_waitcnt lgkmcnt(2)
	v_dot4c_i32_i8_e32 v155, v6, v12
	v_dot4c_i32_i8_e32 v155, v7, v18
	v_cvt_f32_f16_e32 v142, v174
	v_cvt_f32_f16_e32 v143, v160
	s_waitcnt lgkmcnt(1)
	v_dot4c_i32_i8_e32 v155, v8, v13
	v_cvt_f32_f16_sdwa v3, v160 dst_sel:DWORD dst_unused:UNUSED_PAD src0_sel:WORD_1
	v_cvt_f32_f16_sdwa v2, v174 dst_sel:DWORD dst_unused:UNUSED_PAD src0_sel:WORD_1
	v_dot4c_i32_i8_e32 v155, v9, v19
	v_cvt_f32_f16_e32 v7, v161
	v_cvt_f32_f16_e32 v6, v170
	v_cvt_f32_f16_sdwa v9, v161 dst_sel:DWORD dst_unused:UNUSED_PAD src0_sel:WORD_1
	v_cvt_f32_f16_sdwa v8, v170 dst_sel:DWORD dst_unused:UNUSED_PAD src0_sel:WORD_1
	v_cvt_f32_i32_e32 v137, v171
	v_cvt_f32_i32_e32 v136, v169
	v_dot4c_i32_i8_e32 v4, v156, v12
	v_dot4c_i32_i8_e32 v4, v157, v18
	;; [unrolled: 1-line block ×3, first 2 shown]
	v_pk_fma_f32 v[2:3], v[142:143], v[144:145], v[2:3]
	v_dot4c_i32_i8_e32 v4, v159, v19
	v_pk_mul_f16 v154, v5, v167
	v_pk_mul_f16 v146, v5, v149
	v_pk_add_f32 v[2:3], v[130:131], v[2:3]
	v_pk_fma_f32 v[6:7], v[6:7], v[136:137], v[8:9]
	v_cvt_f32_f16_e32 v9, v148
	v_cvt_f32_f16_e32 v8, v162
	v_cvt_f32_f16_sdwa v131, v148 dst_sel:DWORD dst_unused:UNUSED_PAD src0_sel:WORD_1
	v_cvt_f32_f16_sdwa v130, v162 dst_sel:DWORD dst_unused:UNUSED_PAD src0_sel:WORD_1
	v_cvt_f32_i32_e32 v137, v163
	v_cvt_f32_i32_e32 v136, v176
	v_cvt_f32_f16_e32 v143, v146
	v_cvt_f32_f16_e32 v142, v154
	v_cvt_f32_f16_sdwa v145, v146 dst_sel:DWORD dst_unused:UNUSED_PAD src0_sel:WORD_1
	v_cvt_f32_f16_sdwa v144, v154 dst_sel:DWORD dst_unused:UNUSED_PAD src0_sel:WORD_1
	v_cvt_f32_i32_e32 v147, v155
	v_cvt_f32_i32_e32 v146, v4
	v_pk_add_f32 v[2:3], v[2:3], v[6:7]
	v_pk_fma_f32 v[6:7], v[8:9], v[136:137], v[130:131]
	v_pk_add_f32 v[2:3], v[2:3], v[6:7]
	v_pk_fma_f32 v[6:7], v[142:143], v[146:147], v[144:145]
	v_pk_add_f32 v[130:131], v[2:3], v[6:7]
	v_add_u32_e32 v2, 0x4168, v113
	ds_read2_b32 v[2:3], v2 offset1:1
	v_mov_b32_e32 v136, 0
	s_waitcnt lgkmcnt(1)
	v_dot4c_i32_i8_e32 v136, v20, v10
	v_add_u32_e32 v4, 0x4170, v113
	v_add_u32_e32 v8, 0x4178, v113
	;; [unrolled: 1-line block ×3, first 2 shown]
	v_dot4c_i32_i8_e32 v136, v21, v16
	ds_read2_b32 v[6:7], v4 offset1:1
	ds_read2_b32 v[8:9], v8 offset1:1
	;; [unrolled: 1-line block ×3, first 2 shown]
	s_waitcnt lgkmcnt(3)
	v_dot4c_i32_i8_e32 v136, v2, v11
	v_add_u32_e32 v2, 0x61e8, v113
	v_dot4c_i32_i8_e32 v136, v3, v17
	ds_read2_b32 v[2:3], v2 offset1:1
	s_waitcnt lgkmcnt(3)
	v_dot4c_i32_i8_e32 v136, v6, v12
	v_add_u32_e32 v4, 0x61f0, v113
	v_dot4c_i32_i8_e32 v136, v7, v18
	ds_read2_b32 v[6:7], v4 offset1:1
	v_mov_b32_e32 v142, 0
	s_waitcnt lgkmcnt(3)
	v_dot4c_i32_i8_e32 v136, v8, v13
	s_waitcnt lgkmcnt(2)
	v_dot4c_i32_i8_e32 v142, v20, v10
	v_add_u32_e32 v4, 0x61f8, v113
	v_dot4c_i32_i8_e32 v136, v9, v19
	v_dot4c_i32_i8_e32 v142, v21, v16
	ds_read2_b32 v[8:9], v4 offset1:1
	s_waitcnt lgkmcnt(2)
	v_dot4c_i32_i8_e32 v142, v2, v11
	v_dot4c_i32_i8_e32 v142, v3, v17
	s_waitcnt lgkmcnt(1)
	v_dot4c_i32_i8_e32 v142, v6, v12
	v_dot4c_i32_i8_e32 v142, v7, v18
	;; [unrolled: 3-line block ×3, first 2 shown]
	v_cvt_f32_f16_e32 v7, v175
	v_cvt_f32_f16_e32 v6, v165
	v_cvt_f32_f16_sdwa v9, v175 dst_sel:DWORD dst_unused:UNUSED_PAD src0_sel:WORD_1
	v_cvt_f32_f16_sdwa v8, v165 dst_sel:DWORD dst_unused:UNUSED_PAD src0_sel:WORD_1
	v_cvt_f32_i32_e32 v11, v173
	v_cvt_f32_i32_e32 v10, v172
	v_cvt_f32_f16_e32 v138, v164
	v_cvt_f32_f16_e32 v139, v168
	v_cvt_f32_f16_sdwa v3, v168 dst_sel:DWORD dst_unused:UNUSED_PAD src0_sel:WORD_1
	v_cvt_f32_f16_sdwa v2, v164 dst_sel:DWORD dst_unused:UNUSED_PAD src0_sel:WORD_1
	v_pk_mul_f16 v137, v5, v15
	v_pk_mul_f16 v15, v5, v135
	v_pk_fma_f32 v[4:5], v[6:7], v[10:11], v[8:9]
	v_cvt_f32_f16_e32 v7, v134
	v_cvt_f32_f16_e32 v6, v14
	v_cvt_f32_f16_sdwa v9, v134 dst_sel:DWORD dst_unused:UNUSED_PAD src0_sel:WORD_1
	v_cvt_f32_f16_sdwa v8, v14 dst_sel:DWORD dst_unused:UNUSED_PAD src0_sel:WORD_1
	v_cvt_f32_i32_e32 v11, v177
	v_cvt_f32_i32_e32 v10, v166
	v_cvt_f32_f16_e32 v13, v15
	v_cvt_f32_f16_e32 v12, v137
	v_cvt_f32_f16_sdwa v15, v15 dst_sel:DWORD dst_unused:UNUSED_PAD src0_sel:WORD_1
	v_cvt_f32_f16_sdwa v14, v137 dst_sel:DWORD dst_unused:UNUSED_PAD src0_sel:WORD_1
	v_cvt_f32_i32_e32 v17, v142
	v_cvt_f32_i32_e32 v16, v136
	v_pk_fma_f32 v[2:3], v[138:139], v[140:141], v[2:3]
	v_pk_add_f32 v[2:3], v[132:133], v[2:3]
	v_pk_add_f32 v[2:3], v[2:3], v[4:5]
	v_pk_fma_f32 v[4:5], v[6:7], v[10:11], v[8:9]
	v_pk_add_f32 v[2:3], v[2:3], v[4:5]
	v_pk_fma_f32 v[4:5], v[12:13], v[16:17], v[14:15]
	v_pk_add_f32 v[132:133], v[2:3], v[4:5]
	s_cmp_ge_i32 s10, s9
	s_barrier
	s_cbranch_scc1 .LBB204_5
; %bb.13:                               ;   in Loop: Header=BB204_6 Depth=1
	v_add_u32_e32 v2, s18, v123
	v_cmp_gt_i32_e32 vcc, s12, v2
	s_and_b64 s[22:23], s[2:3], vcc
	s_and_saveexec_b64 s[4:5], s[22:23]
	s_cbranch_execz .LBB204_15
; %bb.14:                               ;   in Loop: Header=BB204_6 Depth=1
	v_add_u32_e32 v2, s18, v127
	v_mad_i64_i32 v[2:3], s[22:23], v2, 36, v[54:55]
	global_load_dword v2, v[2:3], off offset:4
	s_waitcnt vmcnt(0)
	ds_write_b32 v105, v2
.LBB204_15:                             ;   in Loop: Header=BB204_6 Depth=1
	s_or_b64 exec, exec, s[4:5]
	s_and_saveexec_b64 s[4:5], s[0:1]
	s_cbranch_execz .LBB204_4
; %bb.16:                               ;   in Loop: Header=BB204_6 Depth=1
	v_add3_u32 v2, v99, s18, 4
	v_cmp_gt_i32_e32 vcc, s12, v2
	s_and_b64 s[22:23], s[2:3], vcc
	s_and_b64 exec, exec, s[22:23]
	s_cbranch_execz .LBB204_4
; %bb.17:                               ;   in Loop: Header=BB204_6 Depth=1
	global_load_dword v2, v[56:57], off
	s_waitcnt vmcnt(0)
	ds_write_b32 v107, v2
	s_branch .LBB204_4
.LBB204_18:
	v_mov_b32_e32 v1, 0
	v_mov_b32_e32 v2, 0
	;; [unrolled: 1-line block ×3, first 2 shown]
	s_mul_i32 s0, s14, s11
	s_waitcnt vmcnt(0)
	v_cmp_gt_i32_e32 vcc, s0, v97
	s_and_saveexec_b64 s[0:1], vcc
	s_cbranch_execnz .LBB204_21
.LBB204_19:
	s_endpgm
.LBB204_20:
	v_cvt_f16_f32_e32 v5, v130
	v_cvt_f16_f32_e32 v2, v131
	;; [unrolled: 1-line block ×4, first 2 shown]
	s_mul_i32 s0, s14, s11
	v_cmp_gt_i32_e32 vcc, s0, v97
	s_and_saveexec_b64 s[0:1], vcc
	s_cbranch_execz .LBB204_19
.LBB204_21:
	v_and_b32_e32 v0, 0x3ff, v0
	v_add_u32_e32 v4, s15, v0
	v_mul_lo_u32 v0, v97, s13
	v_cmp_gt_u32_e32 vcc, s13, v4
	s_and_saveexec_b64 s[0:1], vcc
	s_cbranch_execz .LBB204_23
; %bb.22:
	v_add_u32_e32 v6, v0, v4
	v_mov_b32_e32 v7, 0
	v_lshlrev_b64 v[6:7], 1, v[6:7]
	v_mov_b32_e32 v8, s17
	v_add_co_u32_e32 v6, vcc, s16, v6
	v_addc_co_u32_e32 v7, vcc, v8, v7, vcc
	global_store_short v[6:7], v5, off
.LBB204_23:
	s_or_b64 exec, exec, s[0:1]
	v_add_u32_e32 v5, 32, v4
	v_cmp_gt_u32_e32 vcc, s13, v5
	s_and_saveexec_b64 s[0:1], vcc
	s_cbranch_execz .LBB204_25
; %bb.24:
	v_add_u32_e32 v6, v0, v5
	v_mov_b32_e32 v7, 0
	v_lshlrev_b64 v[6:7], 1, v[6:7]
	v_mov_b32_e32 v5, s17
	v_add_co_u32_e32 v6, vcc, s16, v6
	v_addc_co_u32_e32 v7, vcc, v5, v7, vcc
	global_store_short v[6:7], v2, off
.LBB204_25:
	s_or_b64 exec, exec, s[0:1]
	v_add_u32_e32 v2, 64, v4
	;; [unrolled: 14-line block ×3, first 2 shown]
	v_cmp_gt_u32_e32 vcc, s13, v1
	s_and_b64 exec, exec, vcc
	s_cbranch_execz .LBB204_19
; %bb.28:
	v_add_u32_e32 v0, v0, v1
	v_mov_b32_e32 v1, 0
	v_lshlrev_b64 v[0:1], 1, v[0:1]
	v_mov_b32_e32 v2, s17
	v_add_co_u32_e32 v0, vcc, s16, v0
	v_addc_co_u32_e32 v1, vcc, v2, v1, vcc
	global_store_short v[0:1], v3, off
	s_endpgm
	.section	.rodata,"a",@progbits
	.p2align	6, 0x0
	.amdhsa_kernel _ZL8moe_q5_1IN3c104HalfELb1EEvPKvS3_PT_PKiS7_S7_iiiiiii
		.amdhsa_group_segment_fixed_size 38656
		.amdhsa_private_segment_fixed_size 0
		.amdhsa_kernarg_size 76
		.amdhsa_user_sgpr_count 6
		.amdhsa_user_sgpr_private_segment_buffer 1
		.amdhsa_user_sgpr_dispatch_ptr 0
		.amdhsa_user_sgpr_queue_ptr 0
		.amdhsa_user_sgpr_kernarg_segment_ptr 1
		.amdhsa_user_sgpr_dispatch_id 0
		.amdhsa_user_sgpr_flat_scratch_init 0
		.amdhsa_user_sgpr_kernarg_preload_length 0
		.amdhsa_user_sgpr_kernarg_preload_offset 0
		.amdhsa_user_sgpr_private_segment_size 0
		.amdhsa_uses_dynamic_stack 0
		.amdhsa_system_sgpr_private_segment_wavefront_offset 0
		.amdhsa_system_sgpr_workgroup_id_x 1
		.amdhsa_system_sgpr_workgroup_id_y 1
		.amdhsa_system_sgpr_workgroup_id_z 0
		.amdhsa_system_sgpr_workgroup_info 0
		.amdhsa_system_vgpr_workitem_id 1
		.amdhsa_next_free_vgpr 178
		.amdhsa_next_free_sgpr 24
		.amdhsa_accum_offset 180
		.amdhsa_reserve_vcc 1
		.amdhsa_reserve_flat_scratch 0
		.amdhsa_float_round_mode_32 0
		.amdhsa_float_round_mode_16_64 0
		.amdhsa_float_denorm_mode_32 3
		.amdhsa_float_denorm_mode_16_64 3
		.amdhsa_dx10_clamp 1
		.amdhsa_ieee_mode 1
		.amdhsa_fp16_overflow 0
		.amdhsa_tg_split 0
		.amdhsa_exception_fp_ieee_invalid_op 0
		.amdhsa_exception_fp_denorm_src 0
		.amdhsa_exception_fp_ieee_div_zero 0
		.amdhsa_exception_fp_ieee_overflow 0
		.amdhsa_exception_fp_ieee_underflow 0
		.amdhsa_exception_fp_ieee_inexact 0
		.amdhsa_exception_int_div_zero 0
	.end_amdhsa_kernel
	.section	.text._ZL8moe_q5_1IN3c104HalfELb1EEvPKvS3_PT_PKiS7_S7_iiiiiii,"axG",@progbits,_ZL8moe_q5_1IN3c104HalfELb1EEvPKvS3_PT_PKiS7_S7_iiiiiii,comdat
.Lfunc_end204:
	.size	_ZL8moe_q5_1IN3c104HalfELb1EEvPKvS3_PT_PKiS7_S7_iiiiiii, .Lfunc_end204-_ZL8moe_q5_1IN3c104HalfELb1EEvPKvS3_PT_PKiS7_S7_iiiiiii
                                        ; -- End function
	.section	.AMDGPU.csdata,"",@progbits
; Kernel info:
; codeLenInByte = 11040
; NumSgprs: 28
; NumVgprs: 178
; NumAgprs: 0
; TotalNumVgprs: 178
; ScratchSize: 0
; MemoryBound: 0
; FloatMode: 240
; IeeeMode: 1
; LDSByteSize: 38656 bytes/workgroup (compile time only)
; SGPRBlocks: 3
; VGPRBlocks: 22
; NumSGPRsForWavesPerEU: 28
; NumVGPRsForWavesPerEU: 178
; AccumOffset: 180
; Occupancy: 1
; WaveLimiterHint : 1
; COMPUTE_PGM_RSRC2:SCRATCH_EN: 0
; COMPUTE_PGM_RSRC2:USER_SGPR: 6
; COMPUTE_PGM_RSRC2:TRAP_HANDLER: 0
; COMPUTE_PGM_RSRC2:TGID_X_EN: 1
; COMPUTE_PGM_RSRC2:TGID_Y_EN: 1
; COMPUTE_PGM_RSRC2:TGID_Z_EN: 0
; COMPUTE_PGM_RSRC2:TIDIG_COMP_CNT: 1
; COMPUTE_PGM_RSRC3_GFX90A:ACCUM_OFFSET: 44
; COMPUTE_PGM_RSRC3_GFX90A:TG_SPLIT: 0
	.section	.text._ZL8moe_q8_0IN3c104HalfELb0EEvPKvS3_PT_PKiS7_S7_iiiiiii,"axG",@progbits,_ZL8moe_q8_0IN3c104HalfELb0EEvPKvS3_PT_PKiS7_S7_iiiiiii,comdat
	.globl	_ZL8moe_q8_0IN3c104HalfELb0EEvPKvS3_PT_PKiS7_S7_iiiiiii ; -- Begin function _ZL8moe_q8_0IN3c104HalfELb0EEvPKvS3_PT_PKiS7_S7_iiiiiii
	.p2align	8
	.type	_ZL8moe_q8_0IN3c104HalfELb0EEvPKvS3_PT_PKiS7_S7_iiiiiii,@function
_ZL8moe_q8_0IN3c104HalfELb0EEvPKvS3_PT_PKiS7_S7_iiiiiii: ; @_ZL8moe_q8_0IN3c104HalfELb0EEvPKvS3_PT_PKiS7_S7_iiiiiii
; %bb.0:
	s_load_dwordx4 s[0:3], s[4:5], 0x18
	s_mov_b32 s8, s7
	s_mov_b32 s9, 0
	s_lshl_b64 s[10:11], s[8:9], 2
	s_waitcnt lgkmcnt(0)
	s_add_u32 s2, s2, s10
	s_addc_u32 s3, s3, s11
	s_load_dword s2, s[2:3], 0x0
	s_waitcnt lgkmcnt(0)
	s_cmpk_gt_u32 s2, 0xff
	s_cbranch_scc1 .LBB205_12
; %bb.1:
	s_load_dwordx2 s[10:11], s[4:5], 0x28
	s_lshl_b32 s3, s8, 3
	s_waitcnt lgkmcnt(0)
	s_load_dword s7, s[10:11], 0x0
	s_waitcnt lgkmcnt(0)
	s_cmp_gt_u32 s3, s7
	s_cbranch_scc1 .LBB205_12
; %bb.2:
	v_bfe_u32 v1, v0, 10, 10
	v_add_u32_e32 v2, s3, v1
	v_mov_b32_e32 v3, 0
	v_lshlrev_b64 v[4:5], 2, v[2:3]
	v_mov_b32_e32 v2, s1
	v_add_co_u32_e32 v4, vcc, s0, v4
	v_addc_co_u32_e32 v5, vcc, v2, v5, vcc
	global_load_dword v59, v[4:5], off
	s_load_dwordx2 s[14:15], s[4:5], 0x30
	s_load_dwordx2 s[12:13], s[4:5], 0x10
	s_load_dwordx4 s[8:11], s[4:5], 0x3c
	s_lshl_b32 s18, s6, 7
	s_mov_b32 s16, 0
	s_waitcnt lgkmcnt(0)
	s_cmp_lt_i32 s15, 32
	s_cbranch_scc1 .LBB205_11
; %bb.3:
	s_ashr_i32 s0, s15, 31
	s_lshr_b32 s0, s0, 27
	s_add_i32 s0, s15, s0
	s_ashr_i32 s19, s0, 5
	s_ashr_i32 s0, s9, 31
	s_lshr_b32 s0, s0, 27
	s_add_i32 s0, s9, s0
	v_and_b32_e32 v66, 0x3ff, v0
	s_ashr_i32 s9, s0, 5
	v_lshlrev_b32_e32 v2, 2, v66
	s_movk_i32 s0, 0x84
	v_and_b32_e32 v6, 28, v2
	v_mad_u32_u24 v68, v1, s0, v2
	v_lshlrev_b32_e32 v2, 3, v1
	v_lshrrev_b32_e32 v3, 2, v66
	v_add_u32_e32 v5, v3, v2
	v_add_u16_e32 v2, v3, v2
	s_load_dwordx4 s[4:7], s[4:5], 0x0
	v_and_b32_e32 v57, 3, v66
	v_lshrrev_b16_e32 v2, 1, v2
	s_mul_i32 s14, s2, s14
	v_and_b32_e32 v2, 0x1ffc, v2
	v_lshlrev_b32_e32 v3, 2, v57
	s_movk_i32 s2, 0x4200
	v_add3_u32 v62, v2, v3, s2
	v_add_u32_e32 v2, 64, v5
	v_mul_lo_u32 v55, s19, v5
	v_lshlrev_b32_e32 v63, 4, v5
	v_lshrrev_b32_e32 v5, 1, v2
	v_and_b32_e32 v5, 0x3ffc, v5
	v_lshlrev_b32_e32 v65, 4, v2
	v_and_b32_e32 v2, 31, v66
	v_lshlrev_b32_e32 v84, 7, v1
	v_add3_u32 v64, v5, v3, s2
	s_waitcnt lgkmcnt(0)
	v_mov_b32_e32 v3, s7
	v_add_co_u32_e32 v22, vcc, s6, v6
	v_lshl_or_b32 v2, v2, 2, v84
	v_lshrrev_b32_e32 v67, 3, v66
	v_addc_co_u32_e32 v23, vcc, 0, v3, vcc
	v_add_u32_e32 v85, 0x4a40, v2
	v_lshl_add_u32 v2, v1, 2, v66
	v_mov_b32_e32 v3, 0x4e40
	v_mul_lo_u32 v4, s19, v1
	v_lshl_add_u32 v86, v2, 2, v3
	v_lshlrev_b32_e32 v87, 4, v1
	v_lshlrev_b32_e32 v1, 2, v67
	v_lshlrev_b32_e32 v2, 4, v66
	v_add3_u32 v89, v2, v1, s2
	v_add_u32_e32 v1, 32, v66
	v_lshrrev_b32_e32 v2, 1, v1
	v_and_b32_e32 v2, 0xfc, v2
	v_lshlrev_b32_e32 v1, 4, v1
	v_add3_u32 v90, v1, v2, s2
	v_add_u32_e32 v1, 64, v66
	v_lshrrev_b32_e32 v2, 1, v1
	v_and_b32_e32 v2, 0xfc, v2
	v_lshlrev_b32_e32 v1, 4, v1
	s_abs_i32 s3, s11
	v_add3_u32 v91, v1, v2, s2
	v_cvt_f32_u32_e32 v2, s3
	v_add_u32_e32 v1, 0x60, v66
	v_lshrrev_b32_e32 v3, 1, v1
	v_and_b32_e32 v3, 0xfc, v3
	v_rcp_iflag_f32_e32 v2, v2
	v_lshlrev_b32_e32 v1, 4, v1
	v_add3_u32 v92, v1, v3, s2
	s_sub_i32 s2, 0, s3
	v_mul_f32_e32 v2, 0x4f7ffffe, v2
	v_cvt_u32_f32_e32 v2, v2
	s_waitcnt vmcnt(0)
	v_sub_u32_e32 v3, 0, v59
	v_max_i32_e32 v3, v59, v3
	v_xor_b32_e32 v1, s11, v59
	v_mul_lo_u32 v5, s2, v2
	v_mul_hi_u32 v5, v2, v5
	v_add_u32_e32 v2, v2, v5
	v_mul_hi_u32 v2, v3, v2
	v_mul_lo_u32 v5, v2, s3
	v_sub_u32_e32 v3, v3, v5
	v_add_u32_e32 v5, 1, v2
	v_cmp_le_u32_e32 vcc, s3, v3
	v_cndmask_b32_e32 v2, v2, v5, vcc
	v_subrev_u32_e32 v5, s3, v3
	v_cndmask_b32_e32 v3, v3, v5, vcc
	v_add_u32_e32 v5, 1, v2
	v_cmp_le_u32_e32 vcc, s3, v3
	s_mul_i32 s17, s19, s18
	v_ashrrev_i32_e32 v1, 31, v1
	v_cndmask_b32_e32 v2, v2, v5, vcc
	v_xor_b32_e32 v2, v2, v1
	s_mul_hi_i32 s21, s17, 34
	s_mul_i32 s22, s17, 34
	v_sub_u32_e32 v1, v2, v1
	v_mov_b32_e32 v2, s22
	v_mov_b32_e32 v3, s21
	s_lshl_b32 s0, s19, 3
	v_mad_u64_u32 v[2:3], s[22:23], v67, 34, v[2:3]
	v_add_u32_e32 v7, s0, v4
	v_mad_u64_u32 v[4:5], s[22:23], v4, 34, v[2:3]
	v_cmp_gt_i32_e64 s[2:3], s8, v1
	v_mul_lo_u32 v93, v1, s9
	v_add_co_u32_e32 v1, vcc, v4, v6
	v_addc_co_u32_e32 v4, vcc, 0, v5, vcc
	v_mov_b32_e32 v53, s5
	v_add_co_u32_e32 v1, vcc, s4, v1
	v_addc_co_u32_e32 v4, vcc, v4, v53, vcc
	v_add_co_u32_e32 v24, vcc, 2, v1
	v_addc_co_u32_e32 v1, vcc, 0, v4, vcc
	v_mad_u64_u32 v[4:5], s[22:23], v7, 34, v[2:3]
	v_add_co_u32_e32 v4, vcc, v4, v6
	v_addc_co_u32_e32 v5, vcc, 0, v5, vcc
	v_add_co_u32_e32 v4, vcc, s4, v4
	v_addc_co_u32_e32 v5, vcc, v5, v53, vcc
	v_add_u32_e32 v8, s0, v7
	v_add_co_u32_e32 v26, vcc, 2, v4
	v_addc_co_u32_e32 v25, vcc, 0, v5, vcc
	v_mad_u64_u32 v[4:5], s[22:23], v8, 34, v[2:3]
	v_add_co_u32_e32 v4, vcc, v4, v6
	v_addc_co_u32_e32 v5, vcc, 0, v5, vcc
	v_add_co_u32_e32 v4, vcc, s4, v4
	v_addc_co_u32_e32 v5, vcc, v5, v53, vcc
	v_add_u32_e32 v9, s0, v8
	;; [unrolled: 8-line block ×14, first 2 shown]
	v_add_co_u32_e32 v52, vcc, 2, v4
	v_addc_co_u32_e32 v51, vcc, 0, v5, vcc
	v_mad_u64_u32 v[2:3], s[22:23], v21, 34, v[2:3]
	v_add_co_u32_e32 v2, vcc, v2, v6
	v_addc_co_u32_e32 v3, vcc, 0, v3, vcc
	v_add_co_u32_e32 v2, vcc, s4, v2
	v_addc_co_u32_e32 v3, vcc, v3, v53, vcc
	;; [unrolled: 2-line block ×3, first 2 shown]
	v_mad_u64_u32 v[2:3], s[22:23], v55, 34, 0
	v_mad_i64_i32 v[2:3], s[22:23], s17, 34, v[2:3]
	v_mad_u64_u32 v[2:3], s[22:23], v57, 34, v[2:3]
	v_lshl_add_u32 v58, s19, 6, v55
	v_mov_b32_e32 v4, s5
	v_add_co_u32_e32 v56, vcc, s4, v2
	v_addc_co_u32_e32 v55, vcc, v4, v3, vcc
	v_mad_u64_u32 v[2:3], s[22:23], v58, 34, 0
	v_mad_i64_i32 v[2:3], s[22:23], s17, 34, v[2:3]
	v_mad_u64_u32 v[2:3], s[22:23], v57, 34, v[2:3]
	s_mov_b32 s17, s16
	v_add_co_u32_e32 v58, vcc, s4, v2
	v_pk_mov_b32 v[60:61], s[16:17], s[16:17] op_sel:[0,1]
	s_ashr_i32 s20, s14, 31
	v_add_u32_e32 v69, 0x420, v68
	v_add_u32_e32 v70, 0x840, v68
	;; [unrolled: 1-line block ×15, first 2 shown]
	v_cmp_gt_u32_e64 s[0:1], 4, v66
	v_mul_u32_u24_e32 v88, 0x84, v66
	v_addc_co_u32_e32 v57, vcc, v4, v3, vcc
	v_add_u32_e32 v94, v62, v63
	v_add_u32_e32 v95, v64, v65
	s_mov_b32 s17, 0
	v_pk_mov_b32 v[62:63], v[60:61], v[60:61] op_sel:[0,1]
	s_branch .LBB205_6
.LBB205_4:                              ;   in Loop: Header=BB205_6 Depth=1
	s_or_b64 exec, exec, s[4:5]
	s_waitcnt lgkmcnt(0)
	s_barrier
	ds_read_b128 v[2:5], v87 offset:20032
	ds_read2_b32 v[64:65], v88 offset1:1
	ds_read_b128 v[18:21], v84 offset:19008
	ds_read_b128 v[14:17], v84 offset:19024
	;; [unrolled: 1-line block ×4, first 2 shown]
	ds_read2_b32 v[98:99], v88 offset0:2 offset1:3
	v_mov_b32_e32 v96, 0
	s_waitcnt lgkmcnt(4)
	v_dot4c_i32_i8_e32 v96, v64, v18
	v_dot4c_i32_i8_e32 v96, v65, v19
	ds_read2_b32 v[64:65], v88 offset0:4 offset1:5
	ds_read2_b32 v[100:101], v88 offset0:6 offset1:7
	;; [unrolled: 1-line block ×3, first 2 shown]
	s_waitcnt lgkmcnt(3)
	v_dot4c_i32_i8_e32 v96, v98, v20
	v_dot4c_i32_i8_e32 v96, v99, v21
	s_waitcnt lgkmcnt(2)
	v_dot4c_i32_i8_e32 v96, v64, v14
	v_add_u32_e32 v64, 0x1080, v88
	ds_read2_b32 v[98:99], v64 offset1:1
	v_mov_b32_e32 v97, 0
	v_dot4c_i32_i8_e32 v96, v65, v15
	ds_read2_b32 v[64:65], v92 offset0:2 offset1:3
	s_waitcnt lgkmcnt(3)
	v_dot4c_i32_i8_e32 v96, v100, v16
	s_waitcnt lgkmcnt(1)
	v_dot4c_i32_i8_e32 v97, v98, v18
	v_add_u32_e32 v98, 0x1088, v88
	v_dot4c_i32_i8_e32 v97, v99, v19
	ds_read2_b32 v[98:99], v98 offset1:1
	v_add_u32_e32 v100, 0x1090, v88
	v_add_u32_e32 v104, 0x1098, v88
	v_add_u32_e32 v106, 0x2100, v88
	v_dot4c_i32_i8_e32 v96, v101, v17
	ds_read2_b32 v[100:101], v100 offset1:1
	ds_read2_b32 v[104:105], v104 offset1:1
	;; [unrolled: 1-line block ×3, first 2 shown]
	s_waitcnt lgkmcnt(3)
	v_dot4c_i32_i8_e32 v97, v98, v20
	v_dot4c_i32_i8_e32 v97, v99, v21
	s_waitcnt lgkmcnt(2)
	v_dot4c_i32_i8_e32 v97, v100, v14
	v_dot4c_i32_i8_e32 v97, v101, v15
	v_mov_b32_e32 v112, 0
	s_waitcnt lgkmcnt(1)
	v_dot4c_i32_i8_e32 v97, v104, v16
	s_waitcnt lgkmcnt(0)
	v_dot4c_i32_i8_e32 v112, v106, v18
	v_add_u32_e32 v98, 0x2108, v88
	v_add_u32_e32 v100, 0x2110, v88
	;; [unrolled: 1-line block ×4, first 2 shown]
	v_dot4c_i32_i8_e32 v97, v105, v17
	v_dot4c_i32_i8_e32 v112, v107, v19
	ds_read2_b32 v[98:99], v98 offset1:1
	ds_read2_b32 v[100:101], v100 offset1:1
	;; [unrolled: 1-line block ×4, first 2 shown]
	v_mov_b32_e32 v113, 0
	v_mov_b32_e32 v114, 0
	v_dot4c_i32_i8_e32 v114, v102, v10
	s_waitcnt lgkmcnt(3)
	v_dot4c_i32_i8_e32 v112, v98, v20
	s_waitcnt lgkmcnt(0)
	v_dot4c_i32_i8_e32 v113, v106, v18
	v_add_u32_e32 v18, 0x3188, v88
	v_dot4c_i32_i8_e32 v112, v99, v21
	v_dot4c_i32_i8_e32 v113, v107, v19
	ds_read2_b32 v[18:19], v18 offset1:1
	v_dot4c_i32_i8_e32 v112, v100, v14
	v_dot4c_i32_i8_e32 v112, v101, v15
	;; [unrolled: 1-line block ×3, first 2 shown]
	v_add_u32_e32 v98, 0x3190, v88
	v_add_u32_e32 v100, 0x3198, v88
	;; [unrolled: 1-line block ×3, first 2 shown]
	v_dot4c_i32_i8_e32 v112, v105, v17
	ds_read2_b32 v[98:99], v98 offset1:1
	ds_read2_b32 v[100:101], v100 offset1:1
	;; [unrolled: 1-line block ×3, first 2 shown]
	s_waitcnt lgkmcnt(3)
	v_dot4c_i32_i8_e32 v113, v18, v20
	v_dot4c_i32_i8_e32 v113, v19, v21
	s_waitcnt lgkmcnt(2)
	v_dot4c_i32_i8_e32 v113, v98, v14
	v_dot4c_i32_i8_e32 v113, v99, v15
	ds_read2_b32 v[14:15], v88 offset0:10 offset1:11
	s_waitcnt lgkmcnt(2)
	v_dot4c_i32_i8_e32 v113, v100, v16
	v_dot4c_i32_i8_e32 v113, v101, v17
	;; [unrolled: 1-line block ×3, first 2 shown]
	ds_read2_b32 v[16:17], v88 offset0:12 offset1:13
	ds_read2_b32 v[18:19], v88 offset0:14 offset1:15
	;; [unrolled: 1-line block ×3, first 2 shown]
	s_waitcnt lgkmcnt(3)
	v_dot4c_i32_i8_e32 v114, v14, v12
	v_add_u32_e32 v14, 0x10a8, v88
	v_dot4c_i32_i8_e32 v114, v15, v13
	ds_read2_b32 v[14:15], v14 offset1:1
	s_waitcnt lgkmcnt(3)
	v_dot4c_i32_i8_e32 v114, v16, v6
	v_dot4c_i32_i8_e32 v114, v17, v7
	v_mov_b32_e32 v115, 0
	s_waitcnt lgkmcnt(2)
	v_dot4c_i32_i8_e32 v114, v18, v8
	v_dot4c_i32_i8_e32 v115, v104, v10
	v_add_u32_e32 v16, 0x10b0, v88
	v_add_u32_e32 v18, 0x10b8, v88
	;; [unrolled: 1-line block ×3, first 2 shown]
	v_dot4c_i32_i8_e32 v114, v19, v9
	v_dot4c_i32_i8_e32 v115, v105, v11
	ds_read2_b32 v[16:17], v16 offset1:1
	ds_read2_b32 v[18:19], v18 offset1:1
	;; [unrolled: 1-line block ×3, first 2 shown]
	s_waitcnt lgkmcnt(3)
	v_dot4c_i32_i8_e32 v115, v14, v12
	v_dot4c_i32_i8_e32 v115, v15, v13
	s_waitcnt lgkmcnt(2)
	v_dot4c_i32_i8_e32 v115, v16, v6
	v_dot4c_i32_i8_e32 v115, v17, v7
	v_mov_b32_e32 v116, 0
	s_waitcnt lgkmcnt(1)
	v_dot4c_i32_i8_e32 v115, v18, v8
	s_waitcnt lgkmcnt(0)
	v_dot4c_i32_i8_e32 v116, v98, v10
	v_add_u32_e32 v14, 0x2128, v88
	v_add_u32_e32 v16, 0x2130, v88
	;; [unrolled: 1-line block ×4, first 2 shown]
	v_dot4c_i32_i8_e32 v115, v19, v9
	v_dot4c_i32_i8_e32 v116, v99, v11
	ds_read2_b32 v[14:15], v14 offset1:1
	ds_read2_b32 v[16:17], v16 offset1:1
	;; [unrolled: 1-line block ×4, first 2 shown]
	v_mov_b32_e32 v117, 0
	v_mov_b32_e32 v118, 0
	;; [unrolled: 1-line block ×3, first 2 shown]
	s_waitcnt lgkmcnt(3)
	v_dot4c_i32_i8_e32 v116, v14, v12
	s_waitcnt lgkmcnt(0)
	v_dot4c_i32_i8_e32 v117, v98, v10
	v_add_u32_e32 v10, 0x31a8, v88
	v_dot4c_i32_i8_e32 v116, v15, v13
	v_dot4c_i32_i8_e32 v117, v99, v11
	ds_read2_b32 v[10:11], v10 offset1:1
	v_dot4c_i32_i8_e32 v116, v16, v6
	v_dot4c_i32_i8_e32 v116, v17, v7
	;; [unrolled: 1-line block ×3, first 2 shown]
	v_add_u32_e32 v14, 0x31b0, v88
	v_add_u32_e32 v16, 0x31b8, v88
	;; [unrolled: 1-line block ×3, first 2 shown]
	v_dot4c_i32_i8_e32 v116, v19, v9
	ds_read2_b32 v[14:15], v14 offset1:1
	ds_read2_b32 v[16:17], v16 offset1:1
	;; [unrolled: 1-line block ×3, first 2 shown]
	s_waitcnt lgkmcnt(3)
	v_dot4c_i32_i8_e32 v117, v10, v12
	v_dot4c_i32_i8_e32 v117, v11, v13
	s_waitcnt lgkmcnt(2)
	v_dot4c_i32_i8_e32 v117, v14, v6
	v_dot4c_i32_i8_e32 v117, v15, v7
	;; [unrolled: 3-line block ×3, first 2 shown]
	ds_read_b128 v[8:11], v84 offset:19072
	ds_read_b128 v[12:15], v84 offset:19088
	ds_read2_b32 v[6:7], v91 offset1:1
	ds_read2_b32 v[16:17], v90 offset0:2 offset1:3
	ds_read2_b32 v[98:99], v90 offset1:1
	ds_read2_b32 v[100:101], v89 offset0:2 offset1:3
	ds_read2_b32 v[102:103], v88 offset0:18 offset1:19
	s_waitcnt lgkmcnt(6)
	v_dot4c_i32_i8_e32 v118, v20, v8
	v_dot4c_i32_i8_e32 v118, v21, v9
	ds_read2_b32 v[20:21], v88 offset0:20 offset1:21
	ds_read2_b32 v[104:105], v88 offset0:22 offset1:23
	;; [unrolled: 1-line block ×3, first 2 shown]
	v_dot4c_i32_i8_e32 v119, v18, v8
	s_waitcnt lgkmcnt(3)
	v_dot4c_i32_i8_e32 v118, v102, v10
	v_add_u32_e32 v18, 0x10c8, v88
	v_dot4c_i32_i8_e32 v118, v103, v11
	v_dot4c_i32_i8_e32 v119, v19, v9
	ds_read2_b32 v[18:19], v18 offset1:1
	s_waitcnt lgkmcnt(3)
	v_dot4c_i32_i8_e32 v118, v20, v12
	v_dot4c_i32_i8_e32 v118, v21, v13
	s_waitcnt lgkmcnt(2)
	v_dot4c_i32_i8_e32 v118, v104, v14
	v_add_u32_e32 v20, 0x10d0, v88
	v_add_u32_e32 v102, 0x10d8, v88
	;; [unrolled: 1-line block ×3, first 2 shown]
	v_dot4c_i32_i8_e32 v118, v105, v15
	ds_read2_b32 v[20:21], v20 offset1:1
	ds_read2_b32 v[102:103], v102 offset1:1
	;; [unrolled: 1-line block ×3, first 2 shown]
	s_waitcnt lgkmcnt(3)
	v_dot4c_i32_i8_e32 v119, v18, v10
	v_dot4c_i32_i8_e32 v119, v19, v11
	s_waitcnt lgkmcnt(2)
	v_dot4c_i32_i8_e32 v119, v20, v12
	v_dot4c_i32_i8_e32 v119, v21, v13
	v_mov_b32_e32 v120, 0
	s_waitcnt lgkmcnt(1)
	v_dot4c_i32_i8_e32 v119, v102, v14
	s_waitcnt lgkmcnt(0)
	v_dot4c_i32_i8_e32 v120, v104, v8
	v_add_u32_e32 v102, 0x2148, v88
	v_add_u32_e32 v104, 0x2150, v88
	;; [unrolled: 1-line block ×4, first 2 shown]
	v_dot4c_i32_i8_e32 v119, v103, v15
	ds_read2_b32 v[18:19], v92 offset1:1
	ds_read2_b32 v[20:21], v91 offset0:2 offset1:3
	v_dot4c_i32_i8_e32 v120, v105, v9
	ds_read2_b32 v[102:103], v102 offset1:1
	ds_read2_b32 v[104:105], v104 offset1:1
	;; [unrolled: 1-line block ×4, first 2 shown]
	v_mov_b32_e32 v121, 0
	v_mov_b32_e32 v122, 0
	;; [unrolled: 1-line block ×3, first 2 shown]
	s_waitcnt lgkmcnt(3)
	v_dot4c_i32_i8_e32 v120, v102, v10
	s_waitcnt lgkmcnt(0)
	v_dot4c_i32_i8_e32 v121, v110, v8
	v_add_u32_e32 v8, 0x31c8, v88
	v_dot4c_i32_i8_e32 v120, v103, v11
	v_dot4c_i32_i8_e32 v121, v111, v9
	ds_read2_b32 v[8:9], v8 offset1:1
	v_dot4c_i32_i8_e32 v120, v104, v12
	v_dot4c_i32_i8_e32 v120, v105, v13
	;; [unrolled: 1-line block ×3, first 2 shown]
	v_add_u32_e32 v102, 0x31d0, v88
	v_add_u32_e32 v104, 0x31d8, v88
	;; [unrolled: 1-line block ×3, first 2 shown]
	v_dot4c_i32_i8_e32 v120, v109, v15
	ds_read2_b32 v[102:103], v102 offset1:1
	ds_read2_b32 v[104:105], v104 offset1:1
	;; [unrolled: 1-line block ×3, first 2 shown]
	s_waitcnt lgkmcnt(3)
	v_dot4c_i32_i8_e32 v121, v8, v10
	v_dot4c_i32_i8_e32 v121, v9, v11
	ds_read_b128 v[8:11], v84 offset:19104
	s_waitcnt lgkmcnt(3)
	v_dot4c_i32_i8_e32 v121, v102, v12
	v_dot4c_i32_i8_e32 v121, v103, v13
	ds_read2_b32 v[102:103], v88 offset0:26 offset1:27
	s_waitcnt lgkmcnt(3)
	v_dot4c_i32_i8_e32 v121, v104, v14
	v_dot4c_i32_i8_e32 v121, v105, v15
	ds_read_b128 v[12:15], v84 offset:19120
	s_waitcnt lgkmcnt(2)
	v_dot4c_i32_i8_e32 v122, v106, v8
	v_dot4c_i32_i8_e32 v122, v107, v9
	ds_read2_b32 v[104:105], v88 offset0:28 offset1:29
	ds_read2_b32 v[106:107], v89 offset1:1
	ds_read2_b32 v[110:111], v88 offset0:30 offset1:31
	s_waitcnt lgkmcnt(4)
	v_dot4c_i32_i8_e32 v122, v102, v10
	v_add_u32_e32 v102, 0x10e8, v88
	v_dot4c_i32_i8_e32 v122, v103, v11
	ds_read2_b32 v[102:103], v102 offset1:1
	s_waitcnt lgkmcnt(3)
	v_dot4c_i32_i8_e32 v122, v104, v12
	v_dot4c_i32_i8_e32 v122, v105, v13
	s_waitcnt lgkmcnt(1)
	v_dot4c_i32_i8_e32 v122, v110, v14
	v_dot4c_i32_i8_e32 v123, v108, v8
	v_add_u32_e32 v104, 0x10f0, v88
	v_add_u32_e32 v108, 0x10f8, v88
	;; [unrolled: 1-line block ×3, first 2 shown]
	v_dot4c_i32_i8_e32 v122, v111, v15
	v_dot4c_i32_i8_e32 v123, v109, v9
	ds_read2_b32 v[104:105], v104 offset1:1
	ds_read2_b32 v[108:109], v108 offset1:1
	;; [unrolled: 1-line block ×3, first 2 shown]
	s_waitcnt lgkmcnt(3)
	v_dot4c_i32_i8_e32 v123, v102, v10
	v_dot4c_i32_i8_e32 v123, v103, v11
	s_waitcnt lgkmcnt(2)
	v_dot4c_i32_i8_e32 v123, v104, v12
	v_cvt_f32_i32_e32 v97, v97
	v_cvt_f32_i32_e32 v96, v96
	v_dot4c_i32_i8_e32 v123, v105, v13
	v_cvt_f32_i32_e32 v105, v115
	v_cvt_f32_i32_e32 v104, v114
	v_mov_b32_e32 v102, v106
	v_mov_b32_e32 v103, v98
	v_pk_mul_f32 v[102:103], v[2:3], v[102:103] op_sel_hi:[0,1]
	v_mov_b32_e32 v98, v107
	v_pk_fma_f32 v[60:61], v[102:103], v[96:97], v[60:61]
	v_pk_mul_f32 v[96:97], v[2:3], v[98:99] op_sel:[1,0]
	v_pk_fma_f32 v[60:61], v[96:97], v[104:105], v[60:61]
	v_cvt_f32_i32_e32 v97, v119
	v_cvt_f32_i32_e32 v96, v118
	s_waitcnt lgkmcnt(1)
	v_dot4c_i32_i8_e32 v123, v108, v14
	v_mov_b32_e32 v98, v100
	v_mov_b32_e32 v99, v16
	v_dot4c_i32_i8_e32 v123, v109, v15
	v_pk_mul_f32 v[98:99], v[4:5], v[98:99] op_sel_hi:[0,1]
	v_pk_fma_f32 v[60:61], v[98:99], v[96:97], v[60:61]
	v_cvt_f32_i32_e32 v96, v122
	v_cvt_f32_i32_e32 v97, v123
	v_mov_b32_e32 v98, v5
	v_mov_b32_e32 v16, v101
	v_pk_mul_f32 v[16:17], v[98:99], v[16:17] op_sel_hi:[0,1]
	v_add_u32_e32 v5, 0x2168, v88
	v_pk_fma_f32 v[60:61], v[16:17], v[96:97], v[60:61]
	ds_read2_b32 v[16:17], v5 offset1:1
	v_mov_b32_e32 v99, 0
	s_waitcnt lgkmcnt(1)
	v_dot4c_i32_i8_e32 v99, v110, v8
	v_add_u32_e32 v96, 0x2170, v88
	v_add_u32_e32 v100, 0x2178, v88
	v_dot4c_i32_i8_e32 v99, v111, v9
	v_add_u32_e32 v5, 0x31e0, v88
	ds_read2_b32 v[96:97], v96 offset1:1
	ds_read2_b32 v[100:101], v100 offset1:1
	;; [unrolled: 1-line block ×3, first 2 shown]
	s_waitcnt lgkmcnt(3)
	v_dot4c_i32_i8_e32 v99, v16, v10
	v_dot4c_i32_i8_e32 v99, v17, v11
	s_waitcnt lgkmcnt(2)
	v_dot4c_i32_i8_e32 v99, v96, v12
	v_dot4c_i32_i8_e32 v99, v97, v13
	s_waitcnt lgkmcnt(1)
	v_dot4c_i32_i8_e32 v99, v100, v14
	v_mov_b32_e32 v100, 0
	s_waitcnt lgkmcnt(0)
	v_dot4c_i32_i8_e32 v100, v102, v8
	v_add_u32_e32 v5, 0x31e8, v88
	v_dot4c_i32_i8_e32 v100, v103, v9
	ds_read2_b32 v[8:9], v5 offset1:1
	v_add_u32_e32 v5, 0x31f0, v88
	ds_read2_b32 v[16:17], v5 offset1:1
	v_add_u32_e32 v5, 0x31f8, v88
	ds_read2_b32 v[96:97], v5 offset1:1
	s_waitcnt lgkmcnt(2)
	v_dot4c_i32_i8_e32 v100, v8, v10
	v_dot4c_i32_i8_e32 v100, v9, v11
	s_waitcnt lgkmcnt(1)
	v_dot4c_i32_i8_e32 v100, v16, v12
	v_cvt_f32_i32_e32 v11, v113
	v_cvt_f32_i32_e32 v10, v112
	v_dot4c_i32_i8_e32 v100, v17, v13
	v_cvt_f32_i32_e32 v13, v117
	v_cvt_f32_i32_e32 v12, v116
	v_mov_b32_e32 v8, v6
	v_mov_b32_e32 v9, v18
	v_pk_mul_f32 v[8:9], v[2:3], v[8:9] op_sel_hi:[0,1]
	v_mov_b32_e32 v18, v7
	s_waitcnt lgkmcnt(0)
	v_dot4c_i32_i8_e32 v100, v96, v14
	v_pk_fma_f32 v[8:9], v[8:9], v[10:11], v[62:63]
	v_pk_mul_f32 v[2:3], v[2:3], v[18:19] op_sel:[1,0]
	v_dot4c_i32_i8_e32 v99, v101, v15
	v_dot4c_i32_i8_e32 v100, v97, v15
	v_pk_fma_f32 v[2:3], v[2:3], v[12:13], v[8:9]
	v_mov_b32_e32 v6, v20
	v_mov_b32_e32 v7, v64
	v_cvt_f32_i32_e32 v9, v121
	v_cvt_f32_i32_e32 v8, v120
	v_pk_mul_f32 v[4:5], v[4:5], v[6:7] op_sel_hi:[0,1]
	v_cvt_f32_i32_e32 v7, v100
	v_cvt_f32_i32_e32 v6, v99
	v_mov_b32_e32 v64, v21
	v_pk_fma_f32 v[2:3], v[4:5], v[8:9], v[2:3]
	v_pk_mul_f32 v[4:5], v[98:99], v[64:65] op_sel_hi:[0,1]
	v_pk_fma_f32 v[62:63], v[4:5], v[6:7], v[2:3]
	s_barrier
.LBB205_5:                              ;   in Loop: Header=BB205_6 Depth=1
	v_add_co_u32_e32 v24, vcc, 0x88, v24
	v_addc_co_u32_e32 v1, vcc, 0, v1, vcc
	v_add_co_u32_e32 v26, vcc, 0x88, v26
	v_addc_co_u32_e32 v25, vcc, 0, v25, vcc
	;; [unrolled: 2-line block ×17, first 2 shown]
	s_add_i32 s17, s17, 4
	s_addk_i32 s16, 0x80
	v_add_co_u32_e32 v58, vcc, 0x88, v58
	v_add_u32_e32 v66, 4, v66
	v_add_u32_e32 v67, 4, v67
	s_cmp_ge_i32 s17, s19
	v_addc_co_u32_e32 v57, vcc, 0, v57, vcc
	s_cbranch_scc1 .LBB205_13
.LBB205_6:                              ; =>This Inner Loop Header: Depth=1
	v_mov_b32_e32 v6, s20
	v_add_co_u32_e32 v2, vcc, s14, v24
	v_addc_co_u32_e32 v3, vcc, v1, v6, vcc
	global_load_dword v7, v[2:3], off
	v_add_co_u32_e32 v2, vcc, s14, v26
	v_addc_co_u32_e32 v3, vcc, v25, v6, vcc
	global_load_dword v8, v[2:3], off
	;; [unrolled: 3-line block ×15, first 2 shown]
	v_add_co_u32_e32 v2, vcc, s14, v54
	v_addc_co_u32_e32 v3, vcc, v53, v6, vcc
	v_add_co_u32_e32 v4, vcc, s14, v56
	v_addc_co_u32_e32 v5, vcc, v55, v6, vcc
	global_load_ushort v64, v[4:5], off
	v_add_co_u32_e32 v4, vcc, s14, v58
	v_addc_co_u32_e32 v5, vcc, v57, v6, vcc
	global_load_ushort v6, v[4:5], off
	global_load_dword v65, v[2:3], off
	s_cmp_lt_i32 s16, s15
	s_waitcnt vmcnt(17)
	ds_write_b32 v68, v7
	s_waitcnt vmcnt(16)
	ds_write_b32 v69, v8
	;; [unrolled: 2-line block ×15, first 2 shown]
	s_waitcnt vmcnt(2)
	v_cvt_f32_f16_e32 v2, v64
	s_waitcnt vmcnt(0)
	ds_write_b32 v83, v65
	ds_write_b32 v94, v2
	v_cvt_f32_f16_e32 v3, v6
	ds_write_b32 v95, v3
	s_cbranch_scc0 .LBB205_5
; %bb.7:                                ;   in Loop: Header=BB205_6 Depth=1
	v_cmp_gt_i32_e32 vcc, s9, v67
	s_and_b64 s[22:23], s[2:3], vcc
	s_and_saveexec_b64 s[4:5], s[22:23]
	s_cbranch_execz .LBB205_9
; %bb.8:                                ;   in Loop: Header=BB205_6 Depth=1
	v_add_u32_e32 v2, v93, v67
	v_mad_i64_i32 v[2:3], s[22:23], v2, 36, v[22:23]
	global_load_dword v2, v[2:3], off offset:4
	s_waitcnt vmcnt(0)
	ds_write_b32 v85, v2
.LBB205_9:                              ;   in Loop: Header=BB205_6 Depth=1
	s_or_b64 exec, exec, s[4:5]
	v_cmp_gt_i32_e32 vcc, s9, v66
	s_and_b64 s[4:5], s[2:3], vcc
	s_and_b64 s[22:23], s[0:1], s[4:5]
	s_and_saveexec_b64 s[4:5], s[22:23]
	s_cbranch_execz .LBB205_4
; %bb.10:                               ;   in Loop: Header=BB205_6 Depth=1
	v_add_u32_e32 v2, v93, v66
	v_mad_i64_i32 v[2:3], s[22:23], v2, 36, s[6:7]
	global_load_dword v2, v[2:3], off
	s_waitcnt vmcnt(0)
	v_cvt_f32_f16_e32 v2, v2
	ds_write_b32 v86, v2
	s_branch .LBB205_4
.LBB205_11:
	v_mov_b32_e32 v2, 0
	s_mul_i32 s0, s11, s8
	s_waitcnt vmcnt(0)
	v_cmp_gt_i32_e32 vcc, s0, v59
	s_and_saveexec_b64 s[0:1], vcc
	s_cbranch_execnz .LBB205_14
.LBB205_12:
	s_endpgm
.LBB205_13:
	v_cvt_f16_f32_e32 v1, v61
	v_cvt_f16_f32_e32 v2, v60
	;; [unrolled: 1-line block ×4, first 2 shown]
	v_pack_b32_f16 v2, v2, v1
	v_pack_b32_f16 v3, v4, v3
	s_mul_i32 s0, s11, s8
	v_cmp_gt_i32_e32 vcc, s0, v59
	s_and_saveexec_b64 s[0:1], vcc
	s_cbranch_execz .LBB205_12
.LBB205_14:
	v_and_b32_e32 v0, 0x3ff, v0
	v_add_u32_e32 v1, s18, v0
	v_mul_lo_u32 v0, v59, s10
	v_cmp_gt_u32_e32 vcc, s10, v1
	s_and_saveexec_b64 s[0:1], vcc
	s_cbranch_execz .LBB205_16
; %bb.15:
	v_add_u32_e32 v4, v0, v1
	v_mov_b32_e32 v5, 0
	v_lshlrev_b64 v[4:5], 1, v[4:5]
	v_mov_b32_e32 v6, s13
	v_add_co_u32_e32 v4, vcc, s12, v4
	v_addc_co_u32_e32 v5, vcc, v6, v5, vcc
	global_store_short v[4:5], v2, off
.LBB205_16:
	s_or_b64 exec, exec, s[0:1]
	v_add_u32_e32 v4, 32, v1
	v_cmp_gt_u32_e32 vcc, s10, v4
	s_and_saveexec_b64 s[0:1], vcc
	s_cbranch_execz .LBB205_18
; %bb.17:
	v_add_u32_e32 v4, v0, v4
	v_mov_b32_e32 v5, 0
	v_lshlrev_b64 v[4:5], 1, v[4:5]
	v_mov_b32_e32 v6, s13
	v_add_co_u32_e32 v4, vcc, s12, v4
	v_addc_co_u32_e32 v5, vcc, v6, v5, vcc
	global_store_short_d16_hi v[4:5], v2, off
.LBB205_18:
	s_or_b64 exec, exec, s[0:1]
	v_add_u32_e32 v2, 64, v1
	v_cmp_gt_u32_e32 vcc, s10, v2
	s_and_saveexec_b64 s[0:1], vcc
	s_cbranch_execz .LBB205_20
; %bb.19:
	v_add_u32_e32 v4, v0, v2
	v_mov_b32_e32 v5, 0
	v_lshlrev_b64 v[4:5], 1, v[4:5]
	v_mov_b32_e32 v2, s13
	v_add_co_u32_e32 v4, vcc, s12, v4
	v_addc_co_u32_e32 v5, vcc, v2, v5, vcc
	global_store_short v[4:5], v3, off
.LBB205_20:
	s_or_b64 exec, exec, s[0:1]
	v_add_u32_e32 v1, 0x60, v1
	v_cmp_gt_u32_e32 vcc, s10, v1
	s_and_b64 exec, exec, vcc
	s_cbranch_execz .LBB205_12
; %bb.21:
	v_add_u32_e32 v0, v0, v1
	v_mov_b32_e32 v1, 0
	v_lshlrev_b64 v[0:1], 1, v[0:1]
	v_mov_b32_e32 v2, s13
	v_add_co_u32_e32 v0, vcc, s12, v0
	v_addc_co_u32_e32 v1, vcc, v2, v1, vcc
	global_store_short_d16_hi v[0:1], v3, off
	s_endpgm
	.section	.rodata,"a",@progbits
	.p2align	6, 0x0
	.amdhsa_kernel _ZL8moe_q8_0IN3c104HalfELb0EEvPKvS3_PT_PKiS7_S7_iiiiiii
		.amdhsa_group_segment_fixed_size 20160
		.amdhsa_private_segment_fixed_size 0
		.amdhsa_kernarg_size 76
		.amdhsa_user_sgpr_count 6
		.amdhsa_user_sgpr_private_segment_buffer 1
		.amdhsa_user_sgpr_dispatch_ptr 0
		.amdhsa_user_sgpr_queue_ptr 0
		.amdhsa_user_sgpr_kernarg_segment_ptr 1
		.amdhsa_user_sgpr_dispatch_id 0
		.amdhsa_user_sgpr_flat_scratch_init 0
		.amdhsa_user_sgpr_kernarg_preload_length 0
		.amdhsa_user_sgpr_kernarg_preload_offset 0
		.amdhsa_user_sgpr_private_segment_size 0
		.amdhsa_uses_dynamic_stack 0
		.amdhsa_system_sgpr_private_segment_wavefront_offset 0
		.amdhsa_system_sgpr_workgroup_id_x 1
		.amdhsa_system_sgpr_workgroup_id_y 1
		.amdhsa_system_sgpr_workgroup_id_z 0
		.amdhsa_system_sgpr_workgroup_info 0
		.amdhsa_system_vgpr_workitem_id 1
		.amdhsa_next_free_vgpr 124
		.amdhsa_next_free_sgpr 24
		.amdhsa_accum_offset 124
		.amdhsa_reserve_vcc 1
		.amdhsa_reserve_flat_scratch 0
		.amdhsa_float_round_mode_32 0
		.amdhsa_float_round_mode_16_64 0
		.amdhsa_float_denorm_mode_32 3
		.amdhsa_float_denorm_mode_16_64 3
		.amdhsa_dx10_clamp 1
		.amdhsa_ieee_mode 1
		.amdhsa_fp16_overflow 0
		.amdhsa_tg_split 0
		.amdhsa_exception_fp_ieee_invalid_op 0
		.amdhsa_exception_fp_denorm_src 0
		.amdhsa_exception_fp_ieee_div_zero 0
		.amdhsa_exception_fp_ieee_overflow 0
		.amdhsa_exception_fp_ieee_underflow 0
		.amdhsa_exception_fp_ieee_inexact 0
		.amdhsa_exception_int_div_zero 0
	.end_amdhsa_kernel
	.section	.text._ZL8moe_q8_0IN3c104HalfELb0EEvPKvS3_PT_PKiS7_S7_iiiiiii,"axG",@progbits,_ZL8moe_q8_0IN3c104HalfELb0EEvPKvS3_PT_PKiS7_S7_iiiiiii,comdat
.Lfunc_end205:
	.size	_ZL8moe_q8_0IN3c104HalfELb0EEvPKvS3_PT_PKiS7_S7_iiiiiii, .Lfunc_end205-_ZL8moe_q8_0IN3c104HalfELb0EEvPKvS3_PT_PKiS7_S7_iiiiiii
                                        ; -- End function
	.section	.AMDGPU.csdata,"",@progbits
; Kernel info:
; codeLenInByte = 4800
; NumSgprs: 28
; NumVgprs: 124
; NumAgprs: 0
; TotalNumVgprs: 124
; ScratchSize: 0
; MemoryBound: 0
; FloatMode: 240
; IeeeMode: 1
; LDSByteSize: 20160 bytes/workgroup (compile time only)
; SGPRBlocks: 3
; VGPRBlocks: 15
; NumSGPRsForWavesPerEU: 28
; NumVGPRsForWavesPerEU: 124
; AccumOffset: 124
; Occupancy: 3
; WaveLimiterHint : 1
; COMPUTE_PGM_RSRC2:SCRATCH_EN: 0
; COMPUTE_PGM_RSRC2:USER_SGPR: 6
; COMPUTE_PGM_RSRC2:TRAP_HANDLER: 0
; COMPUTE_PGM_RSRC2:TGID_X_EN: 1
; COMPUTE_PGM_RSRC2:TGID_Y_EN: 1
; COMPUTE_PGM_RSRC2:TGID_Z_EN: 0
; COMPUTE_PGM_RSRC2:TIDIG_COMP_CNT: 1
; COMPUTE_PGM_RSRC3_GFX90A:ACCUM_OFFSET: 30
; COMPUTE_PGM_RSRC3_GFX90A:TG_SPLIT: 0
	.section	.text._ZL8moe_q8_0IN3c104HalfELb1EEvPKvS3_PT_PKiS7_S7_iiiiiii,"axG",@progbits,_ZL8moe_q8_0IN3c104HalfELb1EEvPKvS3_PT_PKiS7_S7_iiiiiii,comdat
	.globl	_ZL8moe_q8_0IN3c104HalfELb1EEvPKvS3_PT_PKiS7_S7_iiiiiii ; -- Begin function _ZL8moe_q8_0IN3c104HalfELb1EEvPKvS3_PT_PKiS7_S7_iiiiiii
	.p2align	8
	.type	_ZL8moe_q8_0IN3c104HalfELb1EEvPKvS3_PT_PKiS7_S7_iiiiiii,@function
_ZL8moe_q8_0IN3c104HalfELb1EEvPKvS3_PT_PKiS7_S7_iiiiiii: ; @_ZL8moe_q8_0IN3c104HalfELb1EEvPKvS3_PT_PKiS7_S7_iiiiiii
; %bb.0:
	s_load_dwordx4 s[0:3], s[4:5], 0x18
	s_mov_b32 s8, s7
	s_mov_b32 s9, 0
	s_lshl_b64 s[10:11], s[8:9], 2
	s_waitcnt lgkmcnt(0)
	s_add_u32 s2, s2, s10
	s_addc_u32 s3, s3, s11
	s_load_dword s2, s[2:3], 0x0
	s_waitcnt lgkmcnt(0)
	s_cmpk_gt_u32 s2, 0xff
	s_cbranch_scc1 .LBB206_12
; %bb.1:
	s_load_dwordx2 s[10:11], s[4:5], 0x28
	s_lshl_b32 s3, s8, 3
	s_waitcnt lgkmcnt(0)
	s_load_dword s7, s[10:11], 0x0
	s_waitcnt lgkmcnt(0)
	s_cmp_gt_u32 s3, s7
	s_cbranch_scc1 .LBB206_12
; %bb.2:
	v_bfe_u32 v1, v0, 10, 10
	v_add_u32_e32 v2, s3, v1
	v_mov_b32_e32 v3, 0
	v_lshlrev_b64 v[4:5], 2, v[2:3]
	v_mov_b32_e32 v2, s1
	v_add_co_u32_e32 v4, vcc, s0, v4
	v_addc_co_u32_e32 v5, vcc, v2, v5, vcc
	global_load_dword v59, v[4:5], off
	s_load_dwordx8 s[8:15], s[4:5], 0x30
	s_load_dwordx2 s[16:17], s[4:5], 0x10
	s_waitcnt lgkmcnt(0)
	s_lshl_b32 s15, s6, 7
	s_mov_b32 s18, 0
	s_cmp_lt_i32 s9, 32
	s_cbranch_scc1 .LBB206_11
; %bb.3:
	s_ashr_i32 s0, s9, 31
	s_lshr_b32 s0, s0, 27
	s_add_i32 s0, s9, s0
	s_ashr_i32 s20, s0, 5
	s_ashr_i32 s0, s12, 31
	s_lshr_b32 s0, s0, 27
	s_add_i32 s0, s12, s0
	s_ashr_i32 s12, s0, 5
	s_not_b32 s0, s15
	s_mul_i32 s8, s2, s8
	s_add_i32 s2, s0, s10
	v_and_b32_e32 v61, 0x3ff, v0
	v_lshlrev_b32_e32 v2, 2, v61
	v_min_i32_e32 v3, s2, v1
	s_movk_i32 s3, 0x84
	v_mul_lo_u32 v4, v3, s20
	v_mad_u64_u32 v[22:23], s[0:1], v3, s3, v[2:3]
	v_add_u32_e32 v3, 8, v1
	v_min_i32_e32 v3, s2, v3
	v_mul_lo_u32 v7, v3, s20
	v_mad_u64_u32 v[24:25], s[0:1], v3, s3, v[2:3]
	v_add_u32_e32 v3, 16, v1
	v_min_i32_e32 v3, s2, v3
	;; [unrolled: 4-line block ×15, first 2 shown]
	v_and_b32_e32 v6, 28, v2
	v_mad_u64_u32 v[52:53], s[0:1], v3, s3, v[2:3]
	v_lshrrev_b32_e32 v2, 2, v61
	v_lshl_add_u32 v2, v1, 3, v2
	v_mul_lo_u32 v21, v3, s20
	v_min_i32_e32 v3, s2, v2
	v_ashrrev_i32_e32 v5, 31, v3
	v_add_u32_e32 v2, 64, v2
	v_lshrrev_b32_e32 v5, 29, v5
	v_min_i32_e32 v2, s2, v2
	s_load_dwordx4 s[4:7], s[4:5], 0x0
	v_mul_lo_u32 v53, v3, s20
	v_add_u32_e32 v5, v3, v5
	v_lshlrev_b32_e32 v87, 4, v3
	v_ashrrev_i32_e32 v3, 31, v2
	v_lshrrev_b32_e32 v3, 29, v3
	v_add_u32_e32 v3, v2, v3
	v_and_b32_e32 v57, 3, v61
	v_ashrrev_i32_e32 v3, 3, v3
	v_lshlrev_b32_e32 v23, 2, v57
	s_movk_i32 s3, 0x4200
	v_mul_lo_u32 v89, v2, s20
	v_lshlrev_b32_e32 v3, 2, v3
	v_lshlrev_b32_e32 v94, 4, v2
	v_and_b32_e32 v2, 31, v61
	v_lshlrev_b32_e32 v65, 7, v1
	v_add3_u32 v91, v3, v23, s3
	s_waitcnt lgkmcnt(0)
	v_mov_b32_e32 v3, s7
	v_add_co_u32_e32 v54, vcc, s6, v6
	v_lshl_or_b32 v2, v2, 2, v65
	v_lshrrev_b32_e32 v63, 3, v61
	v_addc_co_u32_e32 v55, vcc, 0, v3, vcc
	v_add_u32_e32 v67, 0x4a40, v2
	v_lshl_add_u32 v2, v1, 2, v61
	v_mov_b32_e32 v3, 0x4e40
	v_lshl_add_u32 v69, v2, 2, v3
	v_lshlrev_b32_e32 v71, 4, v1
	v_lshlrev_b32_e32 v1, 2, v63
	v_lshlrev_b32_e32 v2, 4, v61
	v_add3_u32 v75, v2, v1, s3
	v_add_u32_e32 v1, 32, v61
	v_lshrrev_b32_e32 v2, 1, v1
	v_and_b32_e32 v2, 0xfc, v2
	v_lshlrev_b32_e32 v1, 4, v1
	v_add3_u32 v77, v1, v2, s3
	v_add_u32_e32 v1, 64, v61
	v_lshrrev_b32_e32 v2, 1, v1
	v_and_b32_e32 v2, 0xfc, v2
	v_lshlrev_b32_e32 v1, 4, v1
	s_abs_i32 s2, s14
	v_add3_u32 v79, v1, v2, s3
	v_cvt_f32_u32_e32 v2, s2
	v_add_u32_e32 v1, 0x60, v61
	v_ashrrev_i32_e32 v5, 3, v5
	v_lshrrev_b32_e32 v3, 1, v1
	v_rcp_iflag_f32_e32 v2, v2
	v_lshlrev_b32_e32 v5, 2, v5
	v_and_b32_e32 v3, 0xfc, v3
	v_lshlrev_b32_e32 v1, 4, v1
	v_mul_f32_e32 v2, 0x4f7ffffe, v2
	v_cvt_u32_f32_e32 v2, v2
	v_add3_u32 v85, v5, v23, s3
	v_add3_u32 v81, v1, v3, s3
	s_sub_i32 s3, 0, s2
	v_mul_lo_u32 v5, s3, v2
	s_waitcnt vmcnt(0)
	v_sub_u32_e32 v3, 0, v59
	v_mul_hi_u32 v5, v2, v5
	v_max_i32_e32 v3, v59, v3
	v_add_u32_e32 v2, v2, v5
	v_mul_hi_u32 v2, v3, v2
	v_mul_lo_u32 v5, v2, s2
	v_sub_u32_e32 v3, v3, v5
	v_add_u32_e32 v5, 1, v2
	v_cmp_le_u32_e32 vcc, s2, v3
	v_cndmask_b32_e32 v2, v2, v5, vcc
	v_subrev_u32_e32 v5, s2, v3
	v_cndmask_b32_e32 v3, v3, v5, vcc
	v_xor_b32_e32 v1, s14, v59
	v_add_u32_e32 v5, 1, v2
	v_cmp_le_u32_e32 vcc, s2, v3
	s_mul_i32 s19, s20, s15
	v_ashrrev_i32_e32 v1, 31, v1
	v_cndmask_b32_e32 v2, v2, v5, vcc
	v_xor_b32_e32 v2, v2, v1
	s_mul_hi_i32 s10, s19, 34
	s_mul_i32 s22, s19, 34
	v_sub_u32_e32 v1, v2, v1
	v_mov_b32_e32 v2, s22
	v_mov_b32_e32 v3, s10
	v_mad_u64_u32 v[2:3], s[22:23], v63, 34, v[2:3]
	v_mad_i64_i32 v[4:5], s[22:23], v4, 34, v[2:3]
	v_cmp_gt_i32_e64 s[2:3], s11, v1
	v_mul_lo_u32 v83, v1, s12
	v_add_co_u32_e32 v1, vcc, v4, v6
	v_addc_co_u32_e32 v4, vcc, 0, v5, vcc
	v_mov_b32_e32 v51, s5
	v_add_co_u32_e32 v1, vcc, s4, v1
	v_addc_co_u32_e32 v4, vcc, v4, v51, vcc
	v_add_co_u32_e32 v56, vcc, 2, v1
	v_addc_co_u32_e32 v1, vcc, 0, v4, vcc
	v_mad_i64_i32 v[4:5], s[22:23], v7, 34, v[2:3]
	v_add_co_u32_e32 v4, vcc, v4, v6
	v_addc_co_u32_e32 v5, vcc, 0, v5, vcc
	v_add_co_u32_e32 v4, vcc, s4, v4
	v_addc_co_u32_e32 v5, vcc, v5, v51, vcc
	v_add_co_u32_e32 v58, vcc, 2, v4
	v_addc_co_u32_e32 v23, vcc, 0, v5, vcc
	v_mad_i64_i32 v[4:5], s[22:23], v8, 34, v[2:3]
	v_add_co_u32_e32 v4, vcc, v4, v6
	v_addc_co_u32_e32 v5, vcc, 0, v5, vcc
	;; [unrolled: 7-line block ×15, first 2 shown]
	v_add_co_u32_e32 v2, vcc, s4, v2
	v_addc_co_u32_e32 v3, vcc, v3, v51, vcc
	v_add_co_u32_e32 v86, vcc, 2, v2
	v_addc_co_u32_e32 v51, vcc, 0, v3, vcc
	v_mad_i64_i32 v[2:3], s[22:23], v53, 34, 0
	v_mad_i64_i32 v[2:3], s[22:23], s19, 34, v[2:3]
	v_mad_u64_u32 v[2:3], s[22:23], v57, 34, v[2:3]
	v_mov_b32_e32 v4, s5
	v_add_co_u32_e32 v88, vcc, s4, v2
	v_addc_co_u32_e32 v53, vcc, v4, v3, vcc
	v_mad_i64_i32 v[2:3], s[22:23], v89, 34, 0
	v_mad_i64_i32 v[2:3], s[22:23], s19, 34, v[2:3]
	v_mad_u64_u32 v[2:3], s[22:23], v57, 34, v[2:3]
	v_add_co_u32_e32 v90, vcc, s4, v2
	s_mov_b32 s19, s18
	s_ashr_i32 s21, s8, 31
	v_cmp_gt_u32_e64 s[0:1], 4, v61
	v_mul_u32_u24_e32 v73, 0x84, v61
	v_addc_co_u32_e32 v57, vcc, v4, v3, vcc
	v_pk_mov_b32 v[92:93], s[18:19], s[18:19] op_sel:[0,1]
	v_add_u32_e32 v85, v85, v87
	v_add_u32_e32 v87, v91, v94
	s_mov_b32 s10, 0
	v_pk_mov_b32 v[94:95], s[18:19], s[18:19] op_sel:[0,1]
	s_branch .LBB206_6
.LBB206_4:                              ;   in Loop: Header=BB206_6 Depth=1
	s_or_b64 exec, exec, s[4:5]
	s_waitcnt lgkmcnt(0)
	s_barrier
	ds_read_b128 v[2:5], v71 offset:20032
	ds_read2_b32 v[96:97], v73 offset1:1
	ds_read_b128 v[18:21], v65 offset:19008
	ds_read_b128 v[14:17], v65 offset:19024
	;; [unrolled: 1-line block ×4, first 2 shown]
	ds_read2_b32 v[98:99], v73 offset0:2 offset1:3
	v_mov_b32_e32 v89, 0
	s_waitcnt lgkmcnt(4)
	v_dot4c_i32_i8_e32 v89, v96, v18
	v_dot4c_i32_i8_e32 v89, v97, v19
	v_add_u32_e32 v91, 0x1080, v73
	s_waitcnt lgkmcnt(0)
	v_dot4c_i32_i8_e32 v89, v98, v20
	ds_read2_b32 v[96:97], v73 offset0:4 offset1:5
	ds_read2_b32 v[100:101], v73 offset0:6 offset1:7
	;; [unrolled: 1-line block ×3, first 2 shown]
	v_dot4c_i32_i8_e32 v89, v99, v21
	ds_read2_b32 v[98:99], v91 offset1:1
	s_waitcnt lgkmcnt(3)
	v_dot4c_i32_i8_e32 v89, v96, v14
	v_dot4c_i32_i8_e32 v89, v97, v15
	ds_read2_b32 v[96:97], v81 offset0:2 offset1:3
	v_mov_b32_e32 v91, 0
	s_waitcnt lgkmcnt(1)
	v_dot4c_i32_i8_e32 v91, v98, v18
	v_add_u32_e32 v98, 0x1088, v73
	v_dot4c_i32_i8_e32 v91, v99, v19
	ds_read2_b32 v[98:99], v98 offset1:1
	v_dot4c_i32_i8_e32 v89, v100, v16
	v_add_u32_e32 v100, 0x1090, v73
	v_add_u32_e32 v104, 0x1098, v73
	;; [unrolled: 1-line block ×3, first 2 shown]
	v_dot4c_i32_i8_e32 v89, v101, v17
	ds_read2_b32 v[100:101], v100 offset1:1
	ds_read2_b32 v[104:105], v104 offset1:1
	;; [unrolled: 1-line block ×3, first 2 shown]
	s_waitcnt lgkmcnt(3)
	v_dot4c_i32_i8_e32 v91, v98, v20
	v_dot4c_i32_i8_e32 v91, v99, v21
	s_waitcnt lgkmcnt(2)
	v_dot4c_i32_i8_e32 v91, v100, v14
	v_dot4c_i32_i8_e32 v91, v101, v15
	v_mov_b32_e32 v112, 0
	s_waitcnt lgkmcnt(1)
	v_dot4c_i32_i8_e32 v91, v104, v16
	s_waitcnt lgkmcnt(0)
	v_dot4c_i32_i8_e32 v112, v106, v18
	v_add_u32_e32 v98, 0x2108, v73
	v_add_u32_e32 v100, 0x2110, v73
	;; [unrolled: 1-line block ×4, first 2 shown]
	v_dot4c_i32_i8_e32 v91, v105, v17
	v_dot4c_i32_i8_e32 v112, v107, v19
	ds_read2_b32 v[98:99], v98 offset1:1
	ds_read2_b32 v[100:101], v100 offset1:1
	;; [unrolled: 1-line block ×4, first 2 shown]
	v_mov_b32_e32 v113, 0
	v_mov_b32_e32 v114, 0
	v_dot4c_i32_i8_e32 v114, v102, v10
	s_waitcnt lgkmcnt(3)
	v_dot4c_i32_i8_e32 v112, v98, v20
	s_waitcnt lgkmcnt(0)
	v_dot4c_i32_i8_e32 v113, v106, v18
	v_add_u32_e32 v18, 0x3188, v73
	v_dot4c_i32_i8_e32 v112, v99, v21
	v_dot4c_i32_i8_e32 v113, v107, v19
	ds_read2_b32 v[18:19], v18 offset1:1
	v_dot4c_i32_i8_e32 v112, v100, v14
	v_dot4c_i32_i8_e32 v112, v101, v15
	;; [unrolled: 1-line block ×3, first 2 shown]
	v_add_u32_e32 v98, 0x3190, v73
	v_add_u32_e32 v100, 0x3198, v73
	;; [unrolled: 1-line block ×3, first 2 shown]
	v_dot4c_i32_i8_e32 v112, v105, v17
	ds_read2_b32 v[98:99], v98 offset1:1
	ds_read2_b32 v[100:101], v100 offset1:1
	;; [unrolled: 1-line block ×3, first 2 shown]
	s_waitcnt lgkmcnt(3)
	v_dot4c_i32_i8_e32 v113, v18, v20
	v_dot4c_i32_i8_e32 v113, v19, v21
	s_waitcnt lgkmcnt(2)
	v_dot4c_i32_i8_e32 v113, v98, v14
	v_dot4c_i32_i8_e32 v113, v99, v15
	ds_read2_b32 v[14:15], v73 offset0:10 offset1:11
	s_waitcnt lgkmcnt(2)
	v_dot4c_i32_i8_e32 v113, v100, v16
	v_dot4c_i32_i8_e32 v113, v101, v17
	;; [unrolled: 1-line block ×3, first 2 shown]
	ds_read2_b32 v[16:17], v73 offset0:12 offset1:13
	ds_read2_b32 v[18:19], v73 offset0:14 offset1:15
	;; [unrolled: 1-line block ×3, first 2 shown]
	s_waitcnt lgkmcnt(3)
	v_dot4c_i32_i8_e32 v114, v14, v12
	v_add_u32_e32 v14, 0x10a8, v73
	v_dot4c_i32_i8_e32 v114, v15, v13
	ds_read2_b32 v[14:15], v14 offset1:1
	s_waitcnt lgkmcnt(3)
	v_dot4c_i32_i8_e32 v114, v16, v6
	v_dot4c_i32_i8_e32 v114, v17, v7
	v_mov_b32_e32 v115, 0
	s_waitcnt lgkmcnt(2)
	v_dot4c_i32_i8_e32 v114, v18, v8
	v_dot4c_i32_i8_e32 v115, v104, v10
	v_add_u32_e32 v16, 0x10b0, v73
	v_add_u32_e32 v18, 0x10b8, v73
	v_add_u32_e32 v98, 0x2120, v73
	v_dot4c_i32_i8_e32 v114, v19, v9
	v_dot4c_i32_i8_e32 v115, v105, v11
	ds_read2_b32 v[16:17], v16 offset1:1
	ds_read2_b32 v[18:19], v18 offset1:1
	;; [unrolled: 1-line block ×3, first 2 shown]
	s_waitcnt lgkmcnt(3)
	v_dot4c_i32_i8_e32 v115, v14, v12
	v_dot4c_i32_i8_e32 v115, v15, v13
	s_waitcnt lgkmcnt(2)
	v_dot4c_i32_i8_e32 v115, v16, v6
	v_dot4c_i32_i8_e32 v115, v17, v7
	v_mov_b32_e32 v116, 0
	s_waitcnt lgkmcnt(1)
	v_dot4c_i32_i8_e32 v115, v18, v8
	s_waitcnt lgkmcnt(0)
	v_dot4c_i32_i8_e32 v116, v98, v10
	v_add_u32_e32 v14, 0x2128, v73
	v_add_u32_e32 v16, 0x2130, v73
	;; [unrolled: 1-line block ×4, first 2 shown]
	v_dot4c_i32_i8_e32 v115, v19, v9
	v_dot4c_i32_i8_e32 v116, v99, v11
	ds_read2_b32 v[14:15], v14 offset1:1
	ds_read2_b32 v[16:17], v16 offset1:1
	;; [unrolled: 1-line block ×4, first 2 shown]
	v_mov_b32_e32 v117, 0
	v_mov_b32_e32 v118, 0
	;; [unrolled: 1-line block ×3, first 2 shown]
	s_waitcnt lgkmcnt(3)
	v_dot4c_i32_i8_e32 v116, v14, v12
	s_waitcnt lgkmcnt(0)
	v_dot4c_i32_i8_e32 v117, v98, v10
	v_add_u32_e32 v10, 0x31a8, v73
	v_dot4c_i32_i8_e32 v116, v15, v13
	v_dot4c_i32_i8_e32 v117, v99, v11
	ds_read2_b32 v[10:11], v10 offset1:1
	v_dot4c_i32_i8_e32 v116, v16, v6
	v_dot4c_i32_i8_e32 v116, v17, v7
	;; [unrolled: 1-line block ×3, first 2 shown]
	v_add_u32_e32 v14, 0x31b0, v73
	v_add_u32_e32 v16, 0x31b8, v73
	;; [unrolled: 1-line block ×3, first 2 shown]
	v_dot4c_i32_i8_e32 v116, v19, v9
	ds_read2_b32 v[14:15], v14 offset1:1
	ds_read2_b32 v[16:17], v16 offset1:1
	;; [unrolled: 1-line block ×3, first 2 shown]
	s_waitcnt lgkmcnt(3)
	v_dot4c_i32_i8_e32 v117, v10, v12
	v_dot4c_i32_i8_e32 v117, v11, v13
	s_waitcnt lgkmcnt(2)
	v_dot4c_i32_i8_e32 v117, v14, v6
	v_dot4c_i32_i8_e32 v117, v15, v7
	;; [unrolled: 3-line block ×3, first 2 shown]
	ds_read_b128 v[8:11], v65 offset:19072
	ds_read_b128 v[12:15], v65 offset:19088
	ds_read2_b32 v[6:7], v79 offset1:1
	ds_read2_b32 v[16:17], v77 offset0:2 offset1:3
	ds_read2_b32 v[98:99], v77 offset1:1
	ds_read2_b32 v[100:101], v75 offset0:2 offset1:3
	ds_read2_b32 v[102:103], v73 offset0:18 offset1:19
	s_waitcnt lgkmcnt(6)
	v_dot4c_i32_i8_e32 v118, v20, v8
	v_dot4c_i32_i8_e32 v118, v21, v9
	ds_read2_b32 v[20:21], v73 offset0:20 offset1:21
	ds_read2_b32 v[104:105], v73 offset0:22 offset1:23
	;; [unrolled: 1-line block ×3, first 2 shown]
	v_dot4c_i32_i8_e32 v119, v18, v8
	s_waitcnt lgkmcnt(3)
	v_dot4c_i32_i8_e32 v118, v102, v10
	v_add_u32_e32 v18, 0x10c8, v73
	v_dot4c_i32_i8_e32 v118, v103, v11
	v_dot4c_i32_i8_e32 v119, v19, v9
	ds_read2_b32 v[18:19], v18 offset1:1
	s_waitcnt lgkmcnt(3)
	v_dot4c_i32_i8_e32 v118, v20, v12
	v_dot4c_i32_i8_e32 v118, v21, v13
	s_waitcnt lgkmcnt(2)
	v_dot4c_i32_i8_e32 v118, v104, v14
	v_add_u32_e32 v20, 0x10d0, v73
	v_add_u32_e32 v102, 0x10d8, v73
	;; [unrolled: 1-line block ×3, first 2 shown]
	v_dot4c_i32_i8_e32 v118, v105, v15
	ds_read2_b32 v[20:21], v20 offset1:1
	ds_read2_b32 v[102:103], v102 offset1:1
	;; [unrolled: 1-line block ×3, first 2 shown]
	s_waitcnt lgkmcnt(3)
	v_dot4c_i32_i8_e32 v119, v18, v10
	v_dot4c_i32_i8_e32 v119, v19, v11
	s_waitcnt lgkmcnt(2)
	v_dot4c_i32_i8_e32 v119, v20, v12
	v_dot4c_i32_i8_e32 v119, v21, v13
	v_mov_b32_e32 v120, 0
	s_waitcnt lgkmcnt(1)
	v_dot4c_i32_i8_e32 v119, v102, v14
	s_waitcnt lgkmcnt(0)
	v_dot4c_i32_i8_e32 v120, v104, v8
	v_add_u32_e32 v102, 0x2148, v73
	v_add_u32_e32 v104, 0x2150, v73
	;; [unrolled: 1-line block ×4, first 2 shown]
	v_dot4c_i32_i8_e32 v119, v103, v15
	ds_read2_b32 v[18:19], v81 offset1:1
	ds_read2_b32 v[20:21], v79 offset0:2 offset1:3
	v_dot4c_i32_i8_e32 v120, v105, v9
	ds_read2_b32 v[102:103], v102 offset1:1
	ds_read2_b32 v[104:105], v104 offset1:1
	;; [unrolled: 1-line block ×4, first 2 shown]
	v_mov_b32_e32 v121, 0
	v_mov_b32_e32 v122, 0
	v_mov_b32_e32 v123, 0
	s_waitcnt lgkmcnt(3)
	v_dot4c_i32_i8_e32 v120, v102, v10
	s_waitcnt lgkmcnt(0)
	v_dot4c_i32_i8_e32 v121, v110, v8
	v_add_u32_e32 v8, 0x31c8, v73
	v_dot4c_i32_i8_e32 v120, v103, v11
	v_dot4c_i32_i8_e32 v121, v111, v9
	ds_read2_b32 v[8:9], v8 offset1:1
	v_dot4c_i32_i8_e32 v120, v104, v12
	v_dot4c_i32_i8_e32 v120, v105, v13
	;; [unrolled: 1-line block ×3, first 2 shown]
	v_add_u32_e32 v102, 0x31d0, v73
	v_add_u32_e32 v104, 0x31d8, v73
	;; [unrolled: 1-line block ×3, first 2 shown]
	v_dot4c_i32_i8_e32 v120, v109, v15
	ds_read2_b32 v[102:103], v102 offset1:1
	ds_read2_b32 v[104:105], v104 offset1:1
	;; [unrolled: 1-line block ×3, first 2 shown]
	s_waitcnt lgkmcnt(3)
	v_dot4c_i32_i8_e32 v121, v8, v10
	v_dot4c_i32_i8_e32 v121, v9, v11
	ds_read_b128 v[8:11], v65 offset:19104
	s_waitcnt lgkmcnt(3)
	v_dot4c_i32_i8_e32 v121, v102, v12
	v_dot4c_i32_i8_e32 v121, v103, v13
	ds_read2_b32 v[102:103], v73 offset0:26 offset1:27
	s_waitcnt lgkmcnt(3)
	v_dot4c_i32_i8_e32 v121, v104, v14
	v_dot4c_i32_i8_e32 v121, v105, v15
	ds_read_b128 v[12:15], v65 offset:19120
	s_waitcnt lgkmcnt(2)
	v_dot4c_i32_i8_e32 v122, v106, v8
	v_dot4c_i32_i8_e32 v122, v107, v9
	ds_read2_b32 v[104:105], v73 offset0:28 offset1:29
	ds_read2_b32 v[106:107], v75 offset1:1
	ds_read2_b32 v[110:111], v73 offset0:30 offset1:31
	s_waitcnt lgkmcnt(4)
	v_dot4c_i32_i8_e32 v122, v102, v10
	v_add_u32_e32 v102, 0x10e8, v73
	v_dot4c_i32_i8_e32 v122, v103, v11
	ds_read2_b32 v[102:103], v102 offset1:1
	s_waitcnt lgkmcnt(3)
	v_dot4c_i32_i8_e32 v122, v104, v12
	v_dot4c_i32_i8_e32 v122, v105, v13
	s_waitcnt lgkmcnt(1)
	v_dot4c_i32_i8_e32 v122, v110, v14
	v_dot4c_i32_i8_e32 v123, v108, v8
	v_add_u32_e32 v104, 0x10f0, v73
	v_add_u32_e32 v108, 0x10f8, v73
	;; [unrolled: 1-line block ×3, first 2 shown]
	v_dot4c_i32_i8_e32 v122, v111, v15
	v_dot4c_i32_i8_e32 v123, v109, v9
	ds_read2_b32 v[104:105], v104 offset1:1
	ds_read2_b32 v[108:109], v108 offset1:1
	;; [unrolled: 1-line block ×3, first 2 shown]
	s_waitcnt lgkmcnt(3)
	v_dot4c_i32_i8_e32 v123, v102, v10
	v_dot4c_i32_i8_e32 v123, v103, v11
	s_waitcnt lgkmcnt(2)
	v_dot4c_i32_i8_e32 v123, v104, v12
	v_dot4c_i32_i8_e32 v123, v105, v13
	s_waitcnt lgkmcnt(1)
	v_dot4c_i32_i8_e32 v123, v108, v14
	v_cvt_f32_i32_e32 v105, v91
	v_cvt_f32_i32_e32 v104, v89
	v_dot4c_i32_i8_e32 v123, v109, v15
	v_cvt_f32_i32_e32 v109, v115
	v_cvt_f32_i32_e32 v108, v114
	v_mov_b32_e32 v102, v106
	v_mov_b32_e32 v103, v98
	v_pk_mul_f32 v[102:103], v[2:3], v[102:103] op_sel_hi:[0,1]
	v_mov_b32_e32 v98, v107
	v_pk_fma_f32 v[92:93], v[102:103], v[104:105], v[92:93]
	v_pk_mul_f32 v[98:99], v[2:3], v[98:99] op_sel:[1,0]
	v_pk_fma_f32 v[92:93], v[98:99], v[108:109], v[92:93]
	v_cvt_f32_i32_e32 v99, v119
	v_cvt_f32_i32_e32 v98, v118
	v_mov_b32_e32 v102, v100
	v_mov_b32_e32 v103, v16
	v_pk_mul_f32 v[102:103], v[4:5], v[102:103] op_sel_hi:[0,1]
	v_pk_fma_f32 v[92:93], v[102:103], v[98:99], v[92:93]
	v_cvt_f32_i32_e32 v99, v123
	v_cvt_f32_i32_e32 v98, v122
	v_mov_b32_e32 v100, v5
	v_mov_b32_e32 v16, v101
	v_pk_mul_f32 v[16:17], v[100:101], v[16:17] op_sel_hi:[0,1]
	v_add_u32_e32 v5, 0x2168, v73
	v_add_u32_e32 v91, 0x2170, v73
	v_pk_fma_f32 v[92:93], v[16:17], v[98:99], v[92:93]
	v_add_u32_e32 v101, 0x2178, v73
	ds_read2_b32 v[16:17], v5 offset1:1
	v_add_u32_e32 v5, 0x31e0, v73
	ds_read2_b32 v[98:99], v91 offset1:1
	ds_read2_b32 v[102:103], v101 offset1:1
	;; [unrolled: 1-line block ×3, first 2 shown]
	v_mov_b32_e32 v89, 0
	v_mov_b32_e32 v91, 0
	s_waitcnt lgkmcnt(4)
	v_dot4c_i32_i8_e32 v89, v110, v8
	v_add_u32_e32 v5, 0x31e8, v73
	s_waitcnt lgkmcnt(0)
	v_dot4c_i32_i8_e32 v91, v104, v8
	v_dot4c_i32_i8_e32 v89, v111, v9
	;; [unrolled: 1-line block ×3, first 2 shown]
	ds_read2_b32 v[8:9], v5 offset1:1
	v_dot4c_i32_i8_e32 v89, v16, v10
	v_add_u32_e32 v5, 0x31f0, v73
	v_dot4c_i32_i8_e32 v89, v17, v11
	ds_read2_b32 v[16:17], v5 offset1:1
	v_dot4c_i32_i8_e32 v89, v98, v12
	v_add_u32_e32 v5, 0x31f8, v73
	s_waitcnt lgkmcnt(1)
	v_dot4c_i32_i8_e32 v91, v8, v10
	v_dot4c_i32_i8_e32 v89, v99, v13
	ds_read2_b32 v[98:99], v5 offset1:1
	v_dot4c_i32_i8_e32 v91, v9, v11
	s_waitcnt lgkmcnt(1)
	v_dot4c_i32_i8_e32 v91, v16, v12
	v_cvt_f32_i32_e32 v11, v113
	v_cvt_f32_i32_e32 v10, v112
	v_dot4c_i32_i8_e32 v91, v17, v13
	v_cvt_f32_i32_e32 v13, v117
	v_cvt_f32_i32_e32 v12, v116
	v_mov_b32_e32 v8, v6
	v_mov_b32_e32 v9, v18
	v_pk_mul_f32 v[8:9], v[2:3], v[8:9] op_sel_hi:[0,1]
	v_mov_b32_e32 v18, v7
	v_dot4c_i32_i8_e32 v89, v102, v14
	s_waitcnt lgkmcnt(0)
	v_dot4c_i32_i8_e32 v91, v98, v14
	v_pk_fma_f32 v[8:9], v[8:9], v[10:11], v[94:95]
	v_pk_mul_f32 v[2:3], v[2:3], v[18:19] op_sel:[1,0]
	v_dot4c_i32_i8_e32 v89, v103, v15
	v_dot4c_i32_i8_e32 v91, v99, v15
	v_pk_fma_f32 v[2:3], v[2:3], v[12:13], v[8:9]
	v_mov_b32_e32 v6, v20
	v_mov_b32_e32 v7, v96
	v_cvt_f32_i32_e32 v9, v121
	v_cvt_f32_i32_e32 v8, v120
	v_pk_mul_f32 v[4:5], v[4:5], v[6:7] op_sel_hi:[0,1]
	v_cvt_f32_i32_e32 v7, v91
	v_cvt_f32_i32_e32 v6, v89
	v_mov_b32_e32 v96, v21
	v_pk_fma_f32 v[2:3], v[4:5], v[8:9], v[2:3]
	v_pk_mul_f32 v[4:5], v[100:101], v[96:97] op_sel_hi:[0,1]
	v_pk_fma_f32 v[94:95], v[4:5], v[6:7], v[2:3]
	s_barrier
.LBB206_5:                              ;   in Loop: Header=BB206_6 Depth=1
	v_add_co_u32_e32 v56, vcc, 0x88, v56
	v_addc_co_u32_e32 v1, vcc, 0, v1, vcc
	v_add_co_u32_e32 v58, vcc, 0x88, v58
	v_addc_co_u32_e32 v23, vcc, 0, v23, vcc
	;; [unrolled: 2-line block ×17, first 2 shown]
	s_add_i32 s10, s10, 4
	s_addk_i32 s18, 0x80
	v_add_co_u32_e32 v90, vcc, 0x88, v90
	v_add_u32_e32 v61, 4, v61
	v_add_u32_e32 v63, 4, v63
	s_cmp_ge_i32 s10, s20
	v_addc_co_u32_e32 v57, vcc, 0, v57, vcc
	s_cbranch_scc1 .LBB206_13
.LBB206_6:                              ; =>This Inner Loop Header: Depth=1
	v_mov_b32_e32 v6, s21
	v_add_co_u32_e32 v2, vcc, s8, v56
	v_addc_co_u32_e32 v3, vcc, v1, v6, vcc
	global_load_dword v7, v[2:3], off
	v_add_co_u32_e32 v2, vcc, s8, v58
	v_addc_co_u32_e32 v3, vcc, v23, v6, vcc
	global_load_dword v8, v[2:3], off
	;; [unrolled: 3-line block ×15, first 2 shown]
	v_add_co_u32_e32 v2, vcc, s8, v86
	v_addc_co_u32_e32 v3, vcc, v51, v6, vcc
	v_add_co_u32_e32 v4, vcc, s8, v88
	v_addc_co_u32_e32 v5, vcc, v53, v6, vcc
	global_load_ushort v89, v[4:5], off
	v_add_co_u32_e32 v4, vcc, s8, v90
	v_addc_co_u32_e32 v5, vcc, v57, v6, vcc
	global_load_ushort v6, v[4:5], off
	global_load_dword v91, v[2:3], off
	s_cmp_lt_i32 s18, s9
	s_waitcnt vmcnt(17)
	ds_write_b32 v22, v7
	s_waitcnt vmcnt(16)
	ds_write_b32 v24, v8
	;; [unrolled: 2-line block ×15, first 2 shown]
	s_waitcnt vmcnt(2)
	v_cvt_f32_f16_e32 v2, v89
	s_waitcnt vmcnt(0)
	ds_write_b32 v52, v91
	ds_write_b32 v85, v2
	v_cvt_f32_f16_e32 v3, v6
	ds_write_b32 v87, v3
	s_cbranch_scc0 .LBB206_5
; %bb.7:                                ;   in Loop: Header=BB206_6 Depth=1
	v_cmp_gt_i32_e32 vcc, s12, v63
	s_and_b64 s[22:23], s[2:3], vcc
	s_and_saveexec_b64 s[4:5], s[22:23]
	s_cbranch_execz .LBB206_9
; %bb.8:                                ;   in Loop: Header=BB206_6 Depth=1
	v_add_u32_e32 v2, v83, v63
	v_mad_i64_i32 v[2:3], s[22:23], v2, 36, v[54:55]
	global_load_dword v2, v[2:3], off offset:4
	s_waitcnt vmcnt(0)
	ds_write_b32 v67, v2
.LBB206_9:                              ;   in Loop: Header=BB206_6 Depth=1
	s_or_b64 exec, exec, s[4:5]
	v_cmp_gt_i32_e32 vcc, s12, v61
	s_and_b64 s[4:5], s[2:3], vcc
	s_and_b64 s[22:23], s[0:1], s[4:5]
	s_and_saveexec_b64 s[4:5], s[22:23]
	s_cbranch_execz .LBB206_4
; %bb.10:                               ;   in Loop: Header=BB206_6 Depth=1
	v_add_u32_e32 v2, v83, v61
	v_mad_i64_i32 v[2:3], s[22:23], v2, 36, s[6:7]
	global_load_dword v2, v[2:3], off
	s_waitcnt vmcnt(0)
	v_cvt_f32_f16_e32 v2, v2
	ds_write_b32 v69, v2
	s_branch .LBB206_4
.LBB206_11:
	v_mov_b32_e32 v2, 0
	s_mul_i32 s0, s14, s11
	s_waitcnt vmcnt(0)
	v_cmp_gt_i32_e32 vcc, s0, v59
	s_and_saveexec_b64 s[0:1], vcc
	s_cbranch_execnz .LBB206_14
.LBB206_12:
	s_endpgm
.LBB206_13:
	v_cvt_f16_f32_e32 v1, v93
	v_cvt_f16_f32_e32 v2, v92
	v_cvt_f16_f32_e32 v3, v95
	v_cvt_f16_f32_e32 v4, v94
	v_pack_b32_f16 v2, v2, v1
	v_pack_b32_f16 v3, v4, v3
	s_mul_i32 s0, s14, s11
	v_cmp_gt_i32_e32 vcc, s0, v59
	s_and_saveexec_b64 s[0:1], vcc
	s_cbranch_execz .LBB206_12
.LBB206_14:
	v_and_b32_e32 v0, 0x3ff, v0
	v_add_u32_e32 v1, s15, v0
	v_mul_lo_u32 v0, v59, s13
	v_cmp_gt_u32_e32 vcc, s13, v1
	s_and_saveexec_b64 s[0:1], vcc
	s_cbranch_execz .LBB206_16
; %bb.15:
	v_add_u32_e32 v4, v0, v1
	v_mov_b32_e32 v5, 0
	v_lshlrev_b64 v[4:5], 1, v[4:5]
	v_mov_b32_e32 v6, s17
	v_add_co_u32_e32 v4, vcc, s16, v4
	v_addc_co_u32_e32 v5, vcc, v6, v5, vcc
	global_store_short v[4:5], v2, off
.LBB206_16:
	s_or_b64 exec, exec, s[0:1]
	v_add_u32_e32 v4, 32, v1
	v_cmp_gt_u32_e32 vcc, s13, v4
	s_and_saveexec_b64 s[0:1], vcc
	s_cbranch_execz .LBB206_18
; %bb.17:
	v_add_u32_e32 v4, v0, v4
	v_mov_b32_e32 v5, 0
	v_lshlrev_b64 v[4:5], 1, v[4:5]
	v_mov_b32_e32 v6, s17
	v_add_co_u32_e32 v4, vcc, s16, v4
	v_addc_co_u32_e32 v5, vcc, v6, v5, vcc
	global_store_short_d16_hi v[4:5], v2, off
.LBB206_18:
	s_or_b64 exec, exec, s[0:1]
	v_add_u32_e32 v2, 64, v1
	v_cmp_gt_u32_e32 vcc, s13, v2
	s_and_saveexec_b64 s[0:1], vcc
	s_cbranch_execz .LBB206_20
; %bb.19:
	v_add_u32_e32 v4, v0, v2
	v_mov_b32_e32 v5, 0
	v_lshlrev_b64 v[4:5], 1, v[4:5]
	v_mov_b32_e32 v2, s17
	v_add_co_u32_e32 v4, vcc, s16, v4
	v_addc_co_u32_e32 v5, vcc, v2, v5, vcc
	global_store_short v[4:5], v3, off
.LBB206_20:
	s_or_b64 exec, exec, s[0:1]
	v_add_u32_e32 v1, 0x60, v1
	v_cmp_gt_u32_e32 vcc, s13, v1
	s_and_b64 exec, exec, vcc
	s_cbranch_execz .LBB206_12
; %bb.21:
	v_add_u32_e32 v0, v0, v1
	v_mov_b32_e32 v1, 0
	v_lshlrev_b64 v[0:1], 1, v[0:1]
	v_mov_b32_e32 v2, s17
	v_add_co_u32_e32 v0, vcc, s16, v0
	v_addc_co_u32_e32 v1, vcc, v2, v1, vcc
	global_store_short_d16_hi v[0:1], v3, off
	s_endpgm
	.section	.rodata,"a",@progbits
	.p2align	6, 0x0
	.amdhsa_kernel _ZL8moe_q8_0IN3c104HalfELb1EEvPKvS3_PT_PKiS7_S7_iiiiiii
		.amdhsa_group_segment_fixed_size 20160
		.amdhsa_private_segment_fixed_size 0
		.amdhsa_kernarg_size 76
		.amdhsa_user_sgpr_count 6
		.amdhsa_user_sgpr_private_segment_buffer 1
		.amdhsa_user_sgpr_dispatch_ptr 0
		.amdhsa_user_sgpr_queue_ptr 0
		.amdhsa_user_sgpr_kernarg_segment_ptr 1
		.amdhsa_user_sgpr_dispatch_id 0
		.amdhsa_user_sgpr_flat_scratch_init 0
		.amdhsa_user_sgpr_kernarg_preload_length 0
		.amdhsa_user_sgpr_kernarg_preload_offset 0
		.amdhsa_user_sgpr_private_segment_size 0
		.amdhsa_uses_dynamic_stack 0
		.amdhsa_system_sgpr_private_segment_wavefront_offset 0
		.amdhsa_system_sgpr_workgroup_id_x 1
		.amdhsa_system_sgpr_workgroup_id_y 1
		.amdhsa_system_sgpr_workgroup_id_z 0
		.amdhsa_system_sgpr_workgroup_info 0
		.amdhsa_system_vgpr_workitem_id 1
		.amdhsa_next_free_vgpr 124
		.amdhsa_next_free_sgpr 24
		.amdhsa_accum_offset 124
		.amdhsa_reserve_vcc 1
		.amdhsa_reserve_flat_scratch 0
		.amdhsa_float_round_mode_32 0
		.amdhsa_float_round_mode_16_64 0
		.amdhsa_float_denorm_mode_32 3
		.amdhsa_float_denorm_mode_16_64 3
		.amdhsa_dx10_clamp 1
		.amdhsa_ieee_mode 1
		.amdhsa_fp16_overflow 0
		.amdhsa_tg_split 0
		.amdhsa_exception_fp_ieee_invalid_op 0
		.amdhsa_exception_fp_denorm_src 0
		.amdhsa_exception_fp_ieee_div_zero 0
		.amdhsa_exception_fp_ieee_overflow 0
		.amdhsa_exception_fp_ieee_underflow 0
		.amdhsa_exception_fp_ieee_inexact 0
		.amdhsa_exception_int_div_zero 0
	.end_amdhsa_kernel
	.section	.text._ZL8moe_q8_0IN3c104HalfELb1EEvPKvS3_PT_PKiS7_S7_iiiiiii,"axG",@progbits,_ZL8moe_q8_0IN3c104HalfELb1EEvPKvS3_PT_PKiS7_S7_iiiiiii,comdat
.Lfunc_end206:
	.size	_ZL8moe_q8_0IN3c104HalfELb1EEvPKvS3_PT_PKiS7_S7_iiiiiii, .Lfunc_end206-_ZL8moe_q8_0IN3c104HalfELb1EEvPKvS3_PT_PKiS7_S7_iiiiiii
                                        ; -- End function
	.section	.AMDGPU.csdata,"",@progbits
; Kernel info:
; codeLenInByte = 5012
; NumSgprs: 28
; NumVgprs: 124
; NumAgprs: 0
; TotalNumVgprs: 124
; ScratchSize: 0
; MemoryBound: 0
; FloatMode: 240
; IeeeMode: 1
; LDSByteSize: 20160 bytes/workgroup (compile time only)
; SGPRBlocks: 3
; VGPRBlocks: 15
; NumSGPRsForWavesPerEU: 28
; NumVGPRsForWavesPerEU: 124
; AccumOffset: 124
; Occupancy: 3
; WaveLimiterHint : 1
; COMPUTE_PGM_RSRC2:SCRATCH_EN: 0
; COMPUTE_PGM_RSRC2:USER_SGPR: 6
; COMPUTE_PGM_RSRC2:TRAP_HANDLER: 0
; COMPUTE_PGM_RSRC2:TGID_X_EN: 1
; COMPUTE_PGM_RSRC2:TGID_Y_EN: 1
; COMPUTE_PGM_RSRC2:TGID_Z_EN: 0
; COMPUTE_PGM_RSRC2:TIDIG_COMP_CNT: 1
; COMPUTE_PGM_RSRC3_GFX90A:ACCUM_OFFSET: 30
; COMPUTE_PGM_RSRC3_GFX90A:TG_SPLIT: 0
	.section	.text._ZL8moe_q2_KIN3c104HalfELb0EEvPKvS3_PT_PKiS7_S7_iiiiiii,"axG",@progbits,_ZL8moe_q2_KIN3c104HalfELb0EEvPKvS3_PT_PKiS7_S7_iiiiiii,comdat
	.globl	_ZL8moe_q2_KIN3c104HalfELb0EEvPKvS3_PT_PKiS7_S7_iiiiiii ; -- Begin function _ZL8moe_q2_KIN3c104HalfELb0EEvPKvS3_PT_PKiS7_S7_iiiiiii
	.p2align	8
	.type	_ZL8moe_q2_KIN3c104HalfELb0EEvPKvS3_PT_PKiS7_S7_iiiiiii,@function
_ZL8moe_q2_KIN3c104HalfELb0EEvPKvS3_PT_PKiS7_S7_iiiiiii: ; @_ZL8moe_q2_KIN3c104HalfELb0EEvPKvS3_PT_PKiS7_S7_iiiiiii
; %bb.0:
	s_load_dwordx4 s[0:3], s[4:5], 0x18
	s_mov_b32 s8, s7
	s_mov_b32 s9, 0
	s_lshl_b64 s[10:11], s[8:9], 2
	s_waitcnt lgkmcnt(0)
	s_add_u32 s2, s2, s10
	s_addc_u32 s3, s3, s11
	s_load_dword s2, s[2:3], 0x0
	s_waitcnt lgkmcnt(0)
	s_cmpk_gt_u32 s2, 0xff
	s_cbranch_scc1 .LBB207_39
; %bb.1:
	s_load_dwordx2 s[10:11], s[4:5], 0x28
	s_lshl_b32 s3, s8, 3
	s_waitcnt lgkmcnt(0)
	s_load_dword s7, s[10:11], 0x0
	s_waitcnt lgkmcnt(0)
	s_cmp_gt_u32 s3, s7
	s_cbranch_scc1 .LBB207_39
; %bb.2:
	v_bfe_u32 v1, v0, 10, 10
	v_add_u32_e32 v2, s3, v1
	v_mov_b32_e32 v3, 0
	v_lshlrev_b64 v[4:5], 2, v[2:3]
	v_mov_b32_e32 v2, s1
	v_add_co_u32_e32 v4, vcc, s0, v4
	v_addc_co_u32_e32 v5, vcc, v2, v5, vcc
	global_load_dword v11, v[4:5], off
	s_load_dwordx2 s[14:15], s[4:5], 0x30
	s_load_dwordx2 s[12:13], s[4:5], 0x10
	s_load_dwordx4 s[8:11], s[4:5], 0x3c
	s_lshl_b32 s24, s6, 7
	s_mov_b32 s16, 0
	s_waitcnt lgkmcnt(0)
	s_cmpk_lt_i32 s15, 0x100
	s_cbranch_scc1 .LBB207_38
; %bb.3:
	s_ashr_i32 s0, s15, 31
	s_lshr_b32 s0, s0, 24
	s_load_dwordx4 s[4:7], s[4:5], 0x0
	s_add_i32 s0, s15, s0
	s_ashr_i32 s25, s0, 8
	s_ashr_i32 s0, s9, 31
	s_lshr_b32 s0, s0, 27
	s_add_i32 s0, s9, s0
	s_mul_i32 s2, s2, s14
	s_ashr_i32 s9, s0, 5
	s_ashr_i32 s0, s2, 31
	s_waitcnt lgkmcnt(0)
	s_add_u32 s1, s4, s2
	s_mul_i32 s2, s25, s24
	s_addc_u32 s0, s5, s0
	s_mul_hi_i32 s3, s2, 0x54
	s_mulk_i32 s2, 0x54
	s_add_u32 s26, s1, s2
	s_addc_u32 s27, s0, s3
	s_lshl_b32 s1, s25, 3
	v_mov_b32_e32 v3, s1
	v_mad_i32_i24 v16, s25, v1, v3
	v_add_u32_e32 v18, s1, v16
	v_add_u32_e32 v20, s1, v18
	;; [unrolled: 1-line block ×9, first 2 shown]
	v_and_b32_e32 v13, 0x3ff, v0
	v_add_u32_e32 v36, s1, v34
	v_add_u32_e32 v38, s1, v36
	v_lshlrev_b32_e32 v3, 4, v1
	v_lshrrev_b32_e32 v4, 1, v13
	v_add_u32_e32 v40, s1, v38
	v_and_b32_e32 v46, 1, v13
	v_add_u32_e32 v4, v4, v3
	v_add_u32_e32 v42, s1, v40
	v_and_b32_e32 v5, 0x7f, v4
	v_lshlrev_b32_e32 v6, 2, v46
	v_lshrrev_b32_e32 v4, 2, v4
	v_add_u32_e32 v44, s1, v42
	v_mul_i32_i24_e32 v48, s25, v5
	v_lshl_or_b32 v5, v5, 3, v6
	v_and_b32_e32 v4, 28, v4
	s_movk_i32 s1, 0x5280
	v_add3_u32 v47, v5, v4, s1
	v_lshlrev_b32_e32 v4, 2, v1
	v_lshrrev_b32_e32 v49, 3, v13
	v_add_u32_e32 v5, v49, v4
	s_lshl_b32 s3, s25, 5
	v_and_b32_e32 v6, 7, v13
	v_add_u32_e32 v9, 32, v5
	v_mov_b32_e32 v51, s3
	v_cmp_lt_u32_e32 vcc, 3, v6
	v_lshlrev_b32_e32 v6, 2, v6
	s_movk_i32 s2, 0x4200
	v_mad_i32_i24 v56, s25, v5, v51
	v_and_b32_e32 v51, 0x3ffc, v9
	v_lshlrev_b32_e32 v2, 2, v13
	s_movk_i32 s0, 0x84
	v_mul_i32_i24_e32 v54, s25, v5
	v_and_b32_e32 v7, 0x1ffc, v5
	v_lshlrev_b32_e32 v8, 5, v5
	v_add3_u32 v68, v51, v6, s2
	v_add_u32_e32 v51, 64, v5
	v_add_u32_e32 v5, 0x60, v5
	v_and_b32_e32 v12, 60, v2
	v_mad_u32_u24 v15, v1, s0, v2
	v_and_b32_e32 v52, 12, v2
	v_and_b32_e32 v53, 0x3ffc, v51
	v_lshlrev_b32_e32 v70, 5, v51
	v_and_b32_e32 v51, 0x3ffc, v5
	v_and_b32_e32 v2, 28, v2
	v_cndmask_b32_e64 v50, 0, 1, vcc
	v_add3_u32 v7, v7, v6, s2
	v_add3_u32 v69, v53, v6, s2
	;; [unrolled: 1-line block ×3, first 2 shown]
	v_and_b32_e32 v51, 31, v13
	v_add_co_u32_e32 v62, vcc, s6, v2
	v_lshlrev_b32_e32 v2, 7, v1
	v_mul_i32_i24_e32 v14, s25, v1
	v_lshl_or_b32 v1, v51, 2, v2
	v_lshrrev_b32_e32 v10, 4, v13
	v_mov_b32_e32 v53, s7
	v_add_u32_e32 v51, 0x56a0, v1
	v_or_b32_e32 v1, v4, v13
	v_mov_b32_e32 v4, 0x5aa0
	v_addc_co_u32_e32 v63, vcc, 0, v53, vcc
	v_lshl_add_u32 v53, v1, 2, v4
	v_lshlrev_b32_e32 v1, 3, v13
	v_lshlrev_b32_e32 v57, 2, v10
	v_add_u32_e32 v4, 32, v13
	v_add3_u32 v57, v57, v1, s1
	v_mov_b32_e32 v1, 0x1080
	v_mad_u32_u24 v59, v13, s0, v1
	v_lshrrev_b32_e32 v1, 2, v4
	v_lshlrev_b32_e32 v61, 3, v4
	v_and_b32_e32 v1, 0x7c, v1
	v_add_u32_e32 v66, 64, v13
	v_add3_u32 v61, v61, v1, s1
	v_mov_b32_e32 v1, 0x2100
	v_mad_u32_u24 v65, v13, s0, v1
	v_lshrrev_b32_e32 v1, 2, v66
	v_lshlrev_b32_e32 v64, 3, v66
	v_and_b32_e32 v1, 0x7c, v1
	s_abs_i32 s2, s11
	v_add3_u32 v71, v64, v1, s1
	v_cvt_f32_u32_e32 v64, s2
	v_add_u32_e32 v67, 0x60, v13
	v_mov_b32_e32 v1, 0x3180
	v_mad_u32_u24 v72, v13, s0, v1
	v_lshrrev_b32_e32 v1, 2, v67
	v_lshlrev_b32_e32 v73, 3, v67
	v_and_b32_e32 v1, 0x7c, v1
	v_add3_u32 v73, v73, v1, s1
	v_rcp_iflag_f32_e32 v1, v64
	s_sub_i32 s0, 0, s2
	s_waitcnt vmcnt(0)
	v_sub_u32_e32 v77, 0, v11
	v_max_i32_e32 v77, v11, v77
	v_mul_f32_e32 v1, 0x4f7ffffe, v1
	v_cvt_u32_f32_e32 v1, v1
	v_xor_b32_e32 v64, s11, v11
	s_add_u32 s4, s6, 0x90
	v_ashrrev_i32_e32 v64, 31, v64
	v_mul_lo_u32 v78, s0, v1
	v_mul_hi_u32 v78, v1, v78
	v_add_u32_e32 v1, v1, v78
	v_mul_hi_u32 v1, v77, v1
	v_mul_lo_u32 v78, v1, s2
	v_sub_u32_e32 v77, v77, v78
	v_add_u32_e32 v78, 1, v1
	v_cmp_le_u32_e64 s[0:1], s2, v77
	v_cndmask_b32_e64 v1, v1, v78, s[0:1]
	v_subrev_u32_e32 v78, s2, v77
	v_cndmask_b32_e64 v77, v77, v78, s[0:1]
	v_add_u32_e32 v78, 1, v1
	v_cmp_le_u32_e64 s[0:1], s2, v77
	v_cndmask_b32_e64 v1, v1, v78, s[0:1]
	s_addc_u32 s5, s7, 0
	v_xor_b32_e32 v1, v1, v64
	s_add_u32 s18, s6, 0x120
	v_sub_u32_e32 v1, v1, v64
	s_addc_u32 s19, s7, 0
	s_mov_b32 s17, s16
	v_lshlrev_b32_e32 v9, 5, v9
	v_add_u32_e32 v58, s3, v56
	v_lshlrev_b32_e32 v5, 5, v5
	v_lshrrev_b32_e32 v75, 3, v66
	v_lshrrev_b32_e32 v76, 3, v67
	v_mul_lo_u32 v64, v1, s9
	s_add_u32 s20, s6, 0x1b0
	v_and_b32_e32 v77, 0x1fc, v67
	v_lshlrev_b32_e32 v78, 5, v13
	v_and_b32_e32 v79, 0x1fc, v66
	v_and_b32_e32 v80, 0x1fc, v4
	;; [unrolled: 1-line block ×3, first 2 shown]
	v_pk_mov_b32 v[66:67], s[16:17], s[16:17] op_sel:[0,1]
	s_movk_i32 s14, 0x54
	v_add_u32_e32 v17, 0x420, v15
	v_add_u32_e32 v19, 0x840, v15
	;; [unrolled: 1-line block ×16, first 2 shown]
	v_cmp_gt_u32_e32 vcc, 4, v13
	v_mul_u32_u24_e32 v55, 0x84, v13
	v_lshrrev_b32_e32 v74, 3, v4
	v_cmp_gt_i32_e64 s[0:1], s8, v1
	v_ashrrev_i32_e32 v1, 31, v64
	s_addc_u32 s21, s7, 0
	v_add_u32_e32 v82, 0x56a0, v2
	v_add_u32_e32 v83, 0x5aa0, v3
	;; [unrolled: 1-line block ×14, first 2 shown]
	s_mov_b32 s17, 0x1010101
	v_mov_b32_e32 v96, 4
	v_mov_b32_e32 v97, 15
	v_pk_mov_b32 v[68:69], v[66:67], v[66:67] op_sel:[0,1]
	s_branch .LBB207_5
.LBB207_4:                              ;   in Loop: Header=BB207_5 Depth=1
	s_add_i32 s16, s16, 2
	s_cmp_ge_i32 s16, s25
	s_cbranch_scc1 .LBB207_40
.LBB207_5:                              ; =>This Loop Header: Depth=1
                                        ;     Child Loop BB207_12 Depth 2
                                        ;     Child Loop BB207_20 Depth 2
                                        ;     Child Loop BB207_28 Depth 2
                                        ;     Child Loop BB207_36 Depth 2
	s_mul_i32 s2, s16, 0x54
	s_mul_hi_u32 s3, s16, 0x54
	s_add_u32 s2, s26, s2
	s_addc_u32 s3, s27, s3
	v_pk_mov_b32 v[2:3], s[2:3], s[2:3] op_sel:[0,1]
	v_mad_u64_u32 v[4:5], s[2:3], v10, s14, v[2:3]
	v_add_co_u32_e64 v4, s[2:3], v4, v12
	v_addc_co_u32_e64 v5, s[2:3], 0, v5, s[2:3]
	v_add_co_u32_e64 v4, s[2:3], 16, v4
	v_addc_co_u32_e64 v5, s[2:3], 0, v5, s[2:3]
	v_mad_u64_u32 v[6:7], s[2:3], v14, s14, v[4:5]
	v_mad_u64_u32 v[8:9], s[2:3], v16, s14, v[4:5]
	;; [unrolled: 1-line block ×8, first 2 shown]
	global_load_dword v70, v[6:7], off
	global_load_dword v110, v[8:9], off
	;; [unrolled: 1-line block ×8, first 2 shown]
	v_mad_u64_u32 v[6:7], s[2:3], v30, s14, v[4:5]
	v_mad_u64_u32 v[8:9], s[2:3], v32, s14, v[4:5]
	;; [unrolled: 1-line block ×8, first 2 shown]
	global_load_dword v108, v[6:7], off
	global_load_dword v109, v[8:9], off
	;; [unrolled: 1-line block ×8, first 2 shown]
	v_mad_u64_u32 v[4:5], s[2:3], v48, s14, v[2:3]
	v_mad_u64_u32 v[4:5], s[2:3], v46, s14, v[4:5]
	;; [unrolled: 1-line block ×3, first 2 shown]
	v_add_co_u32_e64 v2, s[2:3], v2, v52
	v_addc_co_u32_e64 v3, s[2:3], 0, v3, s[2:3]
	v_mad_u64_u32 v[6:7], s[2:3], v54, s14, v[2:3]
	v_mad_u64_u32 v[8:9], s[2:3], v56, s14, v[2:3]
	;; [unrolled: 1-line block ×4, first 2 shown]
	global_load_dword v100, v[4:5], off offset:80
	global_load_dword v101, v[6:7], off
	global_load_dword v102, v[8:9], off
	;; [unrolled: 1-line block ×3, first 2 shown]
	s_lshl_b32 s29, s16, 8
	global_load_dword v2, v[2:3], off
	s_cmp_lt_i32 s29, s15
	s_waitcnt vmcnt(20)
	ds_write_b32 v15, v70
	s_waitcnt vmcnt(19)
	ds_write_b32 v17, v110
	;; [unrolled: 2-line block ×21, first 2 shown]
	s_cbranch_scc0 .LBB207_4
; %bb.6:                                ;   in Loop: Header=BB207_5 Depth=1
	s_lshl_b32 s28, s16, 3
	v_add_u32_e32 v2, s28, v49
	v_cmp_gt_i32_e64 s[2:3], s9, v2
	s_and_b64 s[22:23], s[0:1], s[2:3]
	s_and_saveexec_b64 s[2:3], s[22:23]
	s_cbranch_execz .LBB207_8
; %bb.7:                                ;   in Loop: Header=BB207_5 Depth=1
	v_add_u32_e32 v2, v64, v2
	v_mad_i64_i32 v[2:3], s[22:23], v2, 36, v[62:63]
	global_load_dword v2, v[2:3], off offset:4
	s_waitcnt vmcnt(0)
	ds_write_b32 v51, v2
.LBB207_8:                              ;   in Loop: Header=BB207_5 Depth=1
	s_or_b64 exec, exec, s[2:3]
	s_and_saveexec_b64 s[22:23], vcc
	s_cbranch_execz .LBB207_11
; %bb.9:                                ;   in Loop: Header=BB207_5 Depth=1
	v_or_b32_e32 v2, s28, v13
	v_cmp_gt_i32_e64 s[2:3], s9, v2
	s_and_b64 s[2:3], s[0:1], s[2:3]
	s_and_b64 exec, exec, s[2:3]
	s_cbranch_execz .LBB207_11
; %bb.10:                               ;   in Loop: Header=BB207_5 Depth=1
	v_add_u32_e32 v2, v64, v2
	v_mad_i64_i32 v[2:3], s[2:3], v2, 36, s[6:7]
	global_load_dword v2, v[2:3], off
	s_waitcnt vmcnt(0)
	v_cvt_f32_f16_e32 v2, v2
	ds_write_b32 v53, v2
.LBB207_11:                             ;   in Loop: Header=BB207_5 Depth=1
	s_or_b64 exec, exec, s[22:23]
	s_mov_b32 s2, 0
	s_mov_b32 s3, -2
	v_mov_b32_e32 v98, v83
	v_mov_b32_e32 v99, v82
	s_waitcnt lgkmcnt(0)
	s_barrier
.LBB207_12:                             ;   Parent Loop BB207_5 Depth=1
                                        ; =>  This Inner Loop Header: Depth=2
	s_and_b32 s23, s2, -16
	s_add_i32 s22, s3, 2
	v_add_u32_e32 v100, s23, v78
	s_and_b32 s23, s22, 0x3ffffff8
	s_lshr_b32 s30, s22, 2
	s_lshl_b32 s23, s23, 2
	s_and_b32 s30, s30, 0x3ffffffc
	v_add3_u32 v112, v81, s3, v100
	v_add3_u32 v116, v80, s3, v100
	;; [unrolled: 1-line block ×4, first 2 shown]
	v_add_u32_e32 v106, s23, v55
	v_add_u32_e32 v113, s30, v57
	;; [unrolled: 1-line block ×8, first 2 shown]
	ds_read_b32 v70, v98
	ds_read_b128 v[6:9], v99
	ds_read_b128 v[2:5], v99 offset:16
	ds_read2_b32 v[100:101], v106 offset1:1
	ds_read2_b32 v[102:103], v106 offset0:2 offset1:3
	ds_read2_b32 v[104:105], v106 offset0:4 offset1:5
	;; [unrolled: 1-line block ×3, first 2 shown]
	ds_read2_b32 v[108:109], v114 offset1:1
	ds_read2_b32 v[110:111], v114 offset0:2 offset1:3
	ds_read_b32 v146, v113
	ds_read_u16 v147, v112 offset:16898
	ds_read2_b32 v[112:113], v114 offset0:4 offset1:5
	ds_read2_b32 v[114:115], v114 offset0:6 offset1:7
	ds_read_b32 v148, v117
	ds_read_u16 v149, v116 offset:17922
	ds_read2_b32 v[116:117], v122 offset1:1
	ds_read2_b32 v[118:119], v122 offset0:2 offset1:3
	ds_read2_b32 v[120:121], v122 offset0:4 offset1:5
	;; [unrolled: 1-line block ×3, first 2 shown]
	ds_read2_b32 v[124:125], v130 offset1:1
	ds_read2_b32 v[126:127], v130 offset0:2 offset1:3
	ds_read_b32 v150, v129
	ds_read_u16 v151, v128 offset:18946
	ds_read2_b32 v[128:129], v130 offset0:4 offset1:5
	ds_read2_b32 v[130:131], v130 offset0:6 offset1:7
	ds_read_b32 v145, v145
	ds_read_u16 v144, v144 offset:19970
	s_waitcnt lgkmcnt(14)
	v_ashrrev_i32_e32 v152, s22, v100
	v_ashrrev_i32_e32 v154, s22, v102
	;; [unrolled: 1-line block ×4, first 2 shown]
	v_bfe_u32 v160, v147, 4, 4
	s_waitcnt lgkmcnt(12)
	v_bfe_u32 v162, v149, 4, 4
	v_cvt_f32_f16_e32 v100, v146
	v_cvt_f32_f16_sdwa v102, v146 dst_sel:DWORD dst_unused:UNUSED_PAD src0_sel:WORD_1
	s_waitcnt lgkmcnt(4)
	v_bfe_u32 v146, v151, 4, 4
	s_waitcnt lgkmcnt(0)
	v_bfe_u32 v166, v144, 4, 4
	v_mov_b32_e32 v136, 0
	v_mov_b32_e32 v137, 0
	;; [unrolled: 1-line block ×4, first 2 shown]
	v_ashrrev_i32_e32 v157, s22, v105
	v_ashrrev_i32_e32 v159, s22, v107
	v_cvt_f32_f16_e32 v105, v145
	v_cvt_f32_f16_sdwa v107, v145 dst_sel:DWORD dst_unused:UNUSED_PAD src0_sel:WORD_1
	v_and_b32_e32 v145, 0x3030303, v152
	v_and_b32_e32 v152, 0x3030303, v154
	;; [unrolled: 1-line block ×4, first 2 shown]
	v_mul_lo_u32 v158, v160, s17
	v_mul_lo_u32 v160, v162, s17
	;; [unrolled: 1-line block ×4, first 2 shown]
	v_ashrrev_i32_e32 v108, s22, v108
	v_dot4c_i32_i8_e32 v136, v158, v6
	v_dot4c_i32_i8_e32 v137, v160, v6
	;; [unrolled: 1-line block ×4, first 2 shown]
	v_mov_b32_e32 v132, 0
	v_mov_b32_e32 v134, 0
	v_ashrrev_i32_e32 v153, s22, v101
	v_ashrrev_i32_e32 v109, s22, v109
	;; [unrolled: 1-line block ×5, first 2 shown]
	v_and_b32_e32 v108, 0x3030303, v108
	v_dot4c_i32_i8_e32 v136, v158, v7
	v_dot4c_i32_i8_e32 v137, v160, v7
	v_dot4c_i32_i8_e32 v142, v146, v7
	v_dot4c_i32_i8_e32 v143, v162, v7
	v_mov_b32_e32 v133, 0
	v_mov_b32_e32 v135, 0
	;; [unrolled: 1-line block ×4, first 2 shown]
	v_ashrrev_i32_e32 v155, s22, v103
	v_ashrrev_i32_e32 v110, s22, v110
	;; [unrolled: 1-line block ×3, first 2 shown]
	v_lshrrev_b32_sdwa v161, v96, v147 dst_sel:DWORD dst_unused:UNUSED_PAD src0_sel:DWORD src1_sel:BYTE_1
	v_lshrrev_b32_sdwa v165, v96, v149 dst_sel:DWORD dst_unused:UNUSED_PAD src0_sel:DWORD src1_sel:BYTE_1
	v_cvt_f32_f16_e32 v101, v148
	v_cvt_f32_f16_sdwa v103, v148 dst_sel:DWORD dst_unused:UNUSED_PAD src0_sel:WORD_1
	v_ashrrev_i32_e32 v117, s22, v117
	v_ashrrev_i32_e32 v120, s22, v120
	;; [unrolled: 1-line block ×4, first 2 shown]
	v_lshrrev_b32_sdwa v148, v96, v151 dst_sel:DWORD dst_unused:UNUSED_PAD src0_sel:DWORD src1_sel:BYTE_1
	v_lshrrev_b32_sdwa v169, v96, v144 dst_sel:DWORD dst_unused:UNUSED_PAD src0_sel:DWORD src1_sel:BYTE_1
	v_cvt_f32_f16_e32 v104, v150
	v_cvt_f32_f16_sdwa v106, v150 dst_sel:DWORD dst_unused:UNUSED_PAD src0_sel:WORD_1
	v_and_b32_e32 v150, 0x3030303, v153
	v_and_b32_e32 v109, 0x3030303, v109
	;; [unrolled: 1-line block ×5, first 2 shown]
	v_dot4c_i32_i8_e32 v132, v145, v6
	v_dot4c_i32_i8_e32 v134, v108, v6
	;; [unrolled: 1-line block ×6, first 2 shown]
	v_mov_b32_e32 v139, 0
	v_mov_b32_e32 v141, 0
	v_ashrrev_i32_e32 v111, s22, v111
	v_ashrrev_i32_e32 v114, s22, v114
	;; [unrolled: 1-line block ×6, first 2 shown]
	v_and_b32_e32 v153, 0x3030303, v155
	v_and_b32_e32 v155, 0x3030303, v157
	;; [unrolled: 1-line block ×5, first 2 shown]
	v_mul_lo_u32 v159, v161, s17
	v_mul_lo_u32 v161, v165, s17
	v_and_b32_e32 v117, 0x3030303, v117
	v_and_b32_e32 v120, 0x3030303, v120
	;; [unrolled: 1-line block ×4, first 2 shown]
	v_mul_lo_u32 v148, v148, s17
	v_mul_lo_u32 v165, v169, s17
	v_dot4c_i32_i8_e32 v133, v154, v2
	v_dot4c_i32_i8_e32 v135, v112, v2
	v_dot4c_i32_i8_e32 v138, v116, v6
	v_dot4c_i32_i8_e32 v140, v124, v6
	v_dot4c_i32_i8_e32 v132, v150, v7
	v_dot4c_i32_i8_e32 v134, v109, v7
	v_dot4c_i32_i8_e32 v136, v158, v9
	v_dot4c_i32_i8_e32 v137, v160, v9
	v_dot4c_i32_i8_e32 v142, v146, v9
	v_dot4c_i32_i8_e32 v143, v162, v9
	v_ashrrev_i32_e32 v115, s22, v115
	v_ashrrev_i32_e32 v119, s22, v119
	;; [unrolled: 1-line block ×5, first 2 shown]
	v_and_b32_e32 v111, 0x3030303, v111
	v_and_b32_e32 v114, 0x3030303, v114
	v_and_b32_e32 v118, 0x3030303, v118
	v_and_b32_e32 v121, 0x3030303, v121
	v_and_b32_e32 v126, 0x3030303, v126
	v_and_b32_e32 v129, 0x3030303, v129
	v_dot4c_i32_i8_e32 v139, v120, v2
	v_dot4c_i32_i8_e32 v141, v128, v2
	;; [unrolled: 1-line block ×12, first 2 shown]
	v_and_b32_e32 v163, 15, v147
	v_and_b32_e32 v164, 15, v149
	v_ashrrev_i32_e32 v123, s22, v123
	v_ashrrev_i32_e32 v131, s22, v131
	v_and_b32_e32 v115, 0x3030303, v115
	v_and_b32_e32 v119, 0x3030303, v119
	;; [unrolled: 1-line block ×5, first 2 shown]
	v_dot4c_i32_i8_e32 v139, v121, v3
	v_dot4c_i32_i8_e32 v141, v129, v3
	;; [unrolled: 1-line block ×12, first 2 shown]
	s_add_i32 s2, s2, 2
	v_and_b32_sdwa v149, v149, v97 dst_sel:DWORD dst_unused:UNUSED_PAD src0_sel:BYTE_1 src1_sel:DWORD
	v_and_b32_sdwa v147, v147, v97 dst_sel:DWORD dst_unused:UNUSED_PAD src0_sel:BYTE_1 src1_sel:DWORD
	v_and_b32_e32 v167, 15, v151
	v_and_b32_e32 v168, 15, v144
	;; [unrolled: 1-line block ×4, first 2 shown]
	v_dot4c_i32_i8_e32 v139, v122, v4
	v_dot4c_i32_i8_e32 v141, v130, v4
	;; [unrolled: 1-line block ×6, first 2 shown]
	v_mul_lo_u32 v6, v164, v134
	v_mul_lo_u32 v8, v163, v132
	v_dot4c_i32_i8_e32 v136, v159, v4
	v_dot4c_i32_i8_e32 v137, v161, v4
	v_dot4c_i32_i8_e32 v142, v148, v4
	v_dot4c_i32_i8_e32 v143, v165, v4
	s_mov_b32 s3, s22
	s_cmp_lt_u32 s22, 6
	v_and_b32_sdwa v144, v144, v97 dst_sel:DWORD dst_unused:UNUSED_PAD src0_sel:BYTE_1 src1_sel:DWORD
	v_and_b32_sdwa v151, v151, v97 dst_sel:DWORD dst_unused:UNUSED_PAD src0_sel:BYTE_1 src1_sel:DWORD
	v_dot4c_i32_i8_e32 v139, v123, v5
	v_dot4c_i32_i8_e32 v141, v131, v5
	v_mul_lo_u32 v108, v168, v140
	v_mul_lo_u32 v110, v167, v138
	v_mad_u64_u32 v[8:9], s[22:23], v147, v133, v[8:9]
	v_mad_u64_u32 v[6:7], s[22:23], v149, v135, v[6:7]
	v_dot4c_i32_i8_e32 v136, v159, v5
	v_dot4c_i32_i8_e32 v137, v161, v5
	;; [unrolled: 1-line block ×4, first 2 shown]
	v_mad_u64_u32 v[2:3], s[22:23], v151, v139, v[110:111]
	v_mad_u64_u32 v[108:109], s[22:23], v144, v141, v[108:109]
	v_cvt_f32_i32_e32 v7, v6
	v_cvt_f32_i32_e32 v6, v8
	v_cvt_f32_i32_e32 v5, v137
	v_cvt_f32_i32_e32 v4, v136
	v_cvt_f32_i32_e32 v9, v143
	v_cvt_f32_i32_e32 v8, v142
	v_cvt_f32_i32_e32 v3, v108
	v_cvt_f32_i32_e32 v2, v2
	v_pk_mul_f32 v[4:5], v[102:103], v[4:5]
	v_pk_mul_f32 v[8:9], v[106:107], v[8:9]
	v_pk_fma_f32 v[4:5], v[100:101], v[6:7], v[4:5] neg_lo:[0,0,1] neg_hi:[0,0,1]
	v_pk_fma_f32 v[2:3], v[104:105], v[2:3], v[8:9] neg_lo:[0,0,1] neg_hi:[0,0,1]
	v_add_u32_e32 v99, 32, v99
	v_add_u32_e32 v98, 4, v98
	v_pk_fma_f32 v[66:67], v[70:71], v[4:5], v[66:67] op_sel_hi:[0,1,1]
	v_pk_fma_f32 v[68:69], v[70:71], v[2:3], v[68:69] op_sel_hi:[0,1,1]
	s_cbranch_scc1 .LBB207_12
; %bb.13:                               ;   in Loop: Header=BB207_5 Depth=1
	s_or_b32 s2, s29, 0x80
	s_cmp_ge_i32 s2, s15
	s_barrier
	s_cbranch_scc1 .LBB207_4
; %bb.14:                               ;   in Loop: Header=BB207_5 Depth=1
	v_add_u32_e32 v2, s28, v74
	v_cmp_gt_i32_e64 s[2:3], s9, v2
	s_and_b64 s[22:23], s[0:1], s[2:3]
	s_and_saveexec_b64 s[2:3], s[22:23]
	s_cbranch_execz .LBB207_16
; %bb.15:                               ;   in Loop: Header=BB207_5 Depth=1
	v_add_u32_e32 v2, v64, v2
	v_mad_i64_i32 v[2:3], s[22:23], v2, 36, v[62:63]
	global_load_dword v2, v[2:3], off offset:4
	s_waitcnt vmcnt(0)
	ds_write_b32 v51, v2
.LBB207_16:                             ;   in Loop: Header=BB207_5 Depth=1
	s_or_b64 exec, exec, s[2:3]
	s_and_saveexec_b64 s[22:23], vcc
	s_cbranch_execz .LBB207_19
; %bb.17:                               ;   in Loop: Header=BB207_5 Depth=1
	v_or_b32_e32 v2, s28, v13
	v_or_b32_e32 v3, 4, v2
	v_cmp_gt_i32_e64 s[2:3], s9, v3
	s_and_b64 s[2:3], s[0:1], s[2:3]
	s_and_b64 exec, exec, s[2:3]
	s_cbranch_execz .LBB207_19
; %bb.18:                               ;   in Loop: Header=BB207_5 Depth=1
	v_ashrrev_i32_e32 v3, 31, v2
	v_add_co_u32_e64 v2, s[2:3], v64, v2
	v_addc_co_u32_e64 v4, s[2:3], v1, v3, s[2:3]
	v_mad_u64_u32 v[2:3], s[2:3], v2, 36, s[4:5]
	v_mad_i32_i24 v3, v4, 36, v3
	global_load_dword v2, v[2:3], off
	s_waitcnt vmcnt(0)
	v_cvt_f32_f16_e32 v2, v2
	ds_write_b32 v53, v2
.LBB207_19:                             ;   in Loop: Header=BB207_5 Depth=1
	s_or_b64 exec, exec, s[22:23]
	s_mov_b32 s2, 8
	s_mov_b32 s3, 0
	v_mov_b32_e32 v98, v82
	v_mov_b32_e32 v99, v83
	s_waitcnt lgkmcnt(0)
	s_barrier
.LBB207_20:                             ;   Parent Loop BB207_5 Depth=1
                                        ; =>  This Inner Loop Header: Depth=2
	s_add_i32 s22, s3, 8
	s_and_b32 s23, s2, -16
	v_add_u32_e32 v100, s3, v78
	s_and_b32 s30, s22, 0x3ffffff8
	s_lshr_b32 s31, s22, 2
	v_add3_u32 v112, v87, s23, v100
	v_add3_u32 v116, v86, s23, v100
	;; [unrolled: 1-line block ×4, first 2 shown]
	s_lshl_b32 s23, s30, 2
	s_and_b32 s30, s31, 0x3ffffffc
	v_add_u32_e32 v106, s23, v55
	v_add_u32_e32 v113, s30, v57
	v_add_u32_e32 v114, s23, v59
	v_add_u32_e32 v117, s30, v61
	v_add_u32_e32 v122, s23, v65
	v_add_u32_e32 v129, s30, v71
	v_add_u32_e32 v130, s23, v72
	v_add_u32_e32 v145, s30, v73
	ds_read_b32 v70, v99
	ds_read_b128 v[6:9], v98
	ds_read_b128 v[2:5], v98 offset:16
	ds_read2_b32 v[100:101], v106 offset1:1
	ds_read2_b32 v[102:103], v106 offset0:2 offset1:3
	ds_read2_b32 v[104:105], v106 offset0:4 offset1:5
	;; [unrolled: 1-line block ×3, first 2 shown]
	ds_read2_b32 v[108:109], v114 offset1:1
	ds_read2_b32 v[110:111], v114 offset0:2 offset1:3
	ds_read_b32 v146, v113
	ds_read_u16 v147, v112
	ds_read2_b32 v[112:113], v114 offset0:4 offset1:5
	ds_read2_b32 v[114:115], v114 offset0:6 offset1:7
	ds_read_b32 v148, v117
	ds_read_u16 v149, v116
	ds_read2_b32 v[116:117], v122 offset1:1
	ds_read2_b32 v[118:119], v122 offset0:2 offset1:3
	ds_read2_b32 v[120:121], v122 offset0:4 offset1:5
	;; [unrolled: 1-line block ×3, first 2 shown]
	ds_read2_b32 v[124:125], v130 offset1:1
	ds_read2_b32 v[126:127], v130 offset0:2 offset1:3
	ds_read_b32 v150, v129
	ds_read_u16 v151, v128
	ds_read2_b32 v[128:129], v130 offset0:4 offset1:5
	ds_read2_b32 v[130:131], v130 offset0:6 offset1:7
	ds_read_b32 v145, v145
	ds_read_u16 v144, v144
	s_waitcnt lgkmcnt(14)
	v_ashrrev_i32_e32 v152, s3, v100
	v_ashrrev_i32_e32 v153, s3, v101
	;; [unrolled: 1-line block ×8, first 2 shown]
	v_bfe_u32 v160, v147, 4, 4
	v_lshrrev_b32_sdwa v162, v96, v147 dst_sel:DWORD dst_unused:UNUSED_PAD src0_sel:DWORD src1_sel:BYTE_1
	s_waitcnt lgkmcnt(12)
	v_bfe_u32 v163, v149, 4, 4
	v_lshrrev_b32_sdwa v165, v96, v149 dst_sel:DWORD dst_unused:UNUSED_PAD src0_sel:DWORD src1_sel:BYTE_1
	v_cvt_f32_f16_e32 v100, v146
	v_cvt_f32_f16_sdwa v102, v146 dst_sel:DWORD dst_unused:UNUSED_PAD src0_sel:WORD_1
	s_waitcnt lgkmcnt(4)
	v_bfe_u32 v146, v151, 4, 4
	s_waitcnt lgkmcnt(0)
	v_bfe_u32 v167, v144, 4, 4
	v_mov_b32_e32 v133, 0
	v_mov_b32_e32 v136, 0
	;; [unrolled: 1-line block ×4, first 2 shown]
	v_cvt_f32_f16_e32 v105, v145
	v_cvt_f32_f16_e32 v104, v150
	v_cvt_f32_f16_sdwa v107, v145 dst_sel:DWORD dst_unused:UNUSED_PAD src0_sel:WORD_1
	v_cvt_f32_f16_sdwa v106, v150 dst_sel:DWORD dst_unused:UNUSED_PAD src0_sel:WORD_1
	v_and_b32_e32 v145, 0x3030303, v152
	v_and_b32_e32 v150, 0x3030303, v153
	;; [unrolled: 1-line block ×8, first 2 shown]
	v_mul_lo_u32 v158, v160, s17
	v_mul_lo_u32 v159, v162, s17
	;; [unrolled: 1-line block ×6, first 2 shown]
	v_ashrrev_i32_e32 v108, s3, v108
	v_dot4c_i32_i8_e32 v133, v158, v6
	v_dot4c_i32_i8_e32 v136, v160, v6
	;; [unrolled: 1-line block ×4, first 2 shown]
	v_mov_b32_e32 v132, 0
	v_mov_b32_e32 v135, 0
	v_ashrrev_i32_e32 v109, s3, v109
	v_ashrrev_i32_e32 v112, s3, v112
	;; [unrolled: 1-line block ×4, first 2 shown]
	v_and_b32_e32 v108, 0x3030303, v108
	v_dot4c_i32_i8_e32 v133, v158, v7
	v_dot4c_i32_i8_e32 v136, v160, v7
	;; [unrolled: 1-line block ×4, first 2 shown]
	v_mov_b32_e32 v134, 0
	v_mov_b32_e32 v137, 0
	;; [unrolled: 1-line block ×4, first 2 shown]
	v_ashrrev_i32_e32 v110, s3, v110
	v_ashrrev_i32_e32 v113, s3, v113
	;; [unrolled: 1-line block ×4, first 2 shown]
	v_lshrrev_b32_sdwa v166, v96, v151 dst_sel:DWORD dst_unused:UNUSED_PAD src0_sel:DWORD src1_sel:BYTE_1
	v_ashrrev_i32_e32 v125, s3, v125
	v_ashrrev_i32_e32 v128, s3, v128
	v_lshrrev_b32_sdwa v169, v96, v144 dst_sel:DWORD dst_unused:UNUSED_PAD src0_sel:DWORD src1_sel:BYTE_1
	v_and_b32_e32 v109, 0x3030303, v109
	v_and_b32_e32 v112, 0x3030303, v112
	;; [unrolled: 1-line block ×4, first 2 shown]
	v_dot4c_i32_i8_e32 v132, v145, v6
	v_dot4c_i32_i8_e32 v135, v108, v6
	;; [unrolled: 1-line block ×6, first 2 shown]
	v_mov_b32_e32 v140, 0
	v_mov_b32_e32 v143, 0
	v_ashrrev_i32_e32 v111, s3, v111
	v_ashrrev_i32_e32 v114, s3, v114
	;; [unrolled: 1-line block ×6, first 2 shown]
	v_and_b32_e32 v110, 0x3030303, v110
	v_and_b32_e32 v113, 0x3030303, v113
	;; [unrolled: 1-line block ×4, first 2 shown]
	v_mul_lo_u32 v163, v166, s17
	v_and_b32_e32 v125, 0x3030303, v125
	v_and_b32_e32 v128, 0x3030303, v128
	v_mul_lo_u32 v166, v169, s17
	v_dot4c_i32_i8_e32 v134, v154, v2
	v_dot4c_i32_i8_e32 v137, v112, v2
	;; [unrolled: 1-line block ×10, first 2 shown]
	v_ashrrev_i32_e32 v115, s3, v115
	v_ashrrev_i32_e32 v119, s3, v119
	;; [unrolled: 1-line block ×5, first 2 shown]
	v_and_b32_e32 v111, 0x3030303, v111
	v_and_b32_e32 v114, 0x3030303, v114
	;; [unrolled: 1-line block ×6, first 2 shown]
	v_dot4c_i32_i8_e32 v140, v120, v2
	v_dot4c_i32_i8_e32 v143, v128, v2
	;; [unrolled: 1-line block ×12, first 2 shown]
	v_and_b32_e32 v161, 15, v147
	v_and_b32_e32 v164, 15, v149
	v_ashrrev_i32_e32 v123, s3, v123
	v_ashrrev_i32_e32 v131, s3, v131
	v_and_b32_e32 v115, 0x3030303, v115
	v_and_b32_e32 v119, 0x3030303, v119
	;; [unrolled: 1-line block ×5, first 2 shown]
	v_dot4c_i32_i8_e32 v140, v121, v3
	v_dot4c_i32_i8_e32 v143, v129, v3
	;; [unrolled: 1-line block ×12, first 2 shown]
	s_add_i32 s2, s2, 2
	v_and_b32_sdwa v147, v147, v97 dst_sel:DWORD dst_unused:UNUSED_PAD src0_sel:BYTE_1 src1_sel:DWORD
	v_and_b32_sdwa v149, v149, v97 dst_sel:DWORD dst_unused:UNUSED_PAD src0_sel:BYTE_1 src1_sel:DWORD
	v_cvt_f32_f16_e32 v101, v148
	v_cvt_f32_f16_sdwa v103, v148 dst_sel:DWORD dst_unused:UNUSED_PAD src0_sel:WORD_1
	v_and_b32_e32 v148, 15, v151
	v_and_b32_e32 v168, 15, v144
	s_add_i32 s3, s3, 2
	v_and_b32_e32 v123, 0x3030303, v123
	v_and_b32_e32 v131, 0x3030303, v131
	v_dot4c_i32_i8_e32 v140, v122, v4
	v_dot4c_i32_i8_e32 v143, v130, v4
	;; [unrolled: 1-line block ×6, first 2 shown]
	v_mul_lo_u32 v6, v161, v132
	v_mul_lo_u32 v8, v164, v135
	v_dot4c_i32_i8_e32 v133, v159, v4
	v_dot4c_i32_i8_e32 v136, v162, v4
	;; [unrolled: 1-line block ×4, first 2 shown]
	v_and_b32_sdwa v151, v151, v97 dst_sel:DWORD dst_unused:UNUSED_PAD src0_sel:BYTE_1 src1_sel:DWORD
	v_and_b32_sdwa v144, v144, v97 dst_sel:DWORD dst_unused:UNUSED_PAD src0_sel:BYTE_1 src1_sel:DWORD
	s_cmp_lt_u32 s22, 14
	v_dot4c_i32_i8_e32 v140, v123, v5
	v_dot4c_i32_i8_e32 v143, v131, v5
	v_mul_lo_u32 v108, v148, v138
	v_mul_lo_u32 v110, v168, v141
	v_mad_u64_u32 v[6:7], s[22:23], v147, v134, v[6:7]
	v_mad_u64_u32 v[8:9], s[22:23], v149, v137, v[8:9]
	v_dot4c_i32_i8_e32 v133, v159, v5
	v_dot4c_i32_i8_e32 v136, v162, v5
	;; [unrolled: 1-line block ×4, first 2 shown]
	v_mad_u64_u32 v[108:109], s[22:23], v151, v140, v[108:109]
	v_mad_u64_u32 v[2:3], s[22:23], v144, v143, v[110:111]
	v_cvt_f32_i32_e32 v7, v8
	v_cvt_f32_i32_e32 v5, v136
	;; [unrolled: 1-line block ×8, first 2 shown]
	v_pk_mul_f32 v[4:5], v[102:103], v[4:5]
	v_pk_mul_f32 v[8:9], v[106:107], v[8:9]
	v_pk_fma_f32 v[4:5], v[100:101], v[6:7], v[4:5] neg_lo:[0,0,1] neg_hi:[0,0,1]
	v_pk_fma_f32 v[2:3], v[104:105], v[2:3], v[8:9] neg_lo:[0,0,1] neg_hi:[0,0,1]
	v_add_u32_e32 v99, 4, v99
	v_add_u32_e32 v98, 32, v98
	v_pk_fma_f32 v[66:67], v[70:71], v[4:5], v[66:67] op_sel_hi:[0,1,1]
	v_pk_fma_f32 v[68:69], v[70:71], v[2:3], v[68:69] op_sel_hi:[0,1,1]
	s_cbranch_scc1 .LBB207_20
; %bb.21:                               ;   in Loop: Header=BB207_5 Depth=1
	s_or_b32 s2, s29, 0x100
	s_cmp_ge_i32 s2, s15
	s_barrier
	s_cbranch_scc1 .LBB207_4
; %bb.22:                               ;   in Loop: Header=BB207_5 Depth=1
	v_add_u32_e32 v2, s28, v75
	v_cmp_gt_i32_e64 s[2:3], s9, v2
	s_and_b64 s[22:23], s[0:1], s[2:3]
	s_and_saveexec_b64 s[2:3], s[22:23]
	s_cbranch_execz .LBB207_24
; %bb.23:                               ;   in Loop: Header=BB207_5 Depth=1
	v_add_u32_e32 v2, v64, v2
	v_mad_i64_i32 v[2:3], s[22:23], v2, 36, v[62:63]
	global_load_dword v2, v[2:3], off offset:4
	s_waitcnt vmcnt(0)
	ds_write_b32 v51, v2
.LBB207_24:                             ;   in Loop: Header=BB207_5 Depth=1
	s_or_b64 exec, exec, s[2:3]
	s_and_saveexec_b64 s[22:23], vcc
	s_cbranch_execz .LBB207_27
; %bb.25:                               ;   in Loop: Header=BB207_5 Depth=1
	v_or_b32_e32 v2, s28, v13
	v_or_b32_e32 v3, 8, v2
	v_cmp_gt_i32_e64 s[2:3], s9, v3
	s_and_b64 s[2:3], s[0:1], s[2:3]
	s_and_b64 exec, exec, s[2:3]
	s_cbranch_execz .LBB207_27
; %bb.26:                               ;   in Loop: Header=BB207_5 Depth=1
	v_ashrrev_i32_e32 v3, 31, v2
	v_add_co_u32_e64 v2, s[2:3], v64, v2
	v_addc_co_u32_e64 v4, s[2:3], v1, v3, s[2:3]
	v_mad_u64_u32 v[2:3], s[2:3], v2, 36, s[18:19]
	v_mad_i32_i24 v3, v4, 36, v3
	global_load_dword v2, v[2:3], off
	s_waitcnt vmcnt(0)
	v_cvt_f32_f16_e32 v2, v2
	ds_write_b32 v53, v2
.LBB207_27:                             ;   in Loop: Header=BB207_5 Depth=1
	s_or_b64 exec, exec, s[22:23]
	s_mov_b32 s2, 16
	s_mov_b32 s3, 14
	v_mov_b32_e32 v98, v82
	v_mov_b32_e32 v99, v83
	s_waitcnt lgkmcnt(0)
	s_barrier
.LBB207_28:                             ;   Parent Loop BB207_5 Depth=1
                                        ; =>  This Inner Loop Header: Depth=2
	s_add_i32 s23, s3, 2
	s_and_b32 s30, s2, -16
	s_and_b32 s31, s23, 0x3ffffff8
	s_lshr_b32 s33, s23, 2
	s_add_i32 s30, s3, s30
	s_lshl_b32 s31, s31, 2
	s_and_b32 s33, s33, 0x3ffffffc
	v_add_u32_e32 v112, s30, v91
	v_add_u32_e32 v116, s30, v90
	;; [unrolled: 1-line block ×12, first 2 shown]
	ds_read_b32 v70, v99
	ds_read_b128 v[6:9], v98
	ds_read_b128 v[2:5], v98 offset:16
	ds_read2_b32 v[100:101], v106 offset1:1
	ds_read2_b32 v[102:103], v106 offset0:2 offset1:3
	ds_read2_b32 v[104:105], v106 offset0:4 offset1:5
	;; [unrolled: 1-line block ×3, first 2 shown]
	ds_read2_b32 v[108:109], v114 offset1:1
	ds_read2_b32 v[110:111], v114 offset0:2 offset1:3
	ds_read_b32 v146, v113
	ds_read_u16 v147, v112 offset:16882
	ds_read2_b32 v[112:113], v114 offset0:4 offset1:5
	ds_read2_b32 v[114:115], v114 offset0:6 offset1:7
	ds_read_b32 v148, v117
	ds_read_u16 v149, v116 offset:17906
	ds_read2_b32 v[116:117], v122 offset1:1
	ds_read2_b32 v[118:119], v122 offset0:2 offset1:3
	ds_read2_b32 v[120:121], v122 offset0:4 offset1:5
	;; [unrolled: 1-line block ×3, first 2 shown]
	ds_read2_b32 v[124:125], v130 offset1:1
	ds_read2_b32 v[126:127], v130 offset0:2 offset1:3
	ds_read_b32 v150, v129
	ds_read_u16 v151, v128 offset:18930
	ds_read2_b32 v[128:129], v130 offset0:4 offset1:5
	ds_read2_b32 v[130:131], v130 offset0:6 offset1:7
	ds_read_b32 v145, v145
	ds_read_u16 v144, v144 offset:19954
	s_add_i32 s22, s3, -14
	s_waitcnt lgkmcnt(14)
	v_ashrrev_i32_e32 v152, s22, v100
	v_ashrrev_i32_e32 v153, s22, v101
	;; [unrolled: 1-line block ×8, first 2 shown]
	v_bfe_u32 v160, v147, 4, 4
	v_lshrrev_b32_sdwa v162, v96, v147 dst_sel:DWORD dst_unused:UNUSED_PAD src0_sel:DWORD src1_sel:BYTE_1
	s_waitcnt lgkmcnt(12)
	v_bfe_u32 v163, v149, 4, 4
	v_lshrrev_b32_sdwa v165, v96, v149 dst_sel:DWORD dst_unused:UNUSED_PAD src0_sel:DWORD src1_sel:BYTE_1
	v_cvt_f32_f16_e32 v100, v146
	v_cvt_f32_f16_sdwa v102, v146 dst_sel:DWORD dst_unused:UNUSED_PAD src0_sel:WORD_1
	s_waitcnt lgkmcnt(4)
	v_bfe_u32 v146, v151, 4, 4
	s_waitcnt lgkmcnt(0)
	v_bfe_u32 v167, v144, 4, 4
	v_mov_b32_e32 v133, 0
	v_mov_b32_e32 v136, 0
	v_mov_b32_e32 v139, 0
	v_mov_b32_e32 v142, 0
	v_cvt_f32_f16_e32 v105, v145
	v_cvt_f32_f16_e32 v104, v150
	v_cvt_f32_f16_sdwa v107, v145 dst_sel:DWORD dst_unused:UNUSED_PAD src0_sel:WORD_1
	v_cvt_f32_f16_sdwa v106, v150 dst_sel:DWORD dst_unused:UNUSED_PAD src0_sel:WORD_1
	v_and_b32_e32 v145, 0x3030303, v152
	v_and_b32_e32 v150, 0x3030303, v153
	;; [unrolled: 1-line block ×8, first 2 shown]
	v_mul_lo_u32 v158, v160, s17
	v_mul_lo_u32 v159, v162, s17
	;; [unrolled: 1-line block ×6, first 2 shown]
	v_ashrrev_i32_e32 v108, s22, v108
	v_dot4c_i32_i8_e32 v133, v158, v6
	v_dot4c_i32_i8_e32 v136, v160, v6
	;; [unrolled: 1-line block ×4, first 2 shown]
	v_mov_b32_e32 v132, 0
	v_mov_b32_e32 v135, 0
	v_ashrrev_i32_e32 v109, s22, v109
	v_ashrrev_i32_e32 v112, s22, v112
	;; [unrolled: 1-line block ×4, first 2 shown]
	v_and_b32_e32 v108, 0x3030303, v108
	v_dot4c_i32_i8_e32 v133, v158, v7
	v_dot4c_i32_i8_e32 v136, v160, v7
	;; [unrolled: 1-line block ×4, first 2 shown]
	v_mov_b32_e32 v134, 0
	v_mov_b32_e32 v137, 0
	;; [unrolled: 1-line block ×4, first 2 shown]
	v_ashrrev_i32_e32 v110, s22, v110
	v_ashrrev_i32_e32 v113, s22, v113
	;; [unrolled: 1-line block ×4, first 2 shown]
	v_lshrrev_b32_sdwa v166, v96, v151 dst_sel:DWORD dst_unused:UNUSED_PAD src0_sel:DWORD src1_sel:BYTE_1
	v_ashrrev_i32_e32 v125, s22, v125
	v_ashrrev_i32_e32 v128, s22, v128
	v_lshrrev_b32_sdwa v169, v96, v144 dst_sel:DWORD dst_unused:UNUSED_PAD src0_sel:DWORD src1_sel:BYTE_1
	v_and_b32_e32 v109, 0x3030303, v109
	v_and_b32_e32 v112, 0x3030303, v112
	;; [unrolled: 1-line block ×4, first 2 shown]
	v_dot4c_i32_i8_e32 v132, v145, v6
	v_dot4c_i32_i8_e32 v135, v108, v6
	;; [unrolled: 1-line block ×6, first 2 shown]
	v_mov_b32_e32 v140, 0
	v_mov_b32_e32 v143, 0
	v_ashrrev_i32_e32 v111, s22, v111
	v_ashrrev_i32_e32 v114, s22, v114
	v_ashrrev_i32_e32 v118, s22, v118
	v_ashrrev_i32_e32 v121, s22, v121
	v_ashrrev_i32_e32 v126, s22, v126
	v_ashrrev_i32_e32 v129, s22, v129
	v_and_b32_e32 v110, 0x3030303, v110
	v_and_b32_e32 v113, 0x3030303, v113
	;; [unrolled: 1-line block ×4, first 2 shown]
	v_mul_lo_u32 v163, v166, s17
	v_and_b32_e32 v125, 0x3030303, v125
	v_and_b32_e32 v128, 0x3030303, v128
	v_mul_lo_u32 v166, v169, s17
	v_dot4c_i32_i8_e32 v134, v154, v2
	v_dot4c_i32_i8_e32 v137, v112, v2
	;; [unrolled: 1-line block ×10, first 2 shown]
	v_ashrrev_i32_e32 v115, s22, v115
	v_ashrrev_i32_e32 v119, s22, v119
	;; [unrolled: 1-line block ×5, first 2 shown]
	v_and_b32_e32 v111, 0x3030303, v111
	v_and_b32_e32 v114, 0x3030303, v114
	v_and_b32_e32 v118, 0x3030303, v118
	v_and_b32_e32 v121, 0x3030303, v121
	v_and_b32_e32 v126, 0x3030303, v126
	v_and_b32_e32 v129, 0x3030303, v129
	v_dot4c_i32_i8_e32 v140, v120, v2
	v_dot4c_i32_i8_e32 v143, v128, v2
	;; [unrolled: 1-line block ×12, first 2 shown]
	v_and_b32_e32 v161, 15, v147
	v_and_b32_e32 v164, 15, v149
	v_ashrrev_i32_e32 v123, s22, v123
	v_ashrrev_i32_e32 v131, s22, v131
	v_and_b32_e32 v115, 0x3030303, v115
	v_and_b32_e32 v119, 0x3030303, v119
	v_and_b32_e32 v122, 0x3030303, v122
	v_and_b32_e32 v127, 0x3030303, v127
	v_and_b32_e32 v130, 0x3030303, v130
	v_dot4c_i32_i8_e32 v140, v121, v3
	v_dot4c_i32_i8_e32 v143, v129, v3
	;; [unrolled: 1-line block ×12, first 2 shown]
	s_add_i32 s2, s2, 2
	v_and_b32_sdwa v147, v147, v97 dst_sel:DWORD dst_unused:UNUSED_PAD src0_sel:BYTE_1 src1_sel:DWORD
	v_and_b32_sdwa v149, v149, v97 dst_sel:DWORD dst_unused:UNUSED_PAD src0_sel:BYTE_1 src1_sel:DWORD
	v_cvt_f32_f16_e32 v101, v148
	v_cvt_f32_f16_sdwa v103, v148 dst_sel:DWORD dst_unused:UNUSED_PAD src0_sel:WORD_1
	v_and_b32_e32 v148, 15, v151
	v_and_b32_e32 v168, 15, v144
	;; [unrolled: 1-line block ×4, first 2 shown]
	v_dot4c_i32_i8_e32 v140, v122, v4
	v_dot4c_i32_i8_e32 v143, v130, v4
	v_dot4c_i32_i8_e32 v134, v157, v5
	v_dot4c_i32_i8_e32 v137, v115, v5
	v_dot4c_i32_i8_e32 v138, v119, v9
	v_dot4c_i32_i8_e32 v141, v127, v9
	v_mul_lo_u32 v6, v164, v135
	v_mul_lo_u32 v8, v161, v132
	v_dot4c_i32_i8_e32 v133, v159, v4
	v_dot4c_i32_i8_e32 v136, v162, v4
	;; [unrolled: 1-line block ×4, first 2 shown]
	s_mov_b32 s3, s23
	s_cmp_lt_u32 s23, 22
	v_and_b32_sdwa v151, v151, v97 dst_sel:DWORD dst_unused:UNUSED_PAD src0_sel:BYTE_1 src1_sel:DWORD
	v_and_b32_sdwa v144, v144, v97 dst_sel:DWORD dst_unused:UNUSED_PAD src0_sel:BYTE_1 src1_sel:DWORD
	v_dot4c_i32_i8_e32 v140, v123, v5
	v_dot4c_i32_i8_e32 v143, v131, v5
	v_mul_lo_u32 v2, v168, v141
	v_mul_lo_u32 v108, v148, v138
	v_mad_u64_u32 v[8:9], s[22:23], v147, v134, v[8:9]
	v_mad_u64_u32 v[6:7], s[22:23], v149, v137, v[6:7]
	v_dot4c_i32_i8_e32 v133, v159, v5
	v_dot4c_i32_i8_e32 v136, v162, v5
	;; [unrolled: 1-line block ×4, first 2 shown]
	v_mad_u64_u32 v[108:109], s[22:23], v151, v140, v[108:109]
	v_mad_u64_u32 v[2:3], s[22:23], v144, v143, v[2:3]
	v_cvt_f32_i32_e32 v7, v6
	v_cvt_f32_i32_e32 v6, v8
	v_cvt_f32_i32_e32 v5, v136
	v_cvt_f32_i32_e32 v4, v133
	v_cvt_f32_i32_e32 v9, v142
	v_cvt_f32_i32_e32 v8, v139
	v_cvt_f32_i32_e32 v3, v2
	v_cvt_f32_i32_e32 v2, v108
	v_pk_mul_f32 v[4:5], v[102:103], v[4:5]
	v_pk_mul_f32 v[8:9], v[106:107], v[8:9]
	v_pk_fma_f32 v[4:5], v[100:101], v[6:7], v[4:5] neg_lo:[0,0,1] neg_hi:[0,0,1]
	v_pk_fma_f32 v[2:3], v[104:105], v[2:3], v[8:9] neg_lo:[0,0,1] neg_hi:[0,0,1]
	v_add_u32_e32 v99, 4, v99
	v_add_u32_e32 v98, 32, v98
	v_pk_fma_f32 v[66:67], v[70:71], v[4:5], v[66:67] op_sel_hi:[0,1,1]
	v_pk_fma_f32 v[68:69], v[70:71], v[2:3], v[68:69] op_sel_hi:[0,1,1]
	s_cbranch_scc1 .LBB207_28
; %bb.29:                               ;   in Loop: Header=BB207_5 Depth=1
	s_or_b32 s2, s29, 0x180
	s_cmp_ge_i32 s2, s15
	s_barrier
	s_cbranch_scc1 .LBB207_4
; %bb.30:                               ;   in Loop: Header=BB207_5 Depth=1
	v_add_u32_e32 v2, s28, v76
	v_cmp_gt_i32_e64 s[2:3], s9, v2
	s_and_b64 s[22:23], s[0:1], s[2:3]
	s_and_saveexec_b64 s[2:3], s[22:23]
	s_cbranch_execz .LBB207_32
; %bb.31:                               ;   in Loop: Header=BB207_5 Depth=1
	v_add_u32_e32 v2, v64, v2
	v_mad_i64_i32 v[2:3], s[22:23], v2, 36, v[62:63]
	global_load_dword v2, v[2:3], off offset:4
	s_waitcnt vmcnt(0)
	ds_write_b32 v51, v2
.LBB207_32:                             ;   in Loop: Header=BB207_5 Depth=1
	s_or_b64 exec, exec, s[2:3]
	s_and_saveexec_b64 s[22:23], vcc
	s_cbranch_execz .LBB207_35
; %bb.33:                               ;   in Loop: Header=BB207_5 Depth=1
	v_or_b32_e32 v2, s28, v13
	v_or_b32_e32 v3, 12, v2
	v_cmp_gt_i32_e64 s[2:3], s9, v3
	s_and_b64 s[2:3], s[0:1], s[2:3]
	s_and_b64 exec, exec, s[2:3]
	s_cbranch_execz .LBB207_35
; %bb.34:                               ;   in Loop: Header=BB207_5 Depth=1
	v_ashrrev_i32_e32 v3, 31, v2
	v_add_co_u32_e64 v2, s[2:3], v64, v2
	v_addc_co_u32_e64 v4, s[2:3], v1, v3, s[2:3]
	v_mad_u64_u32 v[2:3], s[2:3], v2, 36, s[20:21]
	v_mad_i32_i24 v3, v4, 36, v3
	global_load_dword v2, v[2:3], off
	s_waitcnt vmcnt(0)
	v_cvt_f32_f16_e32 v2, v2
	ds_write_b32 v53, v2
.LBB207_35:                             ;   in Loop: Header=BB207_5 Depth=1
	s_or_b64 exec, exec, s[22:23]
	s_mov_b32 s2, 24
	s_mov_b32 s3, 22
	v_mov_b32_e32 v98, v82
	v_mov_b32_e32 v99, v83
	s_waitcnt lgkmcnt(0)
	s_barrier
.LBB207_36:                             ;   Parent Loop BB207_5 Depth=1
                                        ; =>  This Inner Loop Header: Depth=2
	s_add_i32 s23, s3, 2
	s_and_b32 s28, s2, -16
	s_and_b32 s29, s23, 0x3ffffff8
	s_lshr_b32 s30, s23, 2
	s_add_i32 s28, s3, s28
	s_lshl_b32 s29, s29, 2
	s_and_b32 s30, s30, 0x3ffffffc
	v_add_u32_e32 v112, s28, v91
	v_add_u32_e32 v116, s28, v90
	;; [unrolled: 1-line block ×12, first 2 shown]
	ds_read_b32 v70, v99
	ds_read_b128 v[6:9], v98
	ds_read_b128 v[2:5], v98 offset:16
	ds_read2_b32 v[100:101], v106 offset1:1
	ds_read2_b32 v[102:103], v106 offset0:2 offset1:3
	ds_read2_b32 v[104:105], v106 offset0:4 offset1:5
	;; [unrolled: 1-line block ×3, first 2 shown]
	ds_read2_b32 v[108:109], v114 offset1:1
	ds_read2_b32 v[110:111], v114 offset0:2 offset1:3
	ds_read_b32 v146, v113
	ds_read_u16 v147, v112 offset:16882
	ds_read2_b32 v[112:113], v114 offset0:4 offset1:5
	ds_read2_b32 v[114:115], v114 offset0:6 offset1:7
	ds_read_b32 v148, v117
	ds_read_u16 v149, v116 offset:17906
	ds_read2_b32 v[116:117], v122 offset1:1
	ds_read2_b32 v[118:119], v122 offset0:2 offset1:3
	ds_read2_b32 v[120:121], v122 offset0:4 offset1:5
	;; [unrolled: 1-line block ×3, first 2 shown]
	ds_read2_b32 v[124:125], v130 offset1:1
	ds_read2_b32 v[126:127], v130 offset0:2 offset1:3
	ds_read_b32 v150, v129
	ds_read_u16 v151, v128 offset:18930
	ds_read2_b32 v[128:129], v130 offset0:4 offset1:5
	ds_read2_b32 v[130:131], v130 offset0:6 offset1:7
	ds_read_b32 v145, v145
	ds_read_u16 v144, v144 offset:19954
	s_sub_i32 s22, s3, 22
	s_waitcnt lgkmcnt(14)
	v_ashrrev_i32_e32 v152, s22, v100
	v_ashrrev_i32_e32 v154, s22, v102
	;; [unrolled: 1-line block ×4, first 2 shown]
	v_bfe_u32 v160, v147, 4, 4
	s_waitcnt lgkmcnt(12)
	v_bfe_u32 v162, v149, 4, 4
	v_cvt_f32_f16_e32 v100, v146
	v_cvt_f32_f16_sdwa v102, v146 dst_sel:DWORD dst_unused:UNUSED_PAD src0_sel:WORD_1
	s_waitcnt lgkmcnt(4)
	v_bfe_u32 v146, v151, 4, 4
	s_waitcnt lgkmcnt(0)
	v_bfe_u32 v166, v144, 4, 4
	v_mov_b32_e32 v136, 0
	v_mov_b32_e32 v137, 0
	;; [unrolled: 1-line block ×4, first 2 shown]
	v_ashrrev_i32_e32 v157, s22, v105
	v_ashrrev_i32_e32 v159, s22, v107
	v_cvt_f32_f16_e32 v105, v145
	v_cvt_f32_f16_sdwa v107, v145 dst_sel:DWORD dst_unused:UNUSED_PAD src0_sel:WORD_1
	v_and_b32_e32 v145, 0x3030303, v152
	v_and_b32_e32 v152, 0x3030303, v154
	;; [unrolled: 1-line block ×4, first 2 shown]
	v_mul_lo_u32 v158, v160, s17
	v_mul_lo_u32 v160, v162, s17
	v_mul_lo_u32 v146, v146, s17
	v_mul_lo_u32 v162, v166, s17
	v_ashrrev_i32_e32 v108, s22, v108
	v_dot4c_i32_i8_e32 v136, v158, v6
	v_dot4c_i32_i8_e32 v137, v160, v6
	;; [unrolled: 1-line block ×4, first 2 shown]
	v_mov_b32_e32 v132, 0
	v_mov_b32_e32 v134, 0
	v_ashrrev_i32_e32 v153, s22, v101
	v_ashrrev_i32_e32 v109, s22, v109
	;; [unrolled: 1-line block ×5, first 2 shown]
	v_and_b32_e32 v108, 0x3030303, v108
	v_dot4c_i32_i8_e32 v136, v158, v7
	v_dot4c_i32_i8_e32 v137, v160, v7
	;; [unrolled: 1-line block ×4, first 2 shown]
	v_mov_b32_e32 v133, 0
	v_mov_b32_e32 v135, 0
	;; [unrolled: 1-line block ×4, first 2 shown]
	v_ashrrev_i32_e32 v155, s22, v103
	v_ashrrev_i32_e32 v110, s22, v110
	;; [unrolled: 1-line block ×3, first 2 shown]
	v_lshrrev_b32_sdwa v161, v96, v147 dst_sel:DWORD dst_unused:UNUSED_PAD src0_sel:DWORD src1_sel:BYTE_1
	v_lshrrev_b32_sdwa v165, v96, v149 dst_sel:DWORD dst_unused:UNUSED_PAD src0_sel:DWORD src1_sel:BYTE_1
	v_cvt_f32_f16_e32 v101, v148
	v_cvt_f32_f16_sdwa v103, v148 dst_sel:DWORD dst_unused:UNUSED_PAD src0_sel:WORD_1
	v_ashrrev_i32_e32 v117, s22, v117
	v_ashrrev_i32_e32 v120, s22, v120
	;; [unrolled: 1-line block ×4, first 2 shown]
	v_lshrrev_b32_sdwa v148, v96, v151 dst_sel:DWORD dst_unused:UNUSED_PAD src0_sel:DWORD src1_sel:BYTE_1
	v_lshrrev_b32_sdwa v169, v96, v144 dst_sel:DWORD dst_unused:UNUSED_PAD src0_sel:DWORD src1_sel:BYTE_1
	v_cvt_f32_f16_e32 v104, v150
	v_cvt_f32_f16_sdwa v106, v150 dst_sel:DWORD dst_unused:UNUSED_PAD src0_sel:WORD_1
	v_and_b32_e32 v150, 0x3030303, v153
	v_and_b32_e32 v109, 0x3030303, v109
	v_and_b32_e32 v112, 0x3030303, v112
	v_and_b32_e32 v116, 0x3030303, v116
	v_and_b32_e32 v124, 0x3030303, v124
	v_dot4c_i32_i8_e32 v132, v145, v6
	v_dot4c_i32_i8_e32 v134, v108, v6
	;; [unrolled: 1-line block ×6, first 2 shown]
	v_mov_b32_e32 v139, 0
	v_mov_b32_e32 v141, 0
	v_ashrrev_i32_e32 v111, s22, v111
	v_ashrrev_i32_e32 v114, s22, v114
	;; [unrolled: 1-line block ×6, first 2 shown]
	v_and_b32_e32 v153, 0x3030303, v155
	v_and_b32_e32 v155, 0x3030303, v157
	;; [unrolled: 1-line block ×5, first 2 shown]
	v_mul_lo_u32 v159, v161, s17
	v_mul_lo_u32 v161, v165, s17
	v_and_b32_e32 v117, 0x3030303, v117
	v_and_b32_e32 v120, 0x3030303, v120
	v_and_b32_e32 v125, 0x3030303, v125
	v_and_b32_e32 v128, 0x3030303, v128
	v_mul_lo_u32 v148, v148, s17
	v_mul_lo_u32 v165, v169, s17
	v_dot4c_i32_i8_e32 v133, v154, v2
	v_dot4c_i32_i8_e32 v135, v112, v2
	;; [unrolled: 1-line block ×10, first 2 shown]
	v_ashrrev_i32_e32 v115, s22, v115
	v_ashrrev_i32_e32 v119, s22, v119
	;; [unrolled: 1-line block ×5, first 2 shown]
	v_and_b32_e32 v111, 0x3030303, v111
	v_and_b32_e32 v114, 0x3030303, v114
	v_and_b32_e32 v118, 0x3030303, v118
	v_and_b32_e32 v121, 0x3030303, v121
	v_and_b32_e32 v126, 0x3030303, v126
	v_and_b32_e32 v129, 0x3030303, v129
	v_dot4c_i32_i8_e32 v139, v120, v2
	v_dot4c_i32_i8_e32 v141, v128, v2
	;; [unrolled: 1-line block ×12, first 2 shown]
	v_and_b32_e32 v163, 15, v147
	v_and_b32_e32 v164, 15, v149
	v_ashrrev_i32_e32 v123, s22, v123
	v_ashrrev_i32_e32 v131, s22, v131
	v_and_b32_e32 v115, 0x3030303, v115
	v_and_b32_e32 v119, 0x3030303, v119
	;; [unrolled: 1-line block ×5, first 2 shown]
	v_dot4c_i32_i8_e32 v139, v121, v3
	v_dot4c_i32_i8_e32 v141, v129, v3
	;; [unrolled: 1-line block ×12, first 2 shown]
	s_add_i32 s2, s2, 2
	v_and_b32_sdwa v149, v149, v97 dst_sel:DWORD dst_unused:UNUSED_PAD src0_sel:BYTE_1 src1_sel:DWORD
	v_and_b32_sdwa v147, v147, v97 dst_sel:DWORD dst_unused:UNUSED_PAD src0_sel:BYTE_1 src1_sel:DWORD
	v_and_b32_e32 v167, 15, v151
	v_and_b32_e32 v168, 15, v144
	;; [unrolled: 1-line block ×4, first 2 shown]
	v_dot4c_i32_i8_e32 v139, v122, v4
	v_dot4c_i32_i8_e32 v141, v130, v4
	v_dot4c_i32_i8_e32 v133, v157, v5
	v_dot4c_i32_i8_e32 v135, v115, v5
	v_dot4c_i32_i8_e32 v138, v119, v9
	v_dot4c_i32_i8_e32 v140, v127, v9
	v_mul_lo_u32 v6, v164, v134
	v_mul_lo_u32 v8, v163, v132
	v_dot4c_i32_i8_e32 v136, v159, v4
	v_dot4c_i32_i8_e32 v137, v161, v4
	v_dot4c_i32_i8_e32 v142, v148, v4
	v_dot4c_i32_i8_e32 v143, v165, v4
	s_mov_b32 s3, s23
	s_cmp_lt_u32 s23, 30
	v_and_b32_sdwa v144, v144, v97 dst_sel:DWORD dst_unused:UNUSED_PAD src0_sel:BYTE_1 src1_sel:DWORD
	v_and_b32_sdwa v151, v151, v97 dst_sel:DWORD dst_unused:UNUSED_PAD src0_sel:BYTE_1 src1_sel:DWORD
	v_dot4c_i32_i8_e32 v139, v123, v5
	v_dot4c_i32_i8_e32 v141, v131, v5
	v_mul_lo_u32 v108, v168, v140
	v_mul_lo_u32 v110, v167, v138
	v_mad_u64_u32 v[8:9], s[22:23], v147, v133, v[8:9]
	v_mad_u64_u32 v[6:7], s[22:23], v149, v135, v[6:7]
	v_dot4c_i32_i8_e32 v136, v159, v5
	v_dot4c_i32_i8_e32 v137, v161, v5
	;; [unrolled: 1-line block ×4, first 2 shown]
	v_mad_u64_u32 v[2:3], s[22:23], v151, v139, v[110:111]
	v_mad_u64_u32 v[108:109], s[22:23], v144, v141, v[108:109]
	v_cvt_f32_i32_e32 v7, v6
	v_cvt_f32_i32_e32 v6, v8
	;; [unrolled: 1-line block ×8, first 2 shown]
	v_pk_mul_f32 v[4:5], v[102:103], v[4:5]
	v_pk_mul_f32 v[8:9], v[106:107], v[8:9]
	v_pk_fma_f32 v[4:5], v[100:101], v[6:7], v[4:5] neg_lo:[0,0,1] neg_hi:[0,0,1]
	v_pk_fma_f32 v[2:3], v[104:105], v[2:3], v[8:9] neg_lo:[0,0,1] neg_hi:[0,0,1]
	v_add_u32_e32 v99, 4, v99
	v_add_u32_e32 v98, 32, v98
	v_pk_fma_f32 v[66:67], v[70:71], v[4:5], v[66:67] op_sel_hi:[0,1,1]
	v_pk_fma_f32 v[68:69], v[70:71], v[2:3], v[68:69] op_sel_hi:[0,1,1]
	s_cbranch_scc1 .LBB207_36
; %bb.37:                               ;   in Loop: Header=BB207_5 Depth=1
	s_barrier
	s_branch .LBB207_4
.LBB207_38:
	v_mov_b32_e32 v2, 0
	s_mul_i32 s0, s11, s8
	s_waitcnt vmcnt(0)
	v_cmp_gt_i32_e32 vcc, s0, v11
	s_and_saveexec_b64 s[0:1], vcc
	s_cbranch_execnz .LBB207_41
.LBB207_39:
	s_endpgm
.LBB207_40:
	v_cvt_f16_f32_e32 v1, v67
	v_cvt_f16_f32_e32 v2, v66
	;; [unrolled: 1-line block ×4, first 2 shown]
	v_pack_b32_f16 v2, v2, v1
	v_pack_b32_f16 v3, v4, v3
	s_mul_i32 s0, s11, s8
	v_cmp_gt_i32_e32 vcc, s0, v11
	s_and_saveexec_b64 s[0:1], vcc
	s_cbranch_execz .LBB207_39
.LBB207_41:
	v_and_b32_e32 v0, 0x3ff, v0
	v_add_u32_e32 v1, s24, v0
	v_mul_lo_u32 v0, v11, s10
	v_cmp_gt_u32_e32 vcc, s10, v1
	s_and_saveexec_b64 s[0:1], vcc
	s_cbranch_execz .LBB207_43
; %bb.42:
	v_add_u32_e32 v4, v0, v1
	v_mov_b32_e32 v5, 0
	v_lshlrev_b64 v[4:5], 1, v[4:5]
	v_mov_b32_e32 v6, s13
	v_add_co_u32_e32 v4, vcc, s12, v4
	v_addc_co_u32_e32 v5, vcc, v6, v5, vcc
	global_store_short v[4:5], v2, off
.LBB207_43:
	s_or_b64 exec, exec, s[0:1]
	v_add_u32_e32 v4, 32, v1
	v_cmp_gt_u32_e32 vcc, s10, v4
	s_and_saveexec_b64 s[0:1], vcc
	s_cbranch_execz .LBB207_45
; %bb.44:
	v_add_u32_e32 v4, v0, v4
	v_mov_b32_e32 v5, 0
	v_lshlrev_b64 v[4:5], 1, v[4:5]
	v_mov_b32_e32 v6, s13
	v_add_co_u32_e32 v4, vcc, s12, v4
	v_addc_co_u32_e32 v5, vcc, v6, v5, vcc
	global_store_short_d16_hi v[4:5], v2, off
.LBB207_45:
	s_or_b64 exec, exec, s[0:1]
	v_add_u32_e32 v2, 64, v1
	v_cmp_gt_u32_e32 vcc, s10, v2
	s_and_saveexec_b64 s[0:1], vcc
	s_cbranch_execz .LBB207_47
; %bb.46:
	v_add_u32_e32 v4, v0, v2
	v_mov_b32_e32 v5, 0
	v_lshlrev_b64 v[4:5], 1, v[4:5]
	v_mov_b32_e32 v2, s13
	v_add_co_u32_e32 v4, vcc, s12, v4
	v_addc_co_u32_e32 v5, vcc, v2, v5, vcc
	global_store_short v[4:5], v3, off
.LBB207_47:
	s_or_b64 exec, exec, s[0:1]
	v_add_u32_e32 v1, 0x60, v1
	v_cmp_gt_u32_e32 vcc, s10, v1
	s_and_b64 exec, exec, vcc
	s_cbranch_execz .LBB207_39
; %bb.48:
	v_add_u32_e32 v0, v0, v1
	v_mov_b32_e32 v1, 0
	v_lshlrev_b64 v[0:1], 1, v[0:1]
	v_mov_b32_e32 v2, s13
	v_add_co_u32_e32 v0, vcc, s12, v0
	v_addc_co_u32_e32 v1, vcc, v2, v1, vcc
	global_store_short_d16_hi v[0:1], v3, off
	s_endpgm
	.section	.rodata,"a",@progbits
	.p2align	6, 0x0
	.amdhsa_kernel _ZL8moe_q2_KIN3c104HalfELb0EEvPKvS3_PT_PKiS7_S7_iiiiiii
		.amdhsa_group_segment_fixed_size 23328
		.amdhsa_private_segment_fixed_size 0
		.amdhsa_kernarg_size 76
		.amdhsa_user_sgpr_count 6
		.amdhsa_user_sgpr_private_segment_buffer 1
		.amdhsa_user_sgpr_dispatch_ptr 0
		.amdhsa_user_sgpr_queue_ptr 0
		.amdhsa_user_sgpr_kernarg_segment_ptr 1
		.amdhsa_user_sgpr_dispatch_id 0
		.amdhsa_user_sgpr_flat_scratch_init 0
		.amdhsa_user_sgpr_kernarg_preload_length 0
		.amdhsa_user_sgpr_kernarg_preload_offset 0
		.amdhsa_user_sgpr_private_segment_size 0
		.amdhsa_uses_dynamic_stack 0
		.amdhsa_system_sgpr_private_segment_wavefront_offset 0
		.amdhsa_system_sgpr_workgroup_id_x 1
		.amdhsa_system_sgpr_workgroup_id_y 1
		.amdhsa_system_sgpr_workgroup_id_z 0
		.amdhsa_system_sgpr_workgroup_info 0
		.amdhsa_system_vgpr_workitem_id 1
		.amdhsa_next_free_vgpr 170
		.amdhsa_next_free_sgpr 34
		.amdhsa_accum_offset 172
		.amdhsa_reserve_vcc 1
		.amdhsa_reserve_flat_scratch 0
		.amdhsa_float_round_mode_32 0
		.amdhsa_float_round_mode_16_64 0
		.amdhsa_float_denorm_mode_32 3
		.amdhsa_float_denorm_mode_16_64 3
		.amdhsa_dx10_clamp 1
		.amdhsa_ieee_mode 1
		.amdhsa_fp16_overflow 0
		.amdhsa_tg_split 0
		.amdhsa_exception_fp_ieee_invalid_op 0
		.amdhsa_exception_fp_denorm_src 0
		.amdhsa_exception_fp_ieee_div_zero 0
		.amdhsa_exception_fp_ieee_overflow 0
		.amdhsa_exception_fp_ieee_underflow 0
		.amdhsa_exception_fp_ieee_inexact 0
		.amdhsa_exception_int_div_zero 0
	.end_amdhsa_kernel
	.section	.text._ZL8moe_q2_KIN3c104HalfELb0EEvPKvS3_PT_PKiS7_S7_iiiiiii,"axG",@progbits,_ZL8moe_q2_KIN3c104HalfELb0EEvPKvS3_PT_PKiS7_S7_iiiiiii,comdat
.Lfunc_end207:
	.size	_ZL8moe_q2_KIN3c104HalfELb0EEvPKvS3_PT_PKiS7_S7_iiiiiii, .Lfunc_end207-_ZL8moe_q2_KIN3c104HalfELb0EEvPKvS3_PT_PKiS7_S7_iiiiiii
                                        ; -- End function
	.section	.AMDGPU.csdata,"",@progbits
; Kernel info:
; codeLenInByte = 8752
; NumSgprs: 38
; NumVgprs: 170
; NumAgprs: 0
; TotalNumVgprs: 170
; ScratchSize: 0
; MemoryBound: 0
; FloatMode: 240
; IeeeMode: 1
; LDSByteSize: 23328 bytes/workgroup (compile time only)
; SGPRBlocks: 4
; VGPRBlocks: 21
; NumSGPRsForWavesPerEU: 38
; NumVGPRsForWavesPerEU: 170
; AccumOffset: 172
; Occupancy: 2
; WaveLimiterHint : 1
; COMPUTE_PGM_RSRC2:SCRATCH_EN: 0
; COMPUTE_PGM_RSRC2:USER_SGPR: 6
; COMPUTE_PGM_RSRC2:TRAP_HANDLER: 0
; COMPUTE_PGM_RSRC2:TGID_X_EN: 1
; COMPUTE_PGM_RSRC2:TGID_Y_EN: 1
; COMPUTE_PGM_RSRC2:TGID_Z_EN: 0
; COMPUTE_PGM_RSRC2:TIDIG_COMP_CNT: 1
; COMPUTE_PGM_RSRC3_GFX90A:ACCUM_OFFSET: 42
; COMPUTE_PGM_RSRC3_GFX90A:TG_SPLIT: 0
	.section	.text._ZL8moe_q2_KIN3c104HalfELb1EEvPKvS3_PT_PKiS7_S7_iiiiiii,"axG",@progbits,_ZL8moe_q2_KIN3c104HalfELb1EEvPKvS3_PT_PKiS7_S7_iiiiiii,comdat
	.globl	_ZL8moe_q2_KIN3c104HalfELb1EEvPKvS3_PT_PKiS7_S7_iiiiiii ; -- Begin function _ZL8moe_q2_KIN3c104HalfELb1EEvPKvS3_PT_PKiS7_S7_iiiiiii
	.p2align	8
	.type	_ZL8moe_q2_KIN3c104HalfELb1EEvPKvS3_PT_PKiS7_S7_iiiiiii,@function
_ZL8moe_q2_KIN3c104HalfELb1EEvPKvS3_PT_PKiS7_S7_iiiiiii: ; @_ZL8moe_q2_KIN3c104HalfELb1EEvPKvS3_PT_PKiS7_S7_iiiiiii
; %bb.0:
	s_load_dwordx4 s[0:3], s[4:5], 0x18
	s_mov_b32 s8, s7
	s_mov_b32 s9, 0
	s_lshl_b64 s[10:11], s[8:9], 2
	s_waitcnt lgkmcnt(0)
	s_add_u32 s2, s2, s10
	s_addc_u32 s3, s3, s11
	s_load_dword s2, s[2:3], 0x0
	s_waitcnt lgkmcnt(0)
	s_cmpk_gt_u32 s2, 0xff
	s_cbranch_scc1 .LBB208_39
; %bb.1:
	s_load_dwordx2 s[10:11], s[4:5], 0x28
	s_lshl_b32 s3, s8, 3
	s_waitcnt lgkmcnt(0)
	s_load_dword s7, s[10:11], 0x0
	s_waitcnt lgkmcnt(0)
	s_cmp_gt_u32 s3, s7
	s_cbranch_scc1 .LBB208_39
; %bb.2:
	v_bfe_u32 v1, v0, 10, 10
	v_add_u32_e32 v2, s3, v1
	v_mov_b32_e32 v3, 0
	v_lshlrev_b64 v[4:5], 2, v[2:3]
	v_mov_b32_e32 v2, s1
	v_add_co_u32_e32 v4, vcc, s0, v4
	v_addc_co_u32_e32 v5, vcc, v2, v5, vcc
	global_load_dword v11, v[4:5], off
	s_load_dwordx8 s[8:15], s[4:5], 0x30
	s_load_dwordx2 s[16:17], s[4:5], 0x10
	s_waitcnt lgkmcnt(0)
	s_lshl_b32 s15, s6, 7
	s_mov_b32 s18, 0
	s_cmpk_lt_i32 s9, 0x100
	s_cbranch_scc1 .LBB208_38
; %bb.3:
	s_ashr_i32 s0, s9, 31
	s_lshr_b32 s0, s0, 24
	s_load_dwordx4 s[4:7], s[4:5], 0x0
	s_add_i32 s0, s9, s0
	s_ashr_i32 s26, s0, 8
	s_ashr_i32 s0, s12, 31
	s_lshr_b32 s0, s0, 27
	s_add_i32 s0, s12, s0
	s_mul_i32 s2, s2, s8
	s_ashr_i32 s12, s0, 5
	s_ashr_i32 s0, s2, 31
	s_waitcnt lgkmcnt(0)
	s_add_u32 s1, s4, s2
	s_mul_i32 s2, s26, s15
	s_addc_u32 s0, s5, s0
	s_mul_hi_i32 s3, s2, 0x54
	s_mulk_i32 s2, 0x54
	s_add_u32 s27, s1, s2
	s_addc_u32 s28, s0, s3
	s_not_b32 s0, s15
	s_add_i32 s2, s0, s10
	v_and_b32_e32 v13, 0x3ff, v0
	v_lshlrev_b32_e32 v2, 2, v13
	v_min_i32_e32 v3, s2, v1
	s_movk_i32 s3, 0x84
	v_mul_lo_u32 v14, v3, s26
	v_mad_u64_u32 v[16:17], s[0:1], v3, s3, v[2:3]
	v_add_u32_e32 v3, 8, v1
	v_min_i32_e32 v3, s2, v3
	v_mul_lo_u32 v18, v3, s26
	v_mad_u64_u32 v[20:21], s[0:1], v3, s3, v[2:3]
	v_add_u32_e32 v3, 16, v1
	v_min_i32_e32 v3, s2, v3
	;; [unrolled: 4-line block ×15, first 2 shown]
	v_mul_lo_u32 v74, v3, s26
	v_mad_u64_u32 v[76:77], s[0:1], v3, s3, v[2:3]
	v_lshlrev_b32_e32 v3, 4, v1
	v_lshrrev_b32_e32 v4, 1, v13
	v_add_u32_e32 v4, v4, v3
	v_and_b32_e32 v4, 0x7f, v4
	v_min_i32_e32 v4, s2, v4
	v_ashrrev_i32_e32 v5, 31, v4
	v_lshrrev_b32_e32 v5, 28, v5
	v_add_u32_e32 v5, v4, v5
	v_and_b32_e32 v78, 1, v13
	v_ashrrev_i32_e32 v5, 4, v5
	v_lshlrev_b32_e32 v5, 2, v5
	v_lshlrev_b32_e32 v6, 2, v78
	s_movk_i32 s0, 0x5280
	v_add3_u32 v5, v5, v6, s0
	v_lshlrev_b32_e32 v6, 2, v1
	v_lshrrev_b32_e32 v15, 3, v13
	v_add_u32_e32 v7, v15, v6
	v_min_i32_e32 v9, s2, v7
	v_ashrrev_i32_e32 v17, 31, v9
	v_lshrrev_b32_e32 v17, 30, v17
	v_and_b32_e32 v8, 7, v13
	v_add_u32_e32 v17, v9, v17
	v_cmp_lt_u32_e32 vcc, 3, v8
	v_and_b32_e32 v17, -4, v17
	v_lshlrev_b32_e32 v8, 2, v8
	s_movk_i32 s1, 0x4200
	v_add3_u32 v75, v17, v8, s1
	v_add_u32_e32 v17, 32, v7
	v_min_i32_e32 v17, s2, v17
	v_ashrrev_i32_e32 v19, 31, v17
	v_lshrrev_b32_e32 v19, 30, v19
	v_mul_lo_u32 v88, v17, s26
	v_add_u32_e32 v19, v17, v19
	v_lshlrev_b32_e32 v79, 5, v17
	v_add_u32_e32 v17, 64, v7
	v_and_b32_e32 v19, -4, v19
	v_min_i32_e32 v17, s2, v17
	v_add3_u32 v77, v19, v8, s1
	v_ashrrev_i32_e32 v19, 31, v17
	v_add_u32_e32 v7, 0x60, v7
	v_lshrrev_b32_e32 v19, 30, v19
	v_min_i32_e32 v7, s2, v7
	v_mul_lo_u32 v90, v17, s26
	v_add_u32_e32 v19, v17, v19
	v_lshlrev_b32_e32 v83, 5, v17
	v_ashrrev_i32_e32 v17, 31, v7
	v_lshrrev_b32_e32 v17, 30, v17
	v_add_u32_e32 v17, v7, v17
	v_and_b32_e32 v12, 60, v2
	v_and_b32_e32 v84, 12, v2
	v_and_b32_e32 v19, -4, v19
	v_and_b32_e32 v17, -4, v17
	v_and_b32_e32 v2, 28, v2
	v_cndmask_b32_e64 v82, 0, 1, vcc
	v_add3_u32 v81, v19, v8, s1
	v_add3_u32 v8, v17, v8, s1
	v_and_b32_e32 v17, 31, v13
	v_add_co_u32_e32 v94, vcc, s6, v2
	v_lshlrev_b32_e32 v2, 7, v1
	v_lshl_or_b32 v1, v17, 2, v2
	v_lshrrev_b32_e32 v10, 4, v13
	v_mov_b32_e32 v19, s7
	v_add_u32_e32 v17, 0x56a0, v1
	v_or_b32_e32 v1, v6, v13
	v_mov_b32_e32 v6, 0x5aa0
	v_addc_co_u32_e32 v95, vcc, 0, v19, vcc
	v_lshl_add_u32 v19, v1, 2, v6
	v_lshlrev_b32_e32 v1, 3, v13
	v_lshlrev_b32_e32 v23, 2, v10
	v_add_u32_e32 v6, 32, v13
	v_add3_u32 v23, v23, v1, s0
	v_mov_b32_e32 v1, 0x1080
	v_mad_u32_u24 v25, v13, s3, v1
	v_lshrrev_b32_e32 v1, 2, v6
	v_lshlrev_b32_e32 v27, 3, v6
	v_and_b32_e32 v1, 0x7c, v1
	v_add_u32_e32 v47, 64, v13
	v_add3_u32 v27, v27, v1, s0
	v_mov_b32_e32 v1, 0x2100
	v_mad_u32_u24 v29, v13, s3, v1
	v_lshrrev_b32_e32 v1, 2, v47
	s_abs_i32 s2, s14
	v_lshlrev_b32_e32 v31, 3, v47
	v_and_b32_e32 v1, 0x7c, v1
	v_cvt_f32_u32_e32 v41, s2
	v_add_u32_e32 v43, 0x60, v13
	v_add3_u32 v31, v31, v1, s0
	v_mov_b32_e32 v1, 0x3180
	v_mad_u32_u24 v33, v13, s3, v1
	v_lshrrev_b32_e32 v1, 2, v43
	v_lshlrev_b32_e32 v35, 3, v43
	v_and_b32_e32 v1, 0x7c, v1
	v_add3_u32 v35, v35, v1, s0
	v_rcp_iflag_f32_e32 v1, v41
	s_sub_i32 s0, 0, s2
	s_waitcnt vmcnt(0)
	v_sub_u32_e32 v49, 0, v11
	v_max_i32_e32 v49, v11, v49
	v_mul_f32_e32 v1, 0x4f7ffffe, v1
	v_cvt_u32_f32_e32 v1, v1
	v_xor_b32_e32 v45, s14, v11
	s_add_u32 s4, s6, 0x90
	v_ashrrev_i32_e32 v45, 31, v45
	v_mul_lo_u32 v51, s0, v1
	v_mul_hi_u32 v51, v1, v51
	v_add_u32_e32 v1, v1, v51
	v_mul_hi_u32 v1, v49, v1
	v_mul_lo_u32 v51, v1, s2
	v_sub_u32_e32 v49, v49, v51
	v_add_u32_e32 v51, 1, v1
	v_cmp_le_u32_e64 s[0:1], s2, v49
	v_cndmask_b32_e64 v1, v1, v51, s[0:1]
	v_subrev_u32_e32 v51, s2, v49
	v_cndmask_b32_e64 v49, v49, v51, s[0:1]
	v_add_u32_e32 v51, 1, v1
	v_cmp_le_u32_e64 s[0:1], s2, v49
	v_cndmask_b32_e64 v1, v1, v51, s[0:1]
	s_addc_u32 s5, s7, 0
	v_xor_b32_e32 v1, v1, v45
	s_add_u32 s20, s6, 0x120
	v_sub_u32_e32 v1, v1, v45
	s_addc_u32 s21, s7, 0
	v_mul_lo_u32 v80, v4, s26
	v_lshlrev_b32_e32 v4, 3, v4
	v_mul_lo_u32 v86, v9, s26
	v_lshlrev_b32_e32 v9, 5, v9
	;; [unrolled: 2-line block ×3, first 2 shown]
	v_lshrrev_b32_e32 v39, 3, v47
	v_lshrrev_b32_e32 v41, 3, v43
	v_mul_lo_u32 v96, v1, s12
	s_add_u32 s22, s6, 0x1b0
	v_and_b32_e32 v43, 0x1fc, v43
	v_lshlrev_b32_e32 v45, 5, v13
	v_and_b32_e32 v47, 0x1fc, v47
	v_and_b32_e32 v49, 0x1fc, v6
	;; [unrolled: 1-line block ×3, first 2 shown]
	s_mov_b32 s19, s18
	s_movk_i32 s8, 0x54
	v_cmp_gt_u32_e32 vcc, 4, v13
	v_mul_u32_u24_e32 v21, 0x84, v13
	v_lshrrev_b32_e32 v37, 3, v6
	v_cmp_gt_i32_e64 s[0:1], s11, v1
	v_ashrrev_i32_e32 v1, 31, v96
	s_addc_u32 s23, s7, 0
	v_add_u32_e32 v53, 0x56a0, v2
	v_add_u32_e32 v55, 0x5aa0, v3
	;; [unrolled: 1-line block ×10, first 2 shown]
	v_pk_mov_b32 v[98:99], s[18:19], s[18:19] op_sel:[0,1]
	v_add_u32_e32 v73, v5, v4
	v_add_u32_e32 v75, v75, v9
	;; [unrolled: 1-line block ×5, first 2 shown]
	s_mov_b32 s10, 0x1010101
	v_mov_b32_e32 v83, 4
	v_mov_b32_e32 v85, 15
	v_pk_mov_b32 v[100:101], s[18:19], s[18:19] op_sel:[0,1]
	s_branch .LBB208_5
.LBB208_4:                              ;   in Loop: Header=BB208_5 Depth=1
	s_add_i32 s18, s18, 2
	s_cmp_ge_i32 s18, s26
	s_cbranch_scc1 .LBB208_40
.LBB208_5:                              ; =>This Loop Header: Depth=1
                                        ;     Child Loop BB208_12 Depth 2
                                        ;     Child Loop BB208_20 Depth 2
	;; [unrolled: 1-line block ×4, first 2 shown]
	s_mul_i32 s2, s18, 0x54
	s_mul_hi_u32 s3, s18, 0x54
	s_add_u32 s2, s27, s2
	s_addc_u32 s3, s28, s3
	v_pk_mov_b32 v[2:3], s[2:3], s[2:3] op_sel:[0,1]
	v_mad_u64_u32 v[4:5], s[2:3], v10, s8, v[2:3]
	v_add_co_u32_e64 v4, s[2:3], v4, v12
	v_addc_co_u32_e64 v5, s[2:3], 0, v5, s[2:3]
	v_add_co_u32_e64 v4, s[2:3], 16, v4
	v_addc_co_u32_e64 v5, s[2:3], 0, v5, s[2:3]
	v_mad_i64_i32 v[6:7], s[2:3], v14, s8, v[4:5]
	v_mad_i64_i32 v[8:9], s[2:3], v18, s8, v[4:5]
	;; [unrolled: 1-line block ×8, first 2 shown]
	global_load_dword v87, v[6:7], off
	global_load_dword v89, v[8:9], off
	;; [unrolled: 1-line block ×8, first 2 shown]
	v_mad_i64_i32 v[6:7], s[2:3], v46, s8, v[4:5]
	v_mad_i64_i32 v[8:9], s[2:3], v50, s8, v[4:5]
	;; [unrolled: 1-line block ×8, first 2 shown]
	global_load_dword v112, v[6:7], off
	global_load_dword v113, v[8:9], off
	;; [unrolled: 1-line block ×8, first 2 shown]
	v_mad_i64_i32 v[4:5], s[2:3], v80, s8, v[2:3]
	v_mad_u64_u32 v[4:5], s[2:3], v78, s8, v[4:5]
	v_mad_u64_u32 v[2:3], s[2:3], v82, s8, v[2:3]
	v_add_co_u32_e64 v2, s[2:3], v2, v84
	v_addc_co_u32_e64 v3, s[2:3], 0, v3, s[2:3]
	v_mad_i64_i32 v[6:7], s[2:3], v86, s8, v[2:3]
	v_mad_i64_i32 v[8:9], s[2:3], v88, s8, v[2:3]
	;; [unrolled: 1-line block ×4, first 2 shown]
	global_load_dword v104, v[4:5], off offset:80
	global_load_dword v105, v[6:7], off
	global_load_dword v106, v[8:9], off
	;; [unrolled: 1-line block ×3, first 2 shown]
	s_lshl_b32 s29, s18, 8
	global_load_dword v2, v[2:3], off
	s_cmp_lt_i32 s29, s9
	s_waitcnt vmcnt(20)
	ds_write_b32 v16, v87
	s_waitcnt vmcnt(19)
	ds_write_b32 v20, v89
	;; [unrolled: 2-line block ×21, first 2 shown]
	s_cbranch_scc0 .LBB208_4
; %bb.6:                                ;   in Loop: Header=BB208_5 Depth=1
	s_lshl_b32 s19, s18, 3
	v_add_u32_e32 v2, s19, v15
	v_cmp_gt_i32_e64 s[2:3], s12, v2
	s_and_b64 s[24:25], s[0:1], s[2:3]
	s_and_saveexec_b64 s[2:3], s[24:25]
	s_cbranch_execz .LBB208_8
; %bb.7:                                ;   in Loop: Header=BB208_5 Depth=1
	v_add_u32_e32 v2, v96, v2
	v_mad_i64_i32 v[2:3], s[24:25], v2, 36, v[94:95]
	global_load_dword v2, v[2:3], off offset:4
	s_waitcnt vmcnt(0)
	ds_write_b32 v17, v2
.LBB208_8:                              ;   in Loop: Header=BB208_5 Depth=1
	s_or_b64 exec, exec, s[2:3]
	s_and_saveexec_b64 s[24:25], vcc
	s_cbranch_execz .LBB208_11
; %bb.9:                                ;   in Loop: Header=BB208_5 Depth=1
	v_or_b32_e32 v2, s19, v13
	v_cmp_gt_i32_e64 s[2:3], s12, v2
	s_and_b64 s[2:3], s[0:1], s[2:3]
	s_and_b64 exec, exec, s[2:3]
	s_cbranch_execz .LBB208_11
; %bb.10:                               ;   in Loop: Header=BB208_5 Depth=1
	v_add_u32_e32 v2, v96, v2
	v_mad_i64_i32 v[2:3], s[2:3], v2, 36, s[6:7]
	global_load_dword v2, v[2:3], off
	s_waitcnt vmcnt(0)
	v_cvt_f32_f16_e32 v2, v2
	ds_write_b32 v19, v2
.LBB208_11:                             ;   in Loop: Header=BB208_5 Depth=1
	s_or_b64 exec, exec, s[24:25]
	s_mov_b32 s2, 0
	s_mov_b32 s3, -2
	v_mov_b32_e32 v87, v55
	v_mov_b32_e32 v89, v53
	s_waitcnt lgkmcnt(0)
	s_barrier
.LBB208_12:                             ;   Parent Loop BB208_5 Depth=1
                                        ; =>  This Inner Loop Header: Depth=2
	s_and_b32 s25, s2, -16
	s_add_i32 s24, s3, 2
	v_add_u32_e32 v104, s25, v45
	s_and_b32 s25, s24, 0x3ffffff8
	s_lshr_b32 s30, s24, 2
	s_lshl_b32 s25, s25, 2
	s_and_b32 s30, s30, 0x3ffffffc
	v_add3_u32 v116, v51, s3, v104
	v_add3_u32 v120, v49, s3, v104
	;; [unrolled: 1-line block ×4, first 2 shown]
	v_add_u32_e32 v110, s25, v21
	v_add_u32_e32 v117, s30, v23
	;; [unrolled: 1-line block ×8, first 2 shown]
	ds_read_b32 v102, v87
	ds_read_b128 v[6:9], v89
	ds_read_b128 v[2:5], v89 offset:16
	ds_read2_b32 v[104:105], v110 offset1:1
	ds_read2_b32 v[106:107], v110 offset0:2 offset1:3
	ds_read2_b32 v[108:109], v110 offset0:4 offset1:5
	;; [unrolled: 1-line block ×3, first 2 shown]
	ds_read2_b32 v[112:113], v118 offset1:1
	ds_read2_b32 v[114:115], v118 offset0:2 offset1:3
	ds_read_b32 v146, v117
	ds_read_u16 v147, v116 offset:16898
	ds_read2_b32 v[116:117], v118 offset0:4 offset1:5
	ds_read2_b32 v[118:119], v118 offset0:6 offset1:7
	ds_read_b32 v148, v121
	ds_read_u16 v149, v120 offset:17922
	ds_read2_b32 v[120:121], v126 offset1:1
	ds_read2_b32 v[122:123], v126 offset0:2 offset1:3
	ds_read2_b32 v[124:125], v126 offset0:4 offset1:5
	;; [unrolled: 1-line block ×3, first 2 shown]
	ds_read2_b32 v[128:129], v134 offset1:1
	ds_read2_b32 v[130:131], v134 offset0:2 offset1:3
	ds_read_b32 v150, v133
	ds_read_u16 v151, v132 offset:18946
	ds_read2_b32 v[132:133], v134 offset0:4 offset1:5
	ds_read2_b32 v[134:135], v134 offset0:6 offset1:7
	ds_read_b32 v145, v145
	ds_read_u16 v144, v144 offset:19970
	s_waitcnt lgkmcnt(14)
	v_ashrrev_i32_e32 v152, s24, v104
	v_ashrrev_i32_e32 v154, s24, v106
	;; [unrolled: 1-line block ×4, first 2 shown]
	v_bfe_u32 v160, v147, 4, 4
	s_waitcnt lgkmcnt(12)
	v_bfe_u32 v162, v149, 4, 4
	v_cvt_f32_f16_e32 v104, v146
	v_cvt_f32_f16_sdwa v106, v146 dst_sel:DWORD dst_unused:UNUSED_PAD src0_sel:WORD_1
	s_waitcnt lgkmcnt(4)
	v_bfe_u32 v146, v151, 4, 4
	s_waitcnt lgkmcnt(0)
	v_bfe_u32 v166, v144, 4, 4
	v_mov_b32_e32 v136, 0
	v_mov_b32_e32 v137, 0
	v_mov_b32_e32 v142, 0
	v_mov_b32_e32 v143, 0
	v_ashrrev_i32_e32 v157, s24, v109
	v_ashrrev_i32_e32 v159, s24, v111
	v_cvt_f32_f16_e32 v109, v145
	v_cvt_f32_f16_sdwa v111, v145 dst_sel:DWORD dst_unused:UNUSED_PAD src0_sel:WORD_1
	v_and_b32_e32 v145, 0x3030303, v152
	v_and_b32_e32 v152, 0x3030303, v154
	;; [unrolled: 1-line block ×4, first 2 shown]
	v_mul_lo_u32 v158, v160, s10
	v_mul_lo_u32 v160, v162, s10
	;; [unrolled: 1-line block ×4, first 2 shown]
	v_ashrrev_i32_e32 v112, s24, v112
	v_dot4c_i32_i8_e32 v136, v158, v6
	v_dot4c_i32_i8_e32 v137, v160, v6
	;; [unrolled: 1-line block ×4, first 2 shown]
	v_mov_b32_e32 v91, 0
	v_mov_b32_e32 v97, 0
	v_ashrrev_i32_e32 v153, s24, v105
	v_ashrrev_i32_e32 v113, s24, v113
	;; [unrolled: 1-line block ×5, first 2 shown]
	v_and_b32_e32 v112, 0x3030303, v112
	v_dot4c_i32_i8_e32 v136, v158, v7
	v_dot4c_i32_i8_e32 v137, v160, v7
	;; [unrolled: 1-line block ×4, first 2 shown]
	v_mov_b32_e32 v93, 0
	v_mov_b32_e32 v103, 0
	;; [unrolled: 1-line block ×4, first 2 shown]
	v_ashrrev_i32_e32 v155, s24, v107
	v_ashrrev_i32_e32 v114, s24, v114
	v_ashrrev_i32_e32 v117, s24, v117
	v_lshrrev_b32_sdwa v161, v83, v147 dst_sel:DWORD dst_unused:UNUSED_PAD src0_sel:DWORD src1_sel:BYTE_1
	v_lshrrev_b32_sdwa v165, v83, v149 dst_sel:DWORD dst_unused:UNUSED_PAD src0_sel:DWORD src1_sel:BYTE_1
	v_cvt_f32_f16_e32 v105, v148
	v_cvt_f32_f16_sdwa v107, v148 dst_sel:DWORD dst_unused:UNUSED_PAD src0_sel:WORD_1
	v_ashrrev_i32_e32 v121, s24, v121
	v_ashrrev_i32_e32 v124, s24, v124
	;; [unrolled: 1-line block ×4, first 2 shown]
	v_lshrrev_b32_sdwa v148, v83, v151 dst_sel:DWORD dst_unused:UNUSED_PAD src0_sel:DWORD src1_sel:BYTE_1
	v_lshrrev_b32_sdwa v169, v83, v144 dst_sel:DWORD dst_unused:UNUSED_PAD src0_sel:DWORD src1_sel:BYTE_1
	v_cvt_f32_f16_e32 v108, v150
	v_cvt_f32_f16_sdwa v110, v150 dst_sel:DWORD dst_unused:UNUSED_PAD src0_sel:WORD_1
	v_and_b32_e32 v150, 0x3030303, v153
	v_and_b32_e32 v113, 0x3030303, v113
	;; [unrolled: 1-line block ×5, first 2 shown]
	v_dot4c_i32_i8_e32 v91, v145, v6
	v_dot4c_i32_i8_e32 v97, v112, v6
	;; [unrolled: 1-line block ×6, first 2 shown]
	v_mov_b32_e32 v139, 0
	v_mov_b32_e32 v141, 0
	v_ashrrev_i32_e32 v115, s24, v115
	v_ashrrev_i32_e32 v118, s24, v118
	;; [unrolled: 1-line block ×6, first 2 shown]
	v_and_b32_e32 v153, 0x3030303, v155
	v_and_b32_e32 v155, 0x3030303, v157
	;; [unrolled: 1-line block ×5, first 2 shown]
	v_mul_lo_u32 v159, v161, s10
	v_mul_lo_u32 v161, v165, s10
	v_and_b32_e32 v121, 0x3030303, v121
	v_and_b32_e32 v124, 0x3030303, v124
	;; [unrolled: 1-line block ×4, first 2 shown]
	v_mul_lo_u32 v148, v148, s10
	v_mul_lo_u32 v165, v169, s10
	v_dot4c_i32_i8_e32 v93, v154, v2
	v_dot4c_i32_i8_e32 v103, v116, v2
	;; [unrolled: 1-line block ×10, first 2 shown]
	v_ashrrev_i32_e32 v119, s24, v119
	v_ashrrev_i32_e32 v123, s24, v123
	;; [unrolled: 1-line block ×5, first 2 shown]
	v_and_b32_e32 v115, 0x3030303, v115
	v_and_b32_e32 v118, 0x3030303, v118
	;; [unrolled: 1-line block ×6, first 2 shown]
	v_dot4c_i32_i8_e32 v139, v124, v2
	v_dot4c_i32_i8_e32 v141, v132, v2
	;; [unrolled: 1-line block ×12, first 2 shown]
	v_and_b32_e32 v163, 15, v147
	v_and_b32_e32 v164, 15, v149
	v_ashrrev_i32_e32 v127, s24, v127
	v_ashrrev_i32_e32 v135, s24, v135
	v_and_b32_e32 v119, 0x3030303, v119
	v_and_b32_e32 v123, 0x3030303, v123
	;; [unrolled: 1-line block ×5, first 2 shown]
	v_dot4c_i32_i8_e32 v139, v125, v3
	v_dot4c_i32_i8_e32 v141, v133, v3
	;; [unrolled: 1-line block ×12, first 2 shown]
	s_add_i32 s2, s2, 2
	v_and_b32_sdwa v149, v149, v85 dst_sel:DWORD dst_unused:UNUSED_PAD src0_sel:BYTE_1 src1_sel:DWORD
	v_and_b32_sdwa v147, v147, v85 dst_sel:DWORD dst_unused:UNUSED_PAD src0_sel:BYTE_1 src1_sel:DWORD
	v_and_b32_e32 v167, 15, v151
	v_and_b32_e32 v168, 15, v144
	;; [unrolled: 1-line block ×4, first 2 shown]
	v_dot4c_i32_i8_e32 v139, v126, v4
	v_dot4c_i32_i8_e32 v141, v134, v4
	;; [unrolled: 1-line block ×6, first 2 shown]
	v_mul_lo_u32 v6, v164, v97
	v_mul_lo_u32 v8, v163, v91
	v_dot4c_i32_i8_e32 v136, v159, v4
	v_dot4c_i32_i8_e32 v137, v161, v4
	;; [unrolled: 1-line block ×4, first 2 shown]
	s_mov_b32 s3, s24
	s_cmp_lt_u32 s24, 6
	v_and_b32_sdwa v144, v144, v85 dst_sel:DWORD dst_unused:UNUSED_PAD src0_sel:BYTE_1 src1_sel:DWORD
	v_and_b32_sdwa v151, v151, v85 dst_sel:DWORD dst_unused:UNUSED_PAD src0_sel:BYTE_1 src1_sel:DWORD
	v_dot4c_i32_i8_e32 v139, v127, v5
	v_dot4c_i32_i8_e32 v141, v135, v5
	v_mul_lo_u32 v112, v168, v140
	v_mul_lo_u32 v114, v167, v138
	v_mad_u64_u32 v[8:9], s[24:25], v147, v93, v[8:9]
	v_mad_u64_u32 v[6:7], s[24:25], v149, v103, v[6:7]
	v_dot4c_i32_i8_e32 v136, v159, v5
	v_dot4c_i32_i8_e32 v137, v161, v5
	v_dot4c_i32_i8_e32 v142, v148, v5
	v_dot4c_i32_i8_e32 v143, v165, v5
	v_mad_u64_u32 v[2:3], s[24:25], v151, v139, v[114:115]
	v_mad_u64_u32 v[112:113], s[24:25], v144, v141, v[112:113]
	v_cvt_f32_i32_e32 v7, v6
	v_cvt_f32_i32_e32 v6, v8
	;; [unrolled: 1-line block ×8, first 2 shown]
	v_pk_mul_f32 v[4:5], v[106:107], v[4:5]
	v_pk_mul_f32 v[8:9], v[110:111], v[8:9]
	v_pk_fma_f32 v[4:5], v[104:105], v[6:7], v[4:5] neg_lo:[0,0,1] neg_hi:[0,0,1]
	v_pk_fma_f32 v[2:3], v[108:109], v[2:3], v[8:9] neg_lo:[0,0,1] neg_hi:[0,0,1]
	v_add_u32_e32 v89, 32, v89
	v_add_u32_e32 v87, 4, v87
	v_pk_fma_f32 v[98:99], v[102:103], v[4:5], v[98:99] op_sel_hi:[0,1,1]
	v_pk_fma_f32 v[100:101], v[102:103], v[2:3], v[100:101] op_sel_hi:[0,1,1]
	s_cbranch_scc1 .LBB208_12
; %bb.13:                               ;   in Loop: Header=BB208_5 Depth=1
	s_or_b32 s2, s29, 0x80
	s_cmp_ge_i32 s2, s9
	s_barrier
	s_cbranch_scc1 .LBB208_4
; %bb.14:                               ;   in Loop: Header=BB208_5 Depth=1
	v_add_u32_e32 v2, s19, v37
	v_cmp_gt_i32_e64 s[2:3], s12, v2
	s_and_b64 s[24:25], s[0:1], s[2:3]
	s_and_saveexec_b64 s[2:3], s[24:25]
	s_cbranch_execz .LBB208_16
; %bb.15:                               ;   in Loop: Header=BB208_5 Depth=1
	v_add_u32_e32 v2, v96, v2
	v_mad_i64_i32 v[2:3], s[24:25], v2, 36, v[94:95]
	global_load_dword v2, v[2:3], off offset:4
	s_waitcnt vmcnt(0)
	ds_write_b32 v17, v2
.LBB208_16:                             ;   in Loop: Header=BB208_5 Depth=1
	s_or_b64 exec, exec, s[2:3]
	s_and_saveexec_b64 s[24:25], vcc
	s_cbranch_execz .LBB208_19
; %bb.17:                               ;   in Loop: Header=BB208_5 Depth=1
	v_or_b32_e32 v2, s19, v13
	v_or_b32_e32 v3, 4, v2
	v_cmp_gt_i32_e64 s[2:3], s12, v3
	s_and_b64 s[2:3], s[0:1], s[2:3]
	s_and_b64 exec, exec, s[2:3]
	s_cbranch_execz .LBB208_19
; %bb.18:                               ;   in Loop: Header=BB208_5 Depth=1
	v_ashrrev_i32_e32 v3, 31, v2
	v_add_co_u32_e64 v2, s[2:3], v96, v2
	v_addc_co_u32_e64 v4, s[2:3], v1, v3, s[2:3]
	v_mad_u64_u32 v[2:3], s[2:3], v2, 36, s[4:5]
	v_mad_i32_i24 v3, v4, 36, v3
	global_load_dword v2, v[2:3], off
	s_waitcnt vmcnt(0)
	v_cvt_f32_f16_e32 v2, v2
	ds_write_b32 v19, v2
.LBB208_19:                             ;   in Loop: Header=BB208_5 Depth=1
	s_or_b64 exec, exec, s[24:25]
	s_mov_b32 s2, 8
	s_mov_b32 s3, 0
	v_mov_b32_e32 v87, v53
	v_mov_b32_e32 v89, v55
	s_waitcnt lgkmcnt(0)
	s_barrier
.LBB208_20:                             ;   Parent Loop BB208_5 Depth=1
                                        ; =>  This Inner Loop Header: Depth=2
	s_add_i32 s24, s3, 8
	s_and_b32 s25, s2, -16
	v_add_u32_e32 v91, s3, v45
	s_and_b32 s30, s24, 0x3ffffff8
	s_lshr_b32 s31, s24, 2
	v_add3_u32 v116, v63, s25, v91
	v_add3_u32 v120, v61, s25, v91
	v_add3_u32 v132, v59, s25, v91
	v_add3_u32 v91, v57, s25, v91
	s_lshl_b32 s25, s30, 2
	s_and_b32 s30, s31, 0x3ffffffc
	v_add_u32_e32 v110, s25, v21
	v_add_u32_e32 v117, s30, v23
	;; [unrolled: 1-line block ×8, first 2 shown]
	ds_read_b32 v102, v89
	ds_read_b128 v[6:9], v87
	ds_read_b128 v[2:5], v87 offset:16
	ds_read2_b32 v[104:105], v110 offset1:1
	ds_read2_b32 v[106:107], v110 offset0:2 offset1:3
	ds_read2_b32 v[108:109], v110 offset0:4 offset1:5
	;; [unrolled: 1-line block ×3, first 2 shown]
	ds_read2_b32 v[112:113], v118 offset1:1
	ds_read2_b32 v[114:115], v118 offset0:2 offset1:3
	ds_read_b32 v146, v117
	ds_read_u16 v147, v116
	ds_read2_b32 v[116:117], v118 offset0:4 offset1:5
	ds_read2_b32 v[118:119], v118 offset0:6 offset1:7
	ds_read_b32 v148, v121
	ds_read_u16 v149, v120
	ds_read2_b32 v[120:121], v126 offset1:1
	ds_read2_b32 v[122:123], v126 offset0:2 offset1:3
	ds_read2_b32 v[124:125], v126 offset0:4 offset1:5
	ds_read2_b32 v[126:127], v126 offset0:6 offset1:7
	ds_read2_b32 v[128:129], v134 offset1:1
	ds_read2_b32 v[130:131], v134 offset0:2 offset1:3
	ds_read_b32 v150, v133
	ds_read_u16 v151, v132
	ds_read2_b32 v[132:133], v134 offset0:4 offset1:5
	ds_read2_b32 v[134:135], v134 offset0:6 offset1:7
	ds_read_b32 v145, v145
	ds_read_u16 v91, v91
	s_waitcnt lgkmcnt(14)
	v_ashrrev_i32_e32 v152, s3, v104
	v_ashrrev_i32_e32 v153, s3, v105
	;; [unrolled: 1-line block ×8, first 2 shown]
	v_bfe_u32 v160, v147, 4, 4
	v_lshrrev_b32_sdwa v162, v83, v147 dst_sel:DWORD dst_unused:UNUSED_PAD src0_sel:DWORD src1_sel:BYTE_1
	s_waitcnt lgkmcnt(12)
	v_bfe_u32 v163, v149, 4, 4
	v_lshrrev_b32_sdwa v165, v83, v149 dst_sel:DWORD dst_unused:UNUSED_PAD src0_sel:DWORD src1_sel:BYTE_1
	v_cvt_f32_f16_e32 v104, v146
	v_cvt_f32_f16_sdwa v106, v146 dst_sel:DWORD dst_unused:UNUSED_PAD src0_sel:WORD_1
	s_waitcnt lgkmcnt(4)
	v_bfe_u32 v146, v151, 4, 4
	s_waitcnt lgkmcnt(0)
	v_bfe_u32 v167, v91, 4, 4
	v_mov_b32_e32 v97, 0
	v_mov_b32_e32 v137, 0
	;; [unrolled: 1-line block ×4, first 2 shown]
	v_cvt_f32_f16_e32 v109, v145
	v_cvt_f32_f16_e32 v108, v150
	v_cvt_f32_f16_sdwa v111, v145 dst_sel:DWORD dst_unused:UNUSED_PAD src0_sel:WORD_1
	v_cvt_f32_f16_sdwa v110, v150 dst_sel:DWORD dst_unused:UNUSED_PAD src0_sel:WORD_1
	v_and_b32_e32 v145, 0x3030303, v152
	v_and_b32_e32 v150, 0x3030303, v153
	;; [unrolled: 1-line block ×8, first 2 shown]
	v_mul_lo_u32 v158, v160, s10
	v_mul_lo_u32 v159, v162, s10
	;; [unrolled: 1-line block ×6, first 2 shown]
	v_ashrrev_i32_e32 v112, s3, v112
	v_dot4c_i32_i8_e32 v97, v158, v6
	v_dot4c_i32_i8_e32 v137, v160, v6
	;; [unrolled: 1-line block ×4, first 2 shown]
	v_mov_b32_e32 v93, 0
	v_mov_b32_e32 v136, 0
	v_ashrrev_i32_e32 v113, s3, v113
	v_ashrrev_i32_e32 v116, s3, v116
	;; [unrolled: 1-line block ×4, first 2 shown]
	v_and_b32_e32 v112, 0x3030303, v112
	v_dot4c_i32_i8_e32 v97, v158, v7
	v_dot4c_i32_i8_e32 v137, v160, v7
	v_dot4c_i32_i8_e32 v140, v146, v7
	v_dot4c_i32_i8_e32 v143, v165, v7
	v_mov_b32_e32 v103, 0
	v_mov_b32_e32 v138, 0
	;; [unrolled: 1-line block ×4, first 2 shown]
	v_ashrrev_i32_e32 v114, s3, v114
	v_ashrrev_i32_e32 v117, s3, v117
	;; [unrolled: 1-line block ×4, first 2 shown]
	v_lshrrev_b32_sdwa v166, v83, v151 dst_sel:DWORD dst_unused:UNUSED_PAD src0_sel:DWORD src1_sel:BYTE_1
	v_ashrrev_i32_e32 v129, s3, v129
	v_ashrrev_i32_e32 v132, s3, v132
	v_lshrrev_b32_sdwa v169, v83, v91 dst_sel:DWORD dst_unused:UNUSED_PAD src0_sel:DWORD src1_sel:BYTE_1
	v_and_b32_e32 v113, 0x3030303, v113
	v_and_b32_e32 v116, 0x3030303, v116
	;; [unrolled: 1-line block ×4, first 2 shown]
	v_dot4c_i32_i8_e32 v93, v145, v6
	v_dot4c_i32_i8_e32 v136, v112, v6
	;; [unrolled: 1-line block ×6, first 2 shown]
	v_mov_b32_e32 v141, 0
	v_mov_b32_e32 v144, 0
	v_ashrrev_i32_e32 v115, s3, v115
	v_ashrrev_i32_e32 v118, s3, v118
	;; [unrolled: 1-line block ×6, first 2 shown]
	v_and_b32_e32 v114, 0x3030303, v114
	v_and_b32_e32 v117, 0x3030303, v117
	;; [unrolled: 1-line block ×4, first 2 shown]
	v_mul_lo_u32 v163, v166, s10
	v_and_b32_e32 v129, 0x3030303, v129
	v_and_b32_e32 v132, 0x3030303, v132
	v_mul_lo_u32 v166, v169, s10
	v_dot4c_i32_i8_e32 v103, v154, v2
	v_dot4c_i32_i8_e32 v138, v116, v2
	;; [unrolled: 1-line block ×10, first 2 shown]
	v_ashrrev_i32_e32 v119, s3, v119
	v_ashrrev_i32_e32 v123, s3, v123
	;; [unrolled: 1-line block ×5, first 2 shown]
	v_and_b32_e32 v115, 0x3030303, v115
	v_and_b32_e32 v118, 0x3030303, v118
	;; [unrolled: 1-line block ×6, first 2 shown]
	v_dot4c_i32_i8_e32 v141, v124, v2
	v_dot4c_i32_i8_e32 v144, v132, v2
	;; [unrolled: 1-line block ×12, first 2 shown]
	v_and_b32_e32 v161, 15, v147
	v_and_b32_e32 v164, 15, v149
	v_ashrrev_i32_e32 v127, s3, v127
	v_ashrrev_i32_e32 v135, s3, v135
	v_and_b32_e32 v119, 0x3030303, v119
	v_and_b32_e32 v123, 0x3030303, v123
	;; [unrolled: 1-line block ×5, first 2 shown]
	v_dot4c_i32_i8_e32 v141, v125, v3
	v_dot4c_i32_i8_e32 v144, v133, v3
	;; [unrolled: 1-line block ×12, first 2 shown]
	s_add_i32 s2, s2, 2
	v_and_b32_sdwa v147, v147, v85 dst_sel:DWORD dst_unused:UNUSED_PAD src0_sel:BYTE_1 src1_sel:DWORD
	v_and_b32_sdwa v149, v149, v85 dst_sel:DWORD dst_unused:UNUSED_PAD src0_sel:BYTE_1 src1_sel:DWORD
	v_cvt_f32_f16_e32 v105, v148
	v_cvt_f32_f16_sdwa v107, v148 dst_sel:DWORD dst_unused:UNUSED_PAD src0_sel:WORD_1
	v_and_b32_e32 v148, 15, v151
	v_and_b32_e32 v168, 15, v91
	s_add_i32 s3, s3, 2
	v_and_b32_e32 v127, 0x3030303, v127
	v_and_b32_e32 v135, 0x3030303, v135
	v_dot4c_i32_i8_e32 v141, v126, v4
	v_dot4c_i32_i8_e32 v144, v134, v4
	;; [unrolled: 1-line block ×6, first 2 shown]
	v_mul_lo_u32 v6, v161, v93
	v_mul_lo_u32 v8, v164, v136
	v_dot4c_i32_i8_e32 v97, v159, v4
	v_dot4c_i32_i8_e32 v137, v162, v4
	;; [unrolled: 1-line block ×4, first 2 shown]
	v_and_b32_sdwa v151, v151, v85 dst_sel:DWORD dst_unused:UNUSED_PAD src0_sel:BYTE_1 src1_sel:DWORD
	v_and_b32_sdwa v91, v91, v85 dst_sel:DWORD dst_unused:UNUSED_PAD src0_sel:BYTE_1 src1_sel:DWORD
	s_cmp_lt_u32 s24, 14
	v_dot4c_i32_i8_e32 v141, v127, v5
	v_dot4c_i32_i8_e32 v144, v135, v5
	v_mul_lo_u32 v112, v148, v139
	v_mul_lo_u32 v114, v168, v142
	v_mad_u64_u32 v[6:7], s[24:25], v147, v103, v[6:7]
	v_mad_u64_u32 v[8:9], s[24:25], v149, v138, v[8:9]
	v_dot4c_i32_i8_e32 v97, v159, v5
	v_dot4c_i32_i8_e32 v137, v162, v5
	;; [unrolled: 1-line block ×4, first 2 shown]
	v_mad_u64_u32 v[112:113], s[24:25], v151, v141, v[112:113]
	v_mad_u64_u32 v[2:3], s[24:25], v91, v144, v[114:115]
	v_cvt_f32_i32_e32 v7, v8
	v_cvt_f32_i32_e32 v5, v137
	;; [unrolled: 1-line block ×8, first 2 shown]
	v_pk_mul_f32 v[4:5], v[106:107], v[4:5]
	v_pk_mul_f32 v[8:9], v[110:111], v[8:9]
	v_pk_fma_f32 v[4:5], v[104:105], v[6:7], v[4:5] neg_lo:[0,0,1] neg_hi:[0,0,1]
	v_pk_fma_f32 v[2:3], v[108:109], v[2:3], v[8:9] neg_lo:[0,0,1] neg_hi:[0,0,1]
	v_add_u32_e32 v89, 4, v89
	v_add_u32_e32 v87, 32, v87
	v_pk_fma_f32 v[98:99], v[102:103], v[4:5], v[98:99] op_sel_hi:[0,1,1]
	v_pk_fma_f32 v[100:101], v[102:103], v[2:3], v[100:101] op_sel_hi:[0,1,1]
	s_cbranch_scc1 .LBB208_20
; %bb.21:                               ;   in Loop: Header=BB208_5 Depth=1
	s_or_b32 s2, s29, 0x100
	s_cmp_ge_i32 s2, s9
	s_barrier
	s_cbranch_scc1 .LBB208_4
; %bb.22:                               ;   in Loop: Header=BB208_5 Depth=1
	v_add_u32_e32 v2, s19, v39
	v_cmp_gt_i32_e64 s[2:3], s12, v2
	s_and_b64 s[24:25], s[0:1], s[2:3]
	s_and_saveexec_b64 s[2:3], s[24:25]
	s_cbranch_execz .LBB208_24
; %bb.23:                               ;   in Loop: Header=BB208_5 Depth=1
	v_add_u32_e32 v2, v96, v2
	v_mad_i64_i32 v[2:3], s[24:25], v2, 36, v[94:95]
	global_load_dword v2, v[2:3], off offset:4
	s_waitcnt vmcnt(0)
	ds_write_b32 v17, v2
.LBB208_24:                             ;   in Loop: Header=BB208_5 Depth=1
	s_or_b64 exec, exec, s[2:3]
	s_and_saveexec_b64 s[24:25], vcc
	s_cbranch_execz .LBB208_27
; %bb.25:                               ;   in Loop: Header=BB208_5 Depth=1
	v_or_b32_e32 v2, s19, v13
	v_or_b32_e32 v3, 8, v2
	v_cmp_gt_i32_e64 s[2:3], s12, v3
	s_and_b64 s[2:3], s[0:1], s[2:3]
	s_and_b64 exec, exec, s[2:3]
	s_cbranch_execz .LBB208_27
; %bb.26:                               ;   in Loop: Header=BB208_5 Depth=1
	v_ashrrev_i32_e32 v3, 31, v2
	v_add_co_u32_e64 v2, s[2:3], v96, v2
	v_addc_co_u32_e64 v4, s[2:3], v1, v3, s[2:3]
	v_mad_u64_u32 v[2:3], s[2:3], v2, 36, s[20:21]
	v_mad_i32_i24 v3, v4, 36, v3
	global_load_dword v2, v[2:3], off
	s_waitcnt vmcnt(0)
	v_cvt_f32_f16_e32 v2, v2
	ds_write_b32 v19, v2
.LBB208_27:                             ;   in Loop: Header=BB208_5 Depth=1
	s_or_b64 exec, exec, s[24:25]
	s_mov_b32 s2, 16
	s_mov_b32 s3, 14
	v_mov_b32_e32 v87, v53
	v_mov_b32_e32 v89, v55
	s_waitcnt lgkmcnt(0)
	s_barrier
.LBB208_28:                             ;   Parent Loop BB208_5 Depth=1
                                        ; =>  This Inner Loop Header: Depth=2
	s_add_i32 s25, s3, 2
	s_and_b32 s30, s2, -16
	s_and_b32 s31, s25, 0x3ffffff8
	s_lshr_b32 s33, s25, 2
	s_add_i32 s30, s3, s30
	s_lshl_b32 s31, s31, 2
	s_and_b32 s33, s33, 0x3ffffffc
	v_add_u32_e32 v116, s30, v71
	v_add_u32_e32 v120, s30, v69
	;; [unrolled: 1-line block ×12, first 2 shown]
	ds_read_b32 v102, v89
	ds_read_b128 v[6:9], v87
	ds_read_b128 v[2:5], v87 offset:16
	ds_read2_b32 v[104:105], v110 offset1:1
	ds_read2_b32 v[106:107], v110 offset0:2 offset1:3
	ds_read2_b32 v[108:109], v110 offset0:4 offset1:5
	;; [unrolled: 1-line block ×3, first 2 shown]
	ds_read2_b32 v[112:113], v118 offset1:1
	ds_read2_b32 v[114:115], v118 offset0:2 offset1:3
	ds_read_b32 v146, v117
	ds_read_u16 v147, v116 offset:16882
	ds_read2_b32 v[116:117], v118 offset0:4 offset1:5
	ds_read2_b32 v[118:119], v118 offset0:6 offset1:7
	ds_read_b32 v148, v121
	ds_read_u16 v149, v120 offset:17906
	ds_read2_b32 v[120:121], v126 offset1:1
	ds_read2_b32 v[122:123], v126 offset0:2 offset1:3
	ds_read2_b32 v[124:125], v126 offset0:4 offset1:5
	;; [unrolled: 1-line block ×3, first 2 shown]
	ds_read2_b32 v[128:129], v134 offset1:1
	ds_read2_b32 v[130:131], v134 offset0:2 offset1:3
	ds_read_b32 v150, v133
	ds_read_u16 v151, v132 offset:18930
	ds_read2_b32 v[132:133], v134 offset0:4 offset1:5
	ds_read2_b32 v[134:135], v134 offset0:6 offset1:7
	ds_read_b32 v145, v145
	ds_read_u16 v144, v144 offset:19954
	s_add_i32 s24, s3, -14
	s_waitcnt lgkmcnt(14)
	v_ashrrev_i32_e32 v152, s24, v104
	v_ashrrev_i32_e32 v153, s24, v105
	;; [unrolled: 1-line block ×8, first 2 shown]
	v_bfe_u32 v160, v147, 4, 4
	v_lshrrev_b32_sdwa v162, v83, v147 dst_sel:DWORD dst_unused:UNUSED_PAD src0_sel:DWORD src1_sel:BYTE_1
	s_waitcnt lgkmcnt(12)
	v_bfe_u32 v163, v149, 4, 4
	v_lshrrev_b32_sdwa v165, v83, v149 dst_sel:DWORD dst_unused:UNUSED_PAD src0_sel:DWORD src1_sel:BYTE_1
	v_cvt_f32_f16_e32 v104, v146
	v_cvt_f32_f16_sdwa v106, v146 dst_sel:DWORD dst_unused:UNUSED_PAD src0_sel:WORD_1
	s_waitcnt lgkmcnt(4)
	v_bfe_u32 v146, v151, 4, 4
	s_waitcnt lgkmcnt(0)
	v_bfe_u32 v167, v144, 4, 4
	v_mov_b32_e32 v93, 0
	v_mov_b32_e32 v136, 0
	;; [unrolled: 1-line block ×4, first 2 shown]
	v_cvt_f32_f16_e32 v109, v145
	v_cvt_f32_f16_e32 v108, v150
	v_cvt_f32_f16_sdwa v111, v145 dst_sel:DWORD dst_unused:UNUSED_PAD src0_sel:WORD_1
	v_cvt_f32_f16_sdwa v110, v150 dst_sel:DWORD dst_unused:UNUSED_PAD src0_sel:WORD_1
	v_and_b32_e32 v145, 0x3030303, v152
	v_and_b32_e32 v150, 0x3030303, v153
	;; [unrolled: 1-line block ×8, first 2 shown]
	v_mul_lo_u32 v158, v160, s10
	v_mul_lo_u32 v159, v162, s10
	;; [unrolled: 1-line block ×6, first 2 shown]
	v_ashrrev_i32_e32 v112, s24, v112
	v_dot4c_i32_i8_e32 v93, v158, v6
	v_dot4c_i32_i8_e32 v136, v160, v6
	;; [unrolled: 1-line block ×4, first 2 shown]
	v_mov_b32_e32 v91, 0
	v_mov_b32_e32 v103, 0
	v_ashrrev_i32_e32 v113, s24, v113
	v_ashrrev_i32_e32 v116, s24, v116
	;; [unrolled: 1-line block ×4, first 2 shown]
	v_and_b32_e32 v112, 0x3030303, v112
	v_dot4c_i32_i8_e32 v93, v158, v7
	v_dot4c_i32_i8_e32 v136, v160, v7
	;; [unrolled: 1-line block ×4, first 2 shown]
	v_mov_b32_e32 v97, 0
	v_mov_b32_e32 v137, 0
	;; [unrolled: 1-line block ×4, first 2 shown]
	v_ashrrev_i32_e32 v114, s24, v114
	v_ashrrev_i32_e32 v117, s24, v117
	;; [unrolled: 1-line block ×4, first 2 shown]
	v_lshrrev_b32_sdwa v166, v83, v151 dst_sel:DWORD dst_unused:UNUSED_PAD src0_sel:DWORD src1_sel:BYTE_1
	v_ashrrev_i32_e32 v129, s24, v129
	v_ashrrev_i32_e32 v132, s24, v132
	v_lshrrev_b32_sdwa v169, v83, v144 dst_sel:DWORD dst_unused:UNUSED_PAD src0_sel:DWORD src1_sel:BYTE_1
	v_and_b32_e32 v113, 0x3030303, v113
	v_and_b32_e32 v116, 0x3030303, v116
	;; [unrolled: 1-line block ×4, first 2 shown]
	v_dot4c_i32_i8_e32 v91, v145, v6
	v_dot4c_i32_i8_e32 v103, v112, v6
	;; [unrolled: 1-line block ×6, first 2 shown]
	v_mov_b32_e32 v140, 0
	v_mov_b32_e32 v143, 0
	v_ashrrev_i32_e32 v115, s24, v115
	v_ashrrev_i32_e32 v118, s24, v118
	;; [unrolled: 1-line block ×6, first 2 shown]
	v_and_b32_e32 v114, 0x3030303, v114
	v_and_b32_e32 v117, 0x3030303, v117
	;; [unrolled: 1-line block ×4, first 2 shown]
	v_mul_lo_u32 v163, v166, s10
	v_and_b32_e32 v129, 0x3030303, v129
	v_and_b32_e32 v132, 0x3030303, v132
	v_mul_lo_u32 v166, v169, s10
	v_dot4c_i32_i8_e32 v97, v154, v2
	v_dot4c_i32_i8_e32 v137, v116, v2
	;; [unrolled: 1-line block ×10, first 2 shown]
	v_ashrrev_i32_e32 v119, s24, v119
	v_ashrrev_i32_e32 v123, s24, v123
	;; [unrolled: 1-line block ×5, first 2 shown]
	v_and_b32_e32 v115, 0x3030303, v115
	v_and_b32_e32 v118, 0x3030303, v118
	;; [unrolled: 1-line block ×6, first 2 shown]
	v_dot4c_i32_i8_e32 v140, v124, v2
	v_dot4c_i32_i8_e32 v143, v132, v2
	;; [unrolled: 1-line block ×12, first 2 shown]
	v_and_b32_e32 v161, 15, v147
	v_and_b32_e32 v164, 15, v149
	v_ashrrev_i32_e32 v127, s24, v127
	v_ashrrev_i32_e32 v135, s24, v135
	v_and_b32_e32 v119, 0x3030303, v119
	v_and_b32_e32 v123, 0x3030303, v123
	;; [unrolled: 1-line block ×5, first 2 shown]
	v_dot4c_i32_i8_e32 v140, v125, v3
	v_dot4c_i32_i8_e32 v143, v133, v3
	v_dot4c_i32_i8_e32 v97, v156, v4
	v_dot4c_i32_i8_e32 v137, v118, v4
	v_dot4c_i32_i8_e32 v138, v122, v8
	v_dot4c_i32_i8_e32 v141, v130, v8
	v_dot4c_i32_i8_e32 v91, v153, v9
	v_dot4c_i32_i8_e32 v103, v115, v9
	v_dot4c_i32_i8_e32 v93, v159, v3
	v_dot4c_i32_i8_e32 v136, v162, v3
	v_dot4c_i32_i8_e32 v139, v163, v3
	v_dot4c_i32_i8_e32 v142, v166, v3
	s_add_i32 s2, s2, 2
	v_and_b32_sdwa v147, v147, v85 dst_sel:DWORD dst_unused:UNUSED_PAD src0_sel:BYTE_1 src1_sel:DWORD
	v_and_b32_sdwa v149, v149, v85 dst_sel:DWORD dst_unused:UNUSED_PAD src0_sel:BYTE_1 src1_sel:DWORD
	v_cvt_f32_f16_e32 v105, v148
	v_cvt_f32_f16_sdwa v107, v148 dst_sel:DWORD dst_unused:UNUSED_PAD src0_sel:WORD_1
	v_and_b32_e32 v148, 15, v151
	v_and_b32_e32 v168, 15, v144
	;; [unrolled: 1-line block ×4, first 2 shown]
	v_dot4c_i32_i8_e32 v140, v126, v4
	v_dot4c_i32_i8_e32 v143, v134, v4
	;; [unrolled: 1-line block ×6, first 2 shown]
	v_mul_lo_u32 v6, v164, v103
	v_mul_lo_u32 v8, v161, v91
	v_dot4c_i32_i8_e32 v93, v159, v4
	v_dot4c_i32_i8_e32 v136, v162, v4
	;; [unrolled: 1-line block ×4, first 2 shown]
	s_mov_b32 s3, s25
	s_cmp_lt_u32 s25, 22
	v_and_b32_sdwa v151, v151, v85 dst_sel:DWORD dst_unused:UNUSED_PAD src0_sel:BYTE_1 src1_sel:DWORD
	v_and_b32_sdwa v144, v144, v85 dst_sel:DWORD dst_unused:UNUSED_PAD src0_sel:BYTE_1 src1_sel:DWORD
	v_dot4c_i32_i8_e32 v140, v127, v5
	v_dot4c_i32_i8_e32 v143, v135, v5
	v_mul_lo_u32 v2, v168, v141
	v_mul_lo_u32 v112, v148, v138
	v_mad_u64_u32 v[8:9], s[24:25], v147, v97, v[8:9]
	v_mad_u64_u32 v[6:7], s[24:25], v149, v137, v[6:7]
	v_dot4c_i32_i8_e32 v93, v159, v5
	v_dot4c_i32_i8_e32 v136, v162, v5
	;; [unrolled: 1-line block ×4, first 2 shown]
	v_mad_u64_u32 v[112:113], s[24:25], v151, v140, v[112:113]
	v_mad_u64_u32 v[2:3], s[24:25], v144, v143, v[2:3]
	v_cvt_f32_i32_e32 v7, v6
	v_cvt_f32_i32_e32 v6, v8
	;; [unrolled: 1-line block ×8, first 2 shown]
	v_pk_mul_f32 v[4:5], v[106:107], v[4:5]
	v_pk_mul_f32 v[8:9], v[110:111], v[8:9]
	v_pk_fma_f32 v[4:5], v[104:105], v[6:7], v[4:5] neg_lo:[0,0,1] neg_hi:[0,0,1]
	v_pk_fma_f32 v[2:3], v[108:109], v[2:3], v[8:9] neg_lo:[0,0,1] neg_hi:[0,0,1]
	v_add_u32_e32 v89, 4, v89
	v_add_u32_e32 v87, 32, v87
	v_pk_fma_f32 v[98:99], v[102:103], v[4:5], v[98:99] op_sel_hi:[0,1,1]
	v_pk_fma_f32 v[100:101], v[102:103], v[2:3], v[100:101] op_sel_hi:[0,1,1]
	s_cbranch_scc1 .LBB208_28
; %bb.29:                               ;   in Loop: Header=BB208_5 Depth=1
	s_or_b32 s2, s29, 0x180
	s_cmp_ge_i32 s2, s9
	s_barrier
	s_cbranch_scc1 .LBB208_4
; %bb.30:                               ;   in Loop: Header=BB208_5 Depth=1
	v_add_u32_e32 v2, s19, v41
	v_cmp_gt_i32_e64 s[2:3], s12, v2
	s_and_b64 s[24:25], s[0:1], s[2:3]
	s_and_saveexec_b64 s[2:3], s[24:25]
	s_cbranch_execz .LBB208_32
; %bb.31:                               ;   in Loop: Header=BB208_5 Depth=1
	v_add_u32_e32 v2, v96, v2
	v_mad_i64_i32 v[2:3], s[24:25], v2, 36, v[94:95]
	global_load_dword v2, v[2:3], off offset:4
	s_waitcnt vmcnt(0)
	ds_write_b32 v17, v2
.LBB208_32:                             ;   in Loop: Header=BB208_5 Depth=1
	s_or_b64 exec, exec, s[2:3]
	s_and_saveexec_b64 s[24:25], vcc
	s_cbranch_execz .LBB208_35
; %bb.33:                               ;   in Loop: Header=BB208_5 Depth=1
	v_or_b32_e32 v2, s19, v13
	v_or_b32_e32 v3, 12, v2
	v_cmp_gt_i32_e64 s[2:3], s12, v3
	s_and_b64 s[2:3], s[0:1], s[2:3]
	s_and_b64 exec, exec, s[2:3]
	s_cbranch_execz .LBB208_35
; %bb.34:                               ;   in Loop: Header=BB208_5 Depth=1
	v_ashrrev_i32_e32 v3, 31, v2
	v_add_co_u32_e64 v2, s[2:3], v96, v2
	v_addc_co_u32_e64 v4, s[2:3], v1, v3, s[2:3]
	v_mad_u64_u32 v[2:3], s[2:3], v2, 36, s[22:23]
	v_mad_i32_i24 v3, v4, 36, v3
	global_load_dword v2, v[2:3], off
	s_waitcnt vmcnt(0)
	v_cvt_f32_f16_e32 v2, v2
	ds_write_b32 v19, v2
.LBB208_35:                             ;   in Loop: Header=BB208_5 Depth=1
	s_or_b64 exec, exec, s[24:25]
	s_mov_b32 s2, 24
	s_mov_b32 s3, 22
	v_mov_b32_e32 v87, v53
	v_mov_b32_e32 v89, v55
	s_waitcnt lgkmcnt(0)
	s_barrier
.LBB208_36:                             ;   Parent Loop BB208_5 Depth=1
                                        ; =>  This Inner Loop Header: Depth=2
	s_add_i32 s24, s3, 2
	s_and_b32 s25, s2, -16
	s_and_b32 s29, s24, 0x3ffffff8
	s_lshr_b32 s30, s24, 2
	s_add_i32 s25, s3, s25
	s_lshl_b32 s29, s29, 2
	s_and_b32 s30, s30, 0x3ffffffc
	v_add_u32_e32 v116, s25, v71
	v_add_u32_e32 v120, s25, v69
	;; [unrolled: 1-line block ×12, first 2 shown]
	ds_read_b32 v102, v89
	ds_read_b128 v[6:9], v87
	ds_read_b128 v[2:5], v87 offset:16
	ds_read2_b32 v[104:105], v110 offset1:1
	ds_read2_b32 v[106:107], v110 offset0:2 offset1:3
	ds_read2_b32 v[108:109], v110 offset0:4 offset1:5
	;; [unrolled: 1-line block ×3, first 2 shown]
	ds_read2_b32 v[112:113], v118 offset1:1
	ds_read2_b32 v[114:115], v118 offset0:2 offset1:3
	ds_read_b32 v146, v117
	ds_read_u16 v147, v116 offset:16882
	ds_read2_b32 v[116:117], v118 offset0:4 offset1:5
	ds_read2_b32 v[118:119], v118 offset0:6 offset1:7
	ds_read_b32 v148, v121
	ds_read_u16 v149, v120 offset:17906
	ds_read2_b32 v[120:121], v126 offset1:1
	ds_read2_b32 v[122:123], v126 offset0:2 offset1:3
	ds_read2_b32 v[124:125], v126 offset0:4 offset1:5
	;; [unrolled: 1-line block ×3, first 2 shown]
	ds_read2_b32 v[128:129], v134 offset1:1
	ds_read2_b32 v[130:131], v134 offset0:2 offset1:3
	ds_read_b32 v150, v133
	ds_read_u16 v151, v132 offset:18930
	ds_read2_b32 v[132:133], v134 offset0:4 offset1:5
	ds_read2_b32 v[134:135], v134 offset0:6 offset1:7
	ds_read_b32 v145, v145
	ds_read_u16 v144, v144 offset:19954
	s_sub_i32 s19, s3, 22
	s_waitcnt lgkmcnt(14)
	v_ashrrev_i32_e32 v152, s19, v104
	v_ashrrev_i32_e32 v154, s19, v106
	;; [unrolled: 1-line block ×4, first 2 shown]
	v_bfe_u32 v160, v147, 4, 4
	s_waitcnt lgkmcnt(12)
	v_bfe_u32 v162, v149, 4, 4
	v_cvt_f32_f16_e32 v104, v146
	v_cvt_f32_f16_sdwa v106, v146 dst_sel:DWORD dst_unused:UNUSED_PAD src0_sel:WORD_1
	s_waitcnt lgkmcnt(4)
	v_bfe_u32 v146, v151, 4, 4
	s_waitcnt lgkmcnt(0)
	v_bfe_u32 v166, v144, 4, 4
	v_mov_b32_e32 v136, 0
	v_mov_b32_e32 v137, 0
	;; [unrolled: 1-line block ×4, first 2 shown]
	v_ashrrev_i32_e32 v157, s19, v109
	v_ashrrev_i32_e32 v159, s19, v111
	v_cvt_f32_f16_e32 v109, v145
	v_cvt_f32_f16_sdwa v111, v145 dst_sel:DWORD dst_unused:UNUSED_PAD src0_sel:WORD_1
	v_and_b32_e32 v145, 0x3030303, v152
	v_and_b32_e32 v152, 0x3030303, v154
	;; [unrolled: 1-line block ×4, first 2 shown]
	v_mul_lo_u32 v158, v160, s10
	v_mul_lo_u32 v160, v162, s10
	;; [unrolled: 1-line block ×4, first 2 shown]
	v_ashrrev_i32_e32 v112, s19, v112
	v_dot4c_i32_i8_e32 v136, v158, v6
	v_dot4c_i32_i8_e32 v137, v160, v6
	;; [unrolled: 1-line block ×4, first 2 shown]
	v_mov_b32_e32 v91, 0
	v_mov_b32_e32 v97, 0
	v_ashrrev_i32_e32 v153, s19, v105
	v_ashrrev_i32_e32 v113, s19, v113
	;; [unrolled: 1-line block ×5, first 2 shown]
	v_and_b32_e32 v112, 0x3030303, v112
	v_dot4c_i32_i8_e32 v136, v158, v7
	v_dot4c_i32_i8_e32 v137, v160, v7
	;; [unrolled: 1-line block ×4, first 2 shown]
	v_mov_b32_e32 v93, 0
	v_mov_b32_e32 v103, 0
	;; [unrolled: 1-line block ×4, first 2 shown]
	v_ashrrev_i32_e32 v155, s19, v107
	v_ashrrev_i32_e32 v114, s19, v114
	;; [unrolled: 1-line block ×3, first 2 shown]
	v_lshrrev_b32_sdwa v161, v83, v147 dst_sel:DWORD dst_unused:UNUSED_PAD src0_sel:DWORD src1_sel:BYTE_1
	v_lshrrev_b32_sdwa v165, v83, v149 dst_sel:DWORD dst_unused:UNUSED_PAD src0_sel:DWORD src1_sel:BYTE_1
	v_cvt_f32_f16_e32 v105, v148
	v_cvt_f32_f16_sdwa v107, v148 dst_sel:DWORD dst_unused:UNUSED_PAD src0_sel:WORD_1
	v_ashrrev_i32_e32 v121, s19, v121
	v_ashrrev_i32_e32 v124, s19, v124
	;; [unrolled: 1-line block ×4, first 2 shown]
	v_lshrrev_b32_sdwa v148, v83, v151 dst_sel:DWORD dst_unused:UNUSED_PAD src0_sel:DWORD src1_sel:BYTE_1
	v_lshrrev_b32_sdwa v169, v83, v144 dst_sel:DWORD dst_unused:UNUSED_PAD src0_sel:DWORD src1_sel:BYTE_1
	v_cvt_f32_f16_e32 v108, v150
	v_cvt_f32_f16_sdwa v110, v150 dst_sel:DWORD dst_unused:UNUSED_PAD src0_sel:WORD_1
	v_and_b32_e32 v150, 0x3030303, v153
	v_and_b32_e32 v113, 0x3030303, v113
	;; [unrolled: 1-line block ×5, first 2 shown]
	v_dot4c_i32_i8_e32 v91, v145, v6
	v_dot4c_i32_i8_e32 v97, v112, v6
	;; [unrolled: 1-line block ×6, first 2 shown]
	v_mov_b32_e32 v139, 0
	v_mov_b32_e32 v141, 0
	v_ashrrev_i32_e32 v115, s19, v115
	v_ashrrev_i32_e32 v118, s19, v118
	;; [unrolled: 1-line block ×6, first 2 shown]
	v_and_b32_e32 v153, 0x3030303, v155
	v_and_b32_e32 v155, 0x3030303, v157
	;; [unrolled: 1-line block ×5, first 2 shown]
	v_mul_lo_u32 v159, v161, s10
	v_mul_lo_u32 v161, v165, s10
	v_and_b32_e32 v121, 0x3030303, v121
	v_and_b32_e32 v124, 0x3030303, v124
	v_and_b32_e32 v129, 0x3030303, v129
	v_and_b32_e32 v132, 0x3030303, v132
	v_mul_lo_u32 v148, v148, s10
	v_mul_lo_u32 v165, v169, s10
	v_dot4c_i32_i8_e32 v93, v154, v2
	v_dot4c_i32_i8_e32 v103, v116, v2
	;; [unrolled: 1-line block ×10, first 2 shown]
	v_ashrrev_i32_e32 v119, s19, v119
	v_ashrrev_i32_e32 v123, s19, v123
	;; [unrolled: 1-line block ×5, first 2 shown]
	v_and_b32_e32 v115, 0x3030303, v115
	v_and_b32_e32 v118, 0x3030303, v118
	;; [unrolled: 1-line block ×6, first 2 shown]
	v_dot4c_i32_i8_e32 v139, v124, v2
	v_dot4c_i32_i8_e32 v141, v132, v2
	;; [unrolled: 1-line block ×12, first 2 shown]
	v_and_b32_e32 v163, 15, v147
	v_and_b32_e32 v164, 15, v149
	v_ashrrev_i32_e32 v127, s19, v127
	v_ashrrev_i32_e32 v135, s19, v135
	v_and_b32_e32 v119, 0x3030303, v119
	v_and_b32_e32 v123, 0x3030303, v123
	v_and_b32_e32 v126, 0x3030303, v126
	v_and_b32_e32 v131, 0x3030303, v131
	v_and_b32_e32 v134, 0x3030303, v134
	v_dot4c_i32_i8_e32 v139, v125, v3
	v_dot4c_i32_i8_e32 v141, v133, v3
	;; [unrolled: 1-line block ×12, first 2 shown]
	s_add_i32 s2, s2, 2
	v_and_b32_sdwa v149, v149, v85 dst_sel:DWORD dst_unused:UNUSED_PAD src0_sel:BYTE_1 src1_sel:DWORD
	v_and_b32_sdwa v147, v147, v85 dst_sel:DWORD dst_unused:UNUSED_PAD src0_sel:BYTE_1 src1_sel:DWORD
	v_and_b32_e32 v167, 15, v151
	v_and_b32_e32 v168, 15, v144
	v_and_b32_e32 v127, 0x3030303, v127
	v_and_b32_e32 v135, 0x3030303, v135
	v_dot4c_i32_i8_e32 v139, v126, v4
	v_dot4c_i32_i8_e32 v141, v134, v4
	;; [unrolled: 1-line block ×6, first 2 shown]
	v_mul_lo_u32 v6, v164, v97
	v_mul_lo_u32 v8, v163, v91
	v_dot4c_i32_i8_e32 v136, v159, v4
	v_dot4c_i32_i8_e32 v137, v161, v4
	;; [unrolled: 1-line block ×4, first 2 shown]
	s_mov_b32 s3, s24
	s_cmp_lt_u32 s24, 30
	v_and_b32_sdwa v144, v144, v85 dst_sel:DWORD dst_unused:UNUSED_PAD src0_sel:BYTE_1 src1_sel:DWORD
	v_and_b32_sdwa v151, v151, v85 dst_sel:DWORD dst_unused:UNUSED_PAD src0_sel:BYTE_1 src1_sel:DWORD
	v_dot4c_i32_i8_e32 v139, v127, v5
	v_dot4c_i32_i8_e32 v141, v135, v5
	v_mul_lo_u32 v112, v168, v140
	v_mul_lo_u32 v114, v167, v138
	v_mad_u64_u32 v[8:9], s[24:25], v147, v93, v[8:9]
	v_mad_u64_u32 v[6:7], s[24:25], v149, v103, v[6:7]
	v_dot4c_i32_i8_e32 v136, v159, v5
	v_dot4c_i32_i8_e32 v137, v161, v5
	;; [unrolled: 1-line block ×4, first 2 shown]
	v_mad_u64_u32 v[2:3], s[24:25], v151, v139, v[114:115]
	v_mad_u64_u32 v[112:113], s[24:25], v144, v141, v[112:113]
	v_cvt_f32_i32_e32 v7, v6
	v_cvt_f32_i32_e32 v6, v8
	;; [unrolled: 1-line block ×8, first 2 shown]
	v_pk_mul_f32 v[4:5], v[106:107], v[4:5]
	v_pk_mul_f32 v[8:9], v[110:111], v[8:9]
	v_pk_fma_f32 v[4:5], v[104:105], v[6:7], v[4:5] neg_lo:[0,0,1] neg_hi:[0,0,1]
	v_pk_fma_f32 v[2:3], v[108:109], v[2:3], v[8:9] neg_lo:[0,0,1] neg_hi:[0,0,1]
	v_add_u32_e32 v89, 4, v89
	v_add_u32_e32 v87, 32, v87
	v_pk_fma_f32 v[98:99], v[102:103], v[4:5], v[98:99] op_sel_hi:[0,1,1]
	v_pk_fma_f32 v[100:101], v[102:103], v[2:3], v[100:101] op_sel_hi:[0,1,1]
	s_cbranch_scc1 .LBB208_36
; %bb.37:                               ;   in Loop: Header=BB208_5 Depth=1
	s_barrier
	s_branch .LBB208_4
.LBB208_38:
	v_mov_b32_e32 v2, 0
	s_mul_i32 s0, s14, s11
	s_waitcnt vmcnt(0)
	v_cmp_gt_i32_e32 vcc, s0, v11
	s_and_saveexec_b64 s[0:1], vcc
	s_cbranch_execnz .LBB208_41
.LBB208_39:
	s_endpgm
.LBB208_40:
	v_cvt_f16_f32_e32 v1, v99
	v_cvt_f16_f32_e32 v2, v98
	;; [unrolled: 1-line block ×4, first 2 shown]
	v_pack_b32_f16 v2, v2, v1
	v_pack_b32_f16 v3, v4, v3
	s_mul_i32 s0, s14, s11
	v_cmp_gt_i32_e32 vcc, s0, v11
	s_and_saveexec_b64 s[0:1], vcc
	s_cbranch_execz .LBB208_39
.LBB208_41:
	v_and_b32_e32 v0, 0x3ff, v0
	v_add_u32_e32 v1, s15, v0
	v_mul_lo_u32 v0, v11, s13
	v_cmp_gt_u32_e32 vcc, s13, v1
	s_and_saveexec_b64 s[0:1], vcc
	s_cbranch_execz .LBB208_43
; %bb.42:
	v_add_u32_e32 v4, v0, v1
	v_mov_b32_e32 v5, 0
	v_lshlrev_b64 v[4:5], 1, v[4:5]
	v_mov_b32_e32 v6, s17
	v_add_co_u32_e32 v4, vcc, s16, v4
	v_addc_co_u32_e32 v5, vcc, v6, v5, vcc
	global_store_short v[4:5], v2, off
.LBB208_43:
	s_or_b64 exec, exec, s[0:1]
	v_add_u32_e32 v4, 32, v1
	v_cmp_gt_u32_e32 vcc, s13, v4
	s_and_saveexec_b64 s[0:1], vcc
	s_cbranch_execz .LBB208_45
; %bb.44:
	v_add_u32_e32 v4, v0, v4
	v_mov_b32_e32 v5, 0
	v_lshlrev_b64 v[4:5], 1, v[4:5]
	v_mov_b32_e32 v6, s17
	v_add_co_u32_e32 v4, vcc, s16, v4
	v_addc_co_u32_e32 v5, vcc, v6, v5, vcc
	global_store_short_d16_hi v[4:5], v2, off
.LBB208_45:
	s_or_b64 exec, exec, s[0:1]
	v_add_u32_e32 v2, 64, v1
	v_cmp_gt_u32_e32 vcc, s13, v2
	s_and_saveexec_b64 s[0:1], vcc
	s_cbranch_execz .LBB208_47
; %bb.46:
	v_add_u32_e32 v4, v0, v2
	v_mov_b32_e32 v5, 0
	v_lshlrev_b64 v[4:5], 1, v[4:5]
	v_mov_b32_e32 v2, s17
	v_add_co_u32_e32 v4, vcc, s16, v4
	v_addc_co_u32_e32 v5, vcc, v2, v5, vcc
	global_store_short v[4:5], v3, off
.LBB208_47:
	s_or_b64 exec, exec, s[0:1]
	v_add_u32_e32 v1, 0x60, v1
	v_cmp_gt_u32_e32 vcc, s13, v1
	s_and_b64 exec, exec, vcc
	s_cbranch_execz .LBB208_39
; %bb.48:
	v_add_u32_e32 v0, v0, v1
	v_mov_b32_e32 v1, 0
	v_lshlrev_b64 v[0:1], 1, v[0:1]
	v_mov_b32_e32 v2, s17
	v_add_co_u32_e32 v0, vcc, s16, v0
	v_addc_co_u32_e32 v1, vcc, v2, v1, vcc
	global_store_short_d16_hi v[0:1], v3, off
	s_endpgm
	.section	.rodata,"a",@progbits
	.p2align	6, 0x0
	.amdhsa_kernel _ZL8moe_q2_KIN3c104HalfELb1EEvPKvS3_PT_PKiS7_S7_iiiiiii
		.amdhsa_group_segment_fixed_size 23328
		.amdhsa_private_segment_fixed_size 0
		.amdhsa_kernarg_size 76
		.amdhsa_user_sgpr_count 6
		.amdhsa_user_sgpr_private_segment_buffer 1
		.amdhsa_user_sgpr_dispatch_ptr 0
		.amdhsa_user_sgpr_queue_ptr 0
		.amdhsa_user_sgpr_kernarg_segment_ptr 1
		.amdhsa_user_sgpr_dispatch_id 0
		.amdhsa_user_sgpr_flat_scratch_init 0
		.amdhsa_user_sgpr_kernarg_preload_length 0
		.amdhsa_user_sgpr_kernarg_preload_offset 0
		.amdhsa_user_sgpr_private_segment_size 0
		.amdhsa_uses_dynamic_stack 0
		.amdhsa_system_sgpr_private_segment_wavefront_offset 0
		.amdhsa_system_sgpr_workgroup_id_x 1
		.amdhsa_system_sgpr_workgroup_id_y 1
		.amdhsa_system_sgpr_workgroup_id_z 0
		.amdhsa_system_sgpr_workgroup_info 0
		.amdhsa_system_vgpr_workitem_id 1
		.amdhsa_next_free_vgpr 170
		.amdhsa_next_free_sgpr 34
		.amdhsa_accum_offset 172
		.amdhsa_reserve_vcc 1
		.amdhsa_reserve_flat_scratch 0
		.amdhsa_float_round_mode_32 0
		.amdhsa_float_round_mode_16_64 0
		.amdhsa_float_denorm_mode_32 3
		.amdhsa_float_denorm_mode_16_64 3
		.amdhsa_dx10_clamp 1
		.amdhsa_ieee_mode 1
		.amdhsa_fp16_overflow 0
		.amdhsa_tg_split 0
		.amdhsa_exception_fp_ieee_invalid_op 0
		.amdhsa_exception_fp_denorm_src 0
		.amdhsa_exception_fp_ieee_div_zero 0
		.amdhsa_exception_fp_ieee_overflow 0
		.amdhsa_exception_fp_ieee_underflow 0
		.amdhsa_exception_fp_ieee_inexact 0
		.amdhsa_exception_int_div_zero 0
	.end_amdhsa_kernel
	.section	.text._ZL8moe_q2_KIN3c104HalfELb1EEvPKvS3_PT_PKiS7_S7_iiiiiii,"axG",@progbits,_ZL8moe_q2_KIN3c104HalfELb1EEvPKvS3_PT_PKiS7_S7_iiiiiii,comdat
.Lfunc_end208:
	.size	_ZL8moe_q2_KIN3c104HalfELb1EEvPKvS3_PT_PKiS7_S7_iiiiiii, .Lfunc_end208-_ZL8moe_q2_KIN3c104HalfELb1EEvPKvS3_PT_PKiS7_S7_iiiiiii
                                        ; -- End function
	.section	.AMDGPU.csdata,"",@progbits
; Kernel info:
; codeLenInByte = 9028
; NumSgprs: 38
; NumVgprs: 170
; NumAgprs: 0
; TotalNumVgprs: 170
; ScratchSize: 0
; MemoryBound: 0
; FloatMode: 240
; IeeeMode: 1
; LDSByteSize: 23328 bytes/workgroup (compile time only)
; SGPRBlocks: 4
; VGPRBlocks: 21
; NumSGPRsForWavesPerEU: 38
; NumVGPRsForWavesPerEU: 170
; AccumOffset: 172
; Occupancy: 2
; WaveLimiterHint : 1
; COMPUTE_PGM_RSRC2:SCRATCH_EN: 0
; COMPUTE_PGM_RSRC2:USER_SGPR: 6
; COMPUTE_PGM_RSRC2:TRAP_HANDLER: 0
; COMPUTE_PGM_RSRC2:TGID_X_EN: 1
; COMPUTE_PGM_RSRC2:TGID_Y_EN: 1
; COMPUTE_PGM_RSRC2:TGID_Z_EN: 0
; COMPUTE_PGM_RSRC2:TIDIG_COMP_CNT: 1
; COMPUTE_PGM_RSRC3_GFX90A:ACCUM_OFFSET: 42
; COMPUTE_PGM_RSRC3_GFX90A:TG_SPLIT: 0
	.section	.text._ZL8moe_q3_KIN3c104HalfELb0EEvPKvS3_PT_PKiS7_S7_iiiiiii,"axG",@progbits,_ZL8moe_q3_KIN3c104HalfELb0EEvPKvS3_PT_PKiS7_S7_iiiiiii,comdat
	.globl	_ZL8moe_q3_KIN3c104HalfELb0EEvPKvS3_PT_PKiS7_S7_iiiiiii ; -- Begin function _ZL8moe_q3_KIN3c104HalfELb0EEvPKvS3_PT_PKiS7_S7_iiiiiii
	.p2align	8
	.type	_ZL8moe_q3_KIN3c104HalfELb0EEvPKvS3_PT_PKiS7_S7_iiiiiii,@function
_ZL8moe_q3_KIN3c104HalfELb0EEvPKvS3_PT_PKiS7_S7_iiiiiii: ; @_ZL8moe_q3_KIN3c104HalfELb0EEvPKvS3_PT_PKiS7_S7_iiiiiii
; %bb.0:
	s_load_dwordx4 s[0:3], s[4:5], 0x18
	s_mov_b32 s8, s7
	s_mov_b32 s9, 0
	s_lshl_b64 s[10:11], s[8:9], 2
	s_waitcnt lgkmcnt(0)
	s_add_u32 s2, s2, s10
	s_addc_u32 s3, s3, s11
	s_load_dword s2, s[2:3], 0x0
	s_waitcnt lgkmcnt(0)
	s_cmpk_gt_u32 s2, 0xff
	s_cbranch_scc1 .LBB209_39
; %bb.1:
	s_load_dwordx2 s[10:11], s[4:5], 0x28
	s_lshl_b32 s3, s8, 3
	s_waitcnt lgkmcnt(0)
	s_load_dword s7, s[10:11], 0x0
	s_waitcnt lgkmcnt(0)
	s_cmp_gt_u32 s3, s7
	s_cbranch_scc1 .LBB209_39
; %bb.2:
	v_bfe_u32 v1, v0, 10, 10
	v_add_u32_e32 v2, s3, v1
	v_mov_b32_e32 v3, 0
	v_lshlrev_b64 v[4:5], 2, v[2:3]
	v_mov_b32_e32 v2, s1
	v_add_co_u32_e32 v4, vcc, s0, v4
	v_addc_co_u32_e32 v5, vcc, v2, v5, vcc
	global_load_dword v11, v[4:5], off
	s_load_dwordx2 s[14:15], s[4:5], 0x30
	s_load_dwordx2 s[12:13], s[4:5], 0x10
	s_load_dwordx4 s[8:11], s[4:5], 0x3c
	s_lshl_b32 s22, s6, 7
	s_mov_b32 s23, 0
	s_waitcnt lgkmcnt(0)
	s_cmpk_lt_i32 s15, 0x100
	s_cbranch_scc1 .LBB209_38
; %bb.3:
	s_ashr_i32 s0, s15, 31
	s_lshr_b32 s0, s0, 24
	s_load_dwordx4 s[4:7], s[4:5], 0x0
	s_add_i32 s0, s15, s0
	s_ashr_i32 s24, s0, 8
	s_ashr_i32 s0, s9, 31
	s_lshr_b32 s0, s0, 27
	s_add_i32 s0, s9, s0
	s_mul_i32 s2, s2, s14
	s_ashr_i32 s9, s0, 5
	s_ashr_i32 s0, s2, 31
	s_waitcnt lgkmcnt(0)
	s_add_u32 s1, s4, s2
	s_mul_i32 s2, s24, s22
	s_addc_u32 s0, s5, s0
	s_mul_hi_i32 s3, s2, 0x6e
	s_mulk_i32 s2, 0x6e
	s_add_u32 s25, s1, s2
	s_addc_u32 s26, s0, s3
	s_lshl_b32 s1, s24, 3
	v_mov_b32_e32 v4, s1
	v_mad_i32_i24 v16, s24, v1, v4
	v_add_u32_e32 v18, s1, v16
	v_add_u32_e32 v20, s1, v18
	;; [unrolled: 1-line block ×9, first 2 shown]
	v_and_b32_e32 v13, 0x3ff, v0
	v_add_u32_e32 v36, s1, v34
	v_add_u32_e32 v38, s1, v36
	v_lshlrev_b32_e32 v4, 4, v1
	v_lshrrev_b32_e32 v5, 1, v13
	v_add_u32_e32 v40, s1, v38
	v_and_b32_e32 v46, 1, v13
	v_add_u32_e32 v6, v5, v4
	v_add_u32_e32 v42, s1, v40
	v_and_b32_e32 v7, 0x7f, v6
	v_lshlrev_b32_e32 v8, 2, v46
	v_lshrrev_b32_e32 v6, 2, v6
	v_add_u32_e32 v44, s1, v42
	v_mul_i32_i24_e32 v48, s24, v7
	v_lshl_or_b32 v7, v7, 3, v8
	v_and_b32_e32 v6, 28, v6
	s_movk_i32 s1, 0x7380
	v_lshrrev_b32_e32 v10, 4, v13
	v_add3_u32 v49, v7, v6, s1
	v_lshlrev_b32_e32 v6, 1, v1
	v_add_u32_e32 v7, v10, v6
	s_lshl_b32 s3, s24, 4
	v_add_u32_e32 v9, 16, v7
	v_mov_b32_e32 v51, s3
	v_and_b32_e32 v2, 15, v13
	v_mad_i32_i24 v56, s24, v7, v51
	v_lshlrev_b32_e32 v51, 1, v9
	v_lshlrev_b32_e32 v12, 2, v2
	s_movk_i32 s2, 0x4200
	v_and_b32_e32 v51, 0x3ffc, v51
	v_add3_u32 v105, v51, v12, s2
	v_add_u32_e32 v51, 32, v7
	v_lshlrev_b32_e32 v53, 1, v51
	v_and_b32_e32 v53, 0x3ffc, v53
	v_lshlrev_b32_e32 v107, 6, v51
	v_add_u32_e32 v51, 48, v7
	v_add3_u32 v106, v53, v12, s2
	v_lshlrev_b32_e32 v53, 1, v51
	v_and_b32_e32 v53, 0x3ffc, v53
	v_lshlrev_b32_e32 v109, 6, v51
	v_add_u32_e32 v51, 64, v7
	v_add3_u32 v108, v53, v12, s2
	v_lshlrev_b32_e32 v53, 1, v51
	v_and_b32_e32 v53, 0x3ffc, v53
	v_lshlrev_b32_e32 v111, 6, v51
	v_add_u32_e32 v51, 0x50, v7
	v_add_u32_e32 v58, s3, v56
	v_add3_u32 v110, v53, v12, s2
	v_lshlrev_b32_e32 v53, 1, v51
	v_mul_i32_i24_e32 v54, s24, v7
	v_lshlrev_b32_e32 v8, 6, v7
	v_add_u32_e32 v60, s3, v58
	v_and_b32_e32 v53, 0x3ffc, v53
	v_lshlrev_b32_e32 v113, 6, v51
	v_add_u32_e32 v51, 0x60, v7
	v_add_u32_e32 v7, 0x70, v7
	v_cmp_lt_u32_e32 vcc, 7, v2
	v_and_b32_e32 v2, 7, v13
	v_add_u32_e32 v62, s3, v60
	v_add3_u32 v112, v53, v12, s2
	v_lshlrev_b32_e32 v53, 1, v51
	v_lshlrev_b32_e32 v115, 6, v51
	;; [unrolled: 1-line block ×3, first 2 shown]
	v_cndmask_b32_e64 v50, 0, 1, vcc
	v_lshlrev_b32_e32 v52, 2, v2
	v_add_u32_e32 v64, s3, v62
	v_and_b32_e32 v53, 0x3ffc, v53
	v_and_b32_e32 v51, 0x3ffc, v51
	v_cmp_lt_u32_e32 vcc, 3, v2
	v_and_b32_e32 v2, 3, v13
	v_add_u16_e32 v6, v10, v6
	v_add_u32_e32 v66, s3, v64
	v_add3_u32 v114, v53, v12, s2
	v_add3_u32 v116, v51, v12, s2
	v_lshlrev_b32_e32 v59, 2, v1
	v_lshrrev_b32_e32 v51, 3, v13
	v_cndmask_b32_e64 v70, 0, 1, vcc
	v_add_u16_e32 v53, -2, v2
	v_cmp_gt_u32_e32 vcc, 2, v2
	v_lshrrev_b16_e32 v6, 1, v6
	v_add_u32_e32 v68, s3, v66
	v_add_u32_e32 v57, v51, v59
	v_cndmask_b32_e32 v55, v53, v2, vcc
	v_mov_b32_e32 v61, 2
	s_lshl_b32 s3, s24, 5
	v_lshlrev_b32_e32 v3, 2, v13
	s_movk_i32 s0, 0x84
	v_lshlrev_b32_e32 v6, 2, v6
	v_lshlrev_b32_sdwa v72, v61, v55 dst_sel:DWORD dst_unused:UNUSED_PAD src0_sel:DWORD src1_sel:BYTE_0
	v_add_u32_e32 v61, 32, v57
	v_mov_b32_e32 v63, s3
	v_mad_u32_u24 v17, v1, s0, v3
	v_add3_u32 v6, v6, v12, s2
	v_cmp_lt_u32_e32 vcc, 1, v2
	v_lshlrev_b32_e32 v55, 1, v2
	v_mul_i32_i24_e32 v74, s24, v57
	v_and_b32_e32 v2, 0x1ffc, v57
	s_movk_i32 s2, 0x6300
	v_lshlrev_b32_e32 v117, 5, v57
	v_mad_i32_i24 v76, s24, v57, v63
	v_and_b32_e32 v63, 0x3ffc, v61
	v_lshlrev_b32_e32 v119, 5, v61
	v_add_u32_e32 v61, 64, v57
	v_add_u32_e32 v57, 0x60, v57
	v_and_b32_e32 v3, 28, v3
	v_cndmask_b32_e64 v53, 0, 1, vcc
	v_add3_u32 v118, v63, v52, s2
	v_and_b32_e32 v63, 0x3ffc, v61
	v_lshlrev_b32_e32 v121, 5, v61
	v_and_b32_e32 v61, 0x3ffc, v57
	v_lshlrev_b32_e32 v123, 5, v57
	v_and_b32_e32 v57, 31, v13
	v_add_co_u32_e32 v82, vcc, s6, v3
	v_lshlrev_b32_e32 v3, 7, v1
	v_mul_i32_i24_e32 v14, s24, v1
	v_lshl_or_b32 v1, v57, 2, v3
	v_add_u32_e32 v57, 0x77a0, v1
	v_or_b32_e32 v1, v59, v13
	v_mov_b32_e32 v59, 0x7ba0
	v_add_u32_e32 v92, 32, v13
	v_lshl_add_u32 v59, v1, 2, v59
	v_lshrrev_b32_e32 v1, 1, v92
	v_lshl_add_u32 v69, v92, 4, v1
	v_mov_b32_e32 v1, 0x1080
	v_add3_u32 v120, v63, v52, s2
	v_lshl_add_u32 v63, v13, 4, v5
	v_lshlrev_b32_e32 v5, 2, v10
	v_lshlrev_b32_e32 v67, 3, v13
	v_mad_u32_u24 v71, v13, s0, v1
	v_lshrrev_b32_e32 v1, 2, v92
	v_add3_u32 v67, v5, v67, s1
	v_and_b32_e32 v1, 0x7c, v1
	v_lshlrev_b32_e32 v5, 3, v92
	v_add_u32_e32 v91, 64, v13
	v_add3_u32 v73, v5, v1, s1
	v_mov_b32_e32 v1, 0x2100
	v_add3_u32 v2, v2, v52, s2
	v_add3_u32 v122, v61, v52, s2
	v_mad_u32_u24 v77, v13, s0, v1
	v_lshrrev_b32_e32 v1, 2, v91
	s_abs_i32 s2, s11
	v_and_b32_e32 v1, 0x7c, v1
	v_lshlrev_b32_e32 v5, 3, v91
	v_cvt_f32_u32_e32 v84, s2
	v_add_u32_e32 v90, 0x60, v13
	v_add3_u32 v79, v5, v1, s1
	v_mov_b32_e32 v1, 0x3180
	v_mad_u32_u24 v85, v13, s0, v1
	v_lshrrev_b32_e32 v1, 2, v90
	v_and_b32_e32 v1, 0x7c, v1
	v_lshlrev_b32_e32 v5, 3, v90
	v_add3_u32 v86, v5, v1, s1
	v_rcp_iflag_f32_e32 v1, v84
	s_sub_i32 s0, 0, s2
	s_waitcnt vmcnt(0)
	v_sub_u32_e32 v84, 0, v11
	v_max_i32_e32 v84, v11, v84
	v_mul_f32_e32 v1, 0x4f7ffffe, v1
	v_cvt_u32_f32_e32 v1, v1
	v_xor_b32_e32 v5, s11, v11
	s_add_u32 s4, s6, 0x90
	v_ashrrev_i32_e32 v5, 31, v5
	v_mul_lo_u32 v93, s0, v1
	v_mul_hi_u32 v93, v1, v93
	v_add_u32_e32 v1, v1, v93
	v_mul_hi_u32 v1, v84, v1
	v_mul_lo_u32 v93, v1, s2
	v_sub_u32_e32 v84, v84, v93
	v_add_u32_e32 v93, 1, v1
	v_cmp_le_u32_e64 s[0:1], s2, v84
	v_cndmask_b32_e64 v1, v1, v93, s[0:1]
	v_subrev_u32_e32 v93, s2, v84
	v_cndmask_b32_e64 v84, v84, v93, s[0:1]
	v_add_u32_e32 v93, 1, v1
	v_cmp_le_u32_e64 s[0:1], s2, v84
	v_cndmask_b32_e64 v1, v1, v93, s[0:1]
	s_addc_u32 s5, s7, 0
	v_xor_b32_e32 v1, v1, v5
	s_add_u32 s16, s6, 0x120
	v_mov_b32_e32 v61, s7
	v_lshrrev_b32_e32 v75, 1, v91
	v_lshrrev_b32_e32 v81, 1, v90
	v_sub_u32_e32 v1, v1, v5
	s_addc_u32 s17, s7, 0
	v_lshlrev_b32_e32 v9, 6, v9
	v_lshlrev_b32_e32 v7, 6, v7
	v_add_u32_e32 v78, s3, v76
	v_addc_co_u32_e32 v83, vcc, 0, v61, vcc
	v_lshlrev_b32_e32 v61, 5, v13
	v_lshl_add_u32 v75, v91, 4, v75
	v_lshl_add_u32 v81, v90, 4, v81
	v_lshrrev_b32_e32 v87, 3, v92
	v_lshrrev_b32_e32 v88, 3, v91
	v_lshrrev_b32_e32 v89, 3, v90
	v_mul_lo_u32 v84, v1, s9
	s_add_u32 s18, s6, 0x1b0
	v_and_b32_e32 v90, 0x1fc, v90
	v_and_b32_e32 v91, 0x1fc, v91
	v_and_b32_e32 v92, 0x1fc, v92
	v_and_b32_e32 v93, 0xfc, v13
	s_movk_i32 s14, 0x6e
	v_mov_b32_e32 v15, 0
	v_add_u32_e32 v19, 0x420, v17
	v_add_u32_e32 v21, 0x840, v17
	;; [unrolled: 1-line block ×15, first 2 shown]
	s_movk_i32 s27, 0x60
	v_lshlrev_b32_e32 v53, 2, v53
	v_add_u32_e32 v80, s3, v78
	v_cmp_gt_u32_e32 vcc, 4, v13
	v_mul_u32_u24_e32 v65, 0x84, v13
	v_cmp_gt_i32_e64 s[0:1], s8, v1
	v_ashrrev_i32_e32 v1, 31, v84
	s_addc_u32 s19, s7, 0
	v_add_u32_e32 v94, 0x77a0, v3
	v_add_u32_e32 v95, 0x7ba0, v4
	;; [unrolled: 1-line block ×18, first 2 shown]
	s_mov_b32 s28, 0x30303030
	s_movk_i32 s29, 0x3f00
	s_movk_i32 s30, 0xe000
	v_add_u32_e32 v112, v2, v117
	v_add_u32_e32 v113, v118, v119
	;; [unrolled: 1-line block ×4, first 2 shown]
	v_mov_b32_e32 v119, 8
	v_mov_b32_e32 v116, 0
	v_mov_b32_e32 v117, 0
	v_mov_b32_e32 v118, 0
	s_branch .LBB209_5
.LBB209_4:                              ;   in Loop: Header=BB209_5 Depth=1
	s_add_i32 s23, s23, 2
	s_cmp_ge_i32 s23, s24
	s_cbranch_scc1 .LBB209_40
.LBB209_5:                              ; =>This Loop Header: Depth=1
                                        ;     Child Loop BB209_12 Depth 2
                                        ;     Child Loop BB209_20 Depth 2
	;; [unrolled: 1-line block ×4, first 2 shown]
	s_mul_i32 s2, s23, 0x6e
	s_mul_hi_u32 s3, s23, 0x6e
	s_add_u32 s2, s25, s2
	s_addc_u32 s3, s26, s3
	v_pk_mov_b32 v[2:3], s[2:3], s[2:3] op_sel:[0,1]
	v_mad_u64_u32 v[4:5], s[2:3], v10, s14, v[2:3]
	v_add_co_u32_e64 v4, s[2:3], v4, v12
	v_addc_co_u32_e64 v5, s[2:3], 0, v5, s[2:3]
	v_add_co_u32_e64 v4, s[2:3], 32, v4
	v_addc_co_u32_e64 v5, s[2:3], 0, v5, s[2:3]
	v_mad_u64_u32 v[6:7], s[2:3], v14, s14, v[4:5]
	v_mad_u64_u32 v[8:9], s[2:3], v16, s14, v[4:5]
	;; [unrolled: 1-line block ×8, first 2 shown]
	global_load_dword v132, v[6:7], off
	global_load_dword v133, v[8:9], off
	;; [unrolled: 1-line block ×8, first 2 shown]
	v_mad_u64_u32 v[6:7], s[2:3], v30, s14, v[4:5]
	v_mad_u64_u32 v[8:9], s[2:3], v32, s14, v[4:5]
	;; [unrolled: 1-line block ×8, first 2 shown]
	global_load_dword v140, v[6:7], off
	global_load_dword v141, v[8:9], off
	;; [unrolled: 1-line block ×8, first 2 shown]
	v_mad_u64_u32 v[4:5], s[2:3], v48, s14, v[2:3]
	v_mad_u64_u32 v[4:5], s[2:3], v46, s14, v[4:5]
	;; [unrolled: 1-line block ×3, first 2 shown]
	v_add_co_u32_e64 v6, s[2:3], v6, v52
	v_addc_co_u32_e64 v7, s[2:3], 0, v7, s[2:3]
	v_mad_u64_u32 v[120:121], s[2:3], v56, s14, v[6:7]
	v_mad_u64_u32 v[122:123], s[2:3], v58, s14, v[6:7]
	;; [unrolled: 1-line block ×7, first 2 shown]
	global_load_ushort v148, v[4:5], off offset:108
	global_load_dword v149, v[8:9], off
	s_nop 0
	global_load_dword v120, v[120:121], off
	s_nop 0
	;; [unrolled: 2-line block ×3, first 2 shown]
	global_load_dword v122, v[124:125], off
	global_load_dword v123, v[126:127], off
	s_nop 0
	global_load_dword v124, v[128:129], off
	global_load_dword v125, v[130:131], off
	v_mad_u64_u32 v[4:5], s[2:3], v68, s14, v[6:7]
	v_mad_u64_u32 v[2:3], s[2:3], v70, s14, v[2:3]
	v_add_co_u32_e64 v2, s[2:3], s27, v2
	v_addc_co_u32_e64 v3, s[2:3], 0, v3, s[2:3]
	global_load_dword v126, v[4:5], off
	v_mad_u64_u32 v[4:5], s[2:3], v74, s14, v[2:3]
	v_add_co_u32_e64 v6, s[2:3], v4, v72
	v_addc_co_u32_e64 v7, s[2:3], 0, v5, s[2:3]
	global_load_dword v127, v[6:7], off
	v_mad_u64_u32 v[6:7], s[2:3], v76, s14, v[2:3]
	v_mad_u64_u32 v[8:9], s[2:3], v78, s14, v[2:3]
	;; [unrolled: 1-line block ×3, first 2 shown]
	global_load_dword v128, v[2:3], off offset:8
	global_load_dword v129, v[8:9], off offset:8
	;; [unrolled: 1-line block ×4, first 2 shown]
	v_add_co_u32_e64 v4, s[2:3], v6, v72
	v_addc_co_u32_e64 v5, s[2:3], 0, v7, s[2:3]
	global_load_dword v6, v[4:5], off
	v_add_co_u32_e64 v4, s[2:3], v8, v72
	v_addc_co_u32_e64 v5, s[2:3], 0, v9, s[2:3]
	global_load_dword v4, v[4:5], off
	v_add_co_u32_e64 v2, s[2:3], v2, v72
	s_waitcnt vmcnt(31)
	ds_write_b32 v17, v132
	s_waitcnt vmcnt(30)
	ds_write_b32 v19, v133
	;; [unrolled: 2-line block ×6, first 2 shown]
	v_addc_co_u32_e64 v3, s[2:3], 0, v3, s[2:3]
	global_load_dword v2, v[2:3], off
	s_waitcnt vmcnt(26)
	ds_write_b32 v29, v138
	s_waitcnt vmcnt(25)
	ds_write_b32 v31, v139
	;; [unrolled: 2-line block ×7, first 2 shown]
	s_lshl_b32 s33, s23, 8
	s_cmp_lt_i32 s33, s15
	s_waitcnt vmcnt(16)
	v_cvt_f32_f16_e32 v3, v148
	ds_write_b32 v43, v145
	ds_write_b32 v45, v146
	;; [unrolled: 1-line block ×4, first 2 shown]
	s_waitcnt vmcnt(15)
	v_not_b32_e32 v3, v149
	ds_write_b32 v104, v3
	s_waitcnt vmcnt(14)
	v_not_b32_e32 v3, v120
	ds_write_b32 v105, v3
	;; [unrolled: 3-line block ×8, first 2 shown]
	s_waitcnt vmcnt(7)
	v_ashrrev_i32_e32 v3, v53, v127
	v_and_b32_e32 v3, 0xf0f0f0f, v3
	s_waitcnt vmcnt(3)
	v_ashrrev_i32_e32 v5, v55, v131
	v_lshlrev_b32_e32 v5, 4, v5
	v_and_or_b32 v3, v5, s28, v3
	v_lshlrev_b16_e32 v7, 8, v3
	v_and_b32_e32 v5, 0x3f00, v3
	v_add_u16_e32 v7, 0xe000, v7
	v_or_b32_sdwa v5, v5, v7 dst_sel:DWORD dst_unused:UNUSED_PAD src0_sel:DWORD src1_sel:BYTE_1
	v_and_b32_sdwa v7, v3, s29 dst_sel:DWORD dst_unused:UNUSED_PAD src0_sel:WORD_1 src1_sel:DWORD
	v_lshlrev_b16_sdwa v3, v119, v3 dst_sel:DWORD dst_unused:UNUSED_PAD src0_sel:DWORD src1_sel:WORD_1
	v_add_u16_e32 v3, 0xe000, v3
	v_or_b32_sdwa v3, v7, v3 dst_sel:DWORD dst_unused:UNUSED_PAD src0_sel:DWORD src1_sel:BYTE_1
	v_add_u16_e32 v5, 0xe000, v5
	v_add_u16_sdwa v3, v3, s30 dst_sel:WORD_1 dst_unused:UNUSED_PAD src0_sel:DWORD src1_sel:DWORD
	v_or_b32_e32 v3, v5, v3
	ds_write_b32 v112, v3
	s_waitcnt vmcnt(2)
	v_ashrrev_i32_e32 v3, v53, v6
	v_ashrrev_i32_e32 v5, v55, v130
	v_and_b32_e32 v3, 0xf0f0f0f, v3
	v_lshlrev_b32_e32 v5, 4, v5
	v_and_or_b32 v3, v5, s28, v3
	v_lshlrev_b16_e32 v6, 8, v3
	v_and_b32_e32 v5, 0x3f00, v3
	v_add_u16_e32 v6, 0xe000, v6
	v_or_b32_sdwa v5, v5, v6 dst_sel:DWORD dst_unused:UNUSED_PAD src0_sel:DWORD src1_sel:BYTE_1
	v_and_b32_sdwa v6, v3, s29 dst_sel:DWORD dst_unused:UNUSED_PAD src0_sel:WORD_1 src1_sel:DWORD
	v_lshlrev_b16_sdwa v3, v119, v3 dst_sel:DWORD dst_unused:UNUSED_PAD src0_sel:DWORD src1_sel:WORD_1
	v_add_u16_e32 v3, 0xe000, v3
	v_or_b32_sdwa v3, v6, v3 dst_sel:DWORD dst_unused:UNUSED_PAD src0_sel:DWORD src1_sel:BYTE_1
	v_add_u16_e32 v5, 0xe000, v5
	v_add_u16_sdwa v3, v3, s30 dst_sel:WORD_1 dst_unused:UNUSED_PAD src0_sel:DWORD src1_sel:DWORD
	v_or_b32_e32 v3, v5, v3
	ds_write_b32 v113, v3
	s_waitcnt vmcnt(1)
	v_ashrrev_i32_e32 v3, v53, v4
	v_ashrrev_i32_e32 v4, v55, v129
	v_and_b32_e32 v3, 0xf0f0f0f, v3
	;; [unrolled: 18-line block ×3, first 2 shown]
	v_lshlrev_b32_e32 v3, 4, v3
	v_and_or_b32 v2, v3, s28, v2
	v_lshlrev_b16_e32 v4, 8, v2
	v_and_b32_e32 v3, 0x3f00, v2
	v_add_u16_e32 v4, 0xe000, v4
	v_or_b32_sdwa v3, v3, v4 dst_sel:DWORD dst_unused:UNUSED_PAD src0_sel:DWORD src1_sel:BYTE_1
	v_and_b32_sdwa v4, v2, s29 dst_sel:DWORD dst_unused:UNUSED_PAD src0_sel:WORD_1 src1_sel:DWORD
	v_lshlrev_b16_sdwa v2, v119, v2 dst_sel:DWORD dst_unused:UNUSED_PAD src0_sel:DWORD src1_sel:WORD_1
	v_add_u16_e32 v2, 0xe000, v2
	v_or_b32_sdwa v2, v4, v2 dst_sel:DWORD dst_unused:UNUSED_PAD src0_sel:DWORD src1_sel:BYTE_1
	v_add_u16_e32 v3, 0xe000, v3
	v_add_u16_sdwa v2, v2, s30 dst_sel:WORD_1 dst_unused:UNUSED_PAD src0_sel:DWORD src1_sel:DWORD
	v_or_b32_e32 v2, v3, v2
	ds_write_b32 v115, v2
	s_cbranch_scc0 .LBB209_4
; %bb.6:                                ;   in Loop: Header=BB209_5 Depth=1
	s_lshl_b32 s31, s23, 3
	v_add_u32_e32 v2, s31, v51
	v_cmp_gt_i32_e64 s[2:3], s9, v2
	s_and_b64 s[20:21], s[0:1], s[2:3]
	s_and_saveexec_b64 s[2:3], s[20:21]
	s_cbranch_execz .LBB209_8
; %bb.7:                                ;   in Loop: Header=BB209_5 Depth=1
	v_add_u32_e32 v2, v84, v2
	v_mad_i64_i32 v[2:3], s[20:21], v2, 36, v[82:83]
	global_load_dword v2, v[2:3], off offset:4
	s_waitcnt vmcnt(0)
	ds_write_b32 v57, v2
.LBB209_8:                              ;   in Loop: Header=BB209_5 Depth=1
	s_or_b64 exec, exec, s[2:3]
	s_and_saveexec_b64 s[20:21], vcc
	s_cbranch_execz .LBB209_11
; %bb.9:                                ;   in Loop: Header=BB209_5 Depth=1
	v_or_b32_e32 v2, s31, v13
	v_cmp_gt_i32_e64 s[2:3], s9, v2
	s_and_b64 s[2:3], s[0:1], s[2:3]
	s_and_b64 exec, exec, s[2:3]
	s_cbranch_execz .LBB209_11
; %bb.10:                               ;   in Loop: Header=BB209_5 Depth=1
	v_add_u32_e32 v2, v84, v2
	v_mad_i64_i32 v[2:3], s[2:3], v2, 36, s[6:7]
	global_load_dword v2, v[2:3], off
	s_waitcnt vmcnt(0)
	v_cvt_f32_f16_e32 v2, v2
	ds_write_b32 v59, v2
.LBB209_11:                             ;   in Loop: Header=BB209_5 Depth=1
	s_or_b64 exec, exec, s[20:21]
	s_mov_b32 s20, -2
	s_mov_b32 s2, 0
	v_mov_b32_e32 v120, v95
	v_mov_b32_e32 v121, v94
	s_mov_b32 s3, 0
	s_waitcnt lgkmcnt(0)
	s_barrier
.LBB209_12:                             ;   Parent Loop BB209_5 Depth=1
                                        ; =>  This Inner Loop Header: Depth=2
	s_and_b32 s21, s3, -16
	v_add_u32_e32 v123, s21, v61
	s_add_i32 s21, s20, 2
	s_lshr_b32 s36, s21, 4
	s_and_b32 s35, s21, 0x3ffffff8
	s_lshl_b32 s34, s36, 3
	s_lshl_b32 s35, s35, 2
	v_add_lshl_u32 v130, v63, s34, 2
	v_add_u32_e32 v128, s35, v65
	v_add_u32_e32 v126, 0x4200, v130
	ds_read_b32 v122, v120
	ds_read_b128 v[6:9], v121
	ds_read_b128 v[2:5], v121 offset:16
	ds_read2_b32 v[124:125], v128 offset1:1
	ds_read2_b32 v[126:127], v126 offset1:1
	s_lshl_b32 s36, s36, 2
	s_add_i32 s3, s3, 2
	v_add_u32_e32 v121, 32, v121
	s_waitcnt lgkmcnt(1)
	v_ashrrev_i32_e32 v124, s21, v124
	s_waitcnt lgkmcnt(0)
	v_ashrrev_i32_e32 v126, s2, v126
	v_lshlrev_b32_e32 v126, 2, v126
	v_and_b32_e32 v129, 0x3030303, v124
	v_bfe_u32 v124, v124, 24, 2
	v_and_b32_e32 v126, 0x4040404, v126
	v_sub_u16_e32 v131, v129, v126
	v_sub_u16_sdwa v132, v129, v126 dst_sel:BYTE_1 dst_unused:UNUSED_PAD src0_sel:BYTE_1 src1_sel:BYTE_1
	v_sub_u16_sdwa v124, v124, v126 dst_sel:BYTE_1 dst_unused:UNUSED_PAD src0_sel:DWORD src1_sel:BYTE_3
	v_sub_u16_sdwa v126, v129, v126 dst_sel:DWORD dst_unused:UNUSED_PAD src0_sel:WORD_1 src1_sel:WORD_1
	v_or_b32_sdwa v131, v131, v132 dst_sel:DWORD dst_unused:UNUSED_PAD src0_sel:BYTE_0 src1_sel:DWORD
	v_or_b32_sdwa v124, v126, v124 dst_sel:WORD_1 dst_unused:UNUSED_PAD src0_sel:BYTE_0 src1_sel:DWORD
	v_ashrrev_i32_e32 v126, s2, v127
	v_or_b32_sdwa v129, v131, v124 dst_sel:DWORD dst_unused:UNUSED_PAD src0_sel:WORD_0 src1_sel:DWORD
	v_ashrrev_i32_e32 v124, s21, v125
	v_lshlrev_b32_e32 v126, 2, v126
	v_and_b32_e32 v125, 0x3030303, v124
	v_bfe_u32 v124, v124, 24, 2
	v_and_b32_e32 v126, 0x4040404, v126
	v_sub_u16_e32 v127, v125, v126
	v_sub_u16_sdwa v131, v125, v126 dst_sel:BYTE_1 dst_unused:UNUSED_PAD src0_sel:BYTE_1 src1_sel:BYTE_1
	v_sub_u16_sdwa v124, v124, v126 dst_sel:BYTE_1 dst_unused:UNUSED_PAD src0_sel:DWORD src1_sel:BYTE_3
	v_sub_u16_sdwa v125, v125, v126 dst_sel:DWORD dst_unused:UNUSED_PAD src0_sel:WORD_1 src1_sel:WORD_1
	v_or_b32_sdwa v127, v127, v131 dst_sel:DWORD dst_unused:UNUSED_PAD src0_sel:BYTE_0 src1_sel:DWORD
	v_or_b32_sdwa v124, v125, v124 dst_sel:WORD_1 dst_unused:UNUSED_PAD src0_sel:BYTE_0 src1_sel:DWORD
	v_add_u32_e32 v126, 0x4208, v130
	v_or_b32_sdwa v131, v127, v124 dst_sel:DWORD dst_unused:UNUSED_PAD src0_sel:WORD_0 src1_sel:DWORD
	ds_read2_b32 v[124:125], v128 offset0:2 offset1:3
	ds_read2_b32 v[126:127], v126 offset1:1
	v_add_u32_e32 v120, 4, v120
	s_waitcnt lgkmcnt(1)
	v_ashrrev_i32_e32 v124, s21, v124
	s_waitcnt lgkmcnt(0)
	v_ashrrev_i32_e32 v126, s2, v126
	v_lshlrev_b32_e32 v126, 2, v126
	v_and_b32_e32 v132, 0x3030303, v124
	v_bfe_u32 v124, v124, 24, 2
	v_and_b32_e32 v126, 0x4040404, v126
	v_sub_u16_e32 v133, v132, v126
	v_sub_u16_sdwa v134, v132, v126 dst_sel:BYTE_1 dst_unused:UNUSED_PAD src0_sel:BYTE_1 src1_sel:BYTE_1
	v_sub_u16_sdwa v124, v124, v126 dst_sel:BYTE_1 dst_unused:UNUSED_PAD src0_sel:DWORD src1_sel:BYTE_3
	v_sub_u16_sdwa v126, v132, v126 dst_sel:DWORD dst_unused:UNUSED_PAD src0_sel:WORD_1 src1_sel:WORD_1
	v_or_b32_sdwa v133, v133, v134 dst_sel:DWORD dst_unused:UNUSED_PAD src0_sel:BYTE_0 src1_sel:DWORD
	v_or_b32_sdwa v124, v126, v124 dst_sel:WORD_1 dst_unused:UNUSED_PAD src0_sel:BYTE_0 src1_sel:DWORD
	v_ashrrev_i32_e32 v126, s2, v127
	v_or_b32_sdwa v132, v133, v124 dst_sel:DWORD dst_unused:UNUSED_PAD src0_sel:WORD_0 src1_sel:DWORD
	v_ashrrev_i32_e32 v124, s21, v125
	v_lshlrev_b32_e32 v126, 2, v126
	v_and_b32_e32 v125, 0x3030303, v124
	v_bfe_u32 v124, v124, 24, 2
	v_and_b32_e32 v126, 0x4040404, v126
	v_sub_u16_e32 v127, v125, v126
	v_sub_u16_sdwa v133, v125, v126 dst_sel:BYTE_1 dst_unused:UNUSED_PAD src0_sel:BYTE_1 src1_sel:BYTE_1
	v_sub_u16_sdwa v124, v124, v126 dst_sel:BYTE_1 dst_unused:UNUSED_PAD src0_sel:DWORD src1_sel:BYTE_3
	v_sub_u16_sdwa v125, v125, v126 dst_sel:DWORD dst_unused:UNUSED_PAD src0_sel:WORD_1 src1_sel:WORD_1
	v_or_b32_sdwa v127, v127, v133 dst_sel:DWORD dst_unused:UNUSED_PAD src0_sel:BYTE_0 src1_sel:DWORD
	v_or_b32_sdwa v124, v125, v124 dst_sel:WORD_1 dst_unused:UNUSED_PAD src0_sel:BYTE_0 src1_sel:DWORD
	v_add_u32_e32 v126, 0x4210, v130
	v_or_b32_sdwa v133, v127, v124 dst_sel:DWORD dst_unused:UNUSED_PAD src0_sel:WORD_0 src1_sel:DWORD
	ds_read2_b32 v[124:125], v128 offset0:4 offset1:5
	ds_read2_b32 v[126:127], v126 offset1:1
	s_waitcnt lgkmcnt(1)
	v_ashrrev_i32_e32 v124, s21, v124
	s_waitcnt lgkmcnt(0)
	v_ashrrev_i32_e32 v126, s2, v126
	v_lshlrev_b32_e32 v126, 2, v126
	v_and_b32_e32 v134, 0x3030303, v124
	v_bfe_u32 v124, v124, 24, 2
	v_and_b32_e32 v126, 0x4040404, v126
	v_sub_u16_e32 v135, v134, v126
	v_sub_u16_sdwa v136, v134, v126 dst_sel:BYTE_1 dst_unused:UNUSED_PAD src0_sel:BYTE_1 src1_sel:BYTE_1
	v_sub_u16_sdwa v124, v124, v126 dst_sel:BYTE_1 dst_unused:UNUSED_PAD src0_sel:DWORD src1_sel:BYTE_3
	v_sub_u16_sdwa v126, v134, v126 dst_sel:DWORD dst_unused:UNUSED_PAD src0_sel:WORD_1 src1_sel:WORD_1
	v_or_b32_sdwa v135, v135, v136 dst_sel:DWORD dst_unused:UNUSED_PAD src0_sel:BYTE_0 src1_sel:DWORD
	v_or_b32_sdwa v124, v126, v124 dst_sel:WORD_1 dst_unused:UNUSED_PAD src0_sel:BYTE_0 src1_sel:DWORD
	v_ashrrev_i32_e32 v126, s2, v127
	v_or_b32_sdwa v134, v135, v124 dst_sel:DWORD dst_unused:UNUSED_PAD src0_sel:WORD_0 src1_sel:DWORD
	v_ashrrev_i32_e32 v124, s21, v125
	v_lshlrev_b32_e32 v126, 2, v126
	v_and_b32_e32 v125, 0x3030303, v124
	v_bfe_u32 v124, v124, 24, 2
	v_and_b32_e32 v126, 0x4040404, v126
	v_sub_u16_e32 v127, v125, v126
	v_sub_u16_sdwa v135, v125, v126 dst_sel:BYTE_1 dst_unused:UNUSED_PAD src0_sel:BYTE_1 src1_sel:BYTE_1
	v_sub_u16_sdwa v124, v124, v126 dst_sel:BYTE_1 dst_unused:UNUSED_PAD src0_sel:DWORD src1_sel:BYTE_3
	v_sub_u16_sdwa v125, v125, v126 dst_sel:DWORD dst_unused:UNUSED_PAD src0_sel:WORD_1 src1_sel:WORD_1
	v_or_b32_sdwa v127, v127, v135 dst_sel:DWORD dst_unused:UNUSED_PAD src0_sel:BYTE_0 src1_sel:DWORD
	v_or_b32_sdwa v124, v125, v124 dst_sel:WORD_1 dst_unused:UNUSED_PAD src0_sel:BYTE_0 src1_sel:DWORD
	v_add_u32_e32 v126, 0x4218, v130
	v_or_b32_sdwa v135, v127, v124 dst_sel:DWORD dst_unused:UNUSED_PAD src0_sel:WORD_0 src1_sel:DWORD
	ds_read2_b32 v[124:125], v128 offset0:6 offset1:7
	ds_read2_b32 v[126:127], v126 offset1:1
	s_waitcnt lgkmcnt(1)
	v_ashrrev_i32_e32 v124, s21, v124
	s_waitcnt lgkmcnt(0)
	v_ashrrev_i32_e32 v126, s2, v126
	v_lshlrev_b32_e32 v126, 2, v126
	v_and_b32_e32 v128, 0x3030303, v124
	v_bfe_u32 v124, v124, 24, 2
	v_and_b32_e32 v126, 0x4040404, v126
	v_sub_u16_e32 v130, v128, v126
	v_sub_u16_sdwa v136, v128, v126 dst_sel:BYTE_1 dst_unused:UNUSED_PAD src0_sel:BYTE_1 src1_sel:BYTE_1
	v_sub_u16_sdwa v124, v124, v126 dst_sel:BYTE_1 dst_unused:UNUSED_PAD src0_sel:DWORD src1_sel:BYTE_3
	v_sub_u16_sdwa v126, v128, v126 dst_sel:DWORD dst_unused:UNUSED_PAD src0_sel:WORD_1 src1_sel:WORD_1
	v_or_b32_sdwa v130, v130, v136 dst_sel:DWORD dst_unused:UNUSED_PAD src0_sel:BYTE_0 src1_sel:DWORD
	v_or_b32_sdwa v124, v126, v124 dst_sel:WORD_1 dst_unused:UNUSED_PAD src0_sel:BYTE_0 src1_sel:DWORD
	v_ashrrev_i32_e32 v127, s2, v127
	v_or_b32_sdwa v126, v130, v124 dst_sel:DWORD dst_unused:UNUSED_PAD src0_sel:WORD_0 src1_sel:DWORD
	v_ashrrev_i32_e32 v124, s21, v125
	v_lshlrev_b32_e32 v127, 2, v127
	v_and_b32_e32 v125, 0x3030303, v124
	v_bfe_u32 v124, v124, 24, 2
	v_and_b32_e32 v127, 0x4040404, v127
	v_sub_u16_e32 v128, v125, v127
	v_sub_u16_sdwa v130, v125, v127 dst_sel:BYTE_1 dst_unused:UNUSED_PAD src0_sel:BYTE_1 src1_sel:BYTE_1
	v_sub_u16_sdwa v124, v124, v127 dst_sel:BYTE_1 dst_unused:UNUSED_PAD src0_sel:DWORD src1_sel:BYTE_3
	v_sub_u16_sdwa v125, v125, v127 dst_sel:DWORD dst_unused:UNUSED_PAD src0_sel:WORD_1 src1_sel:WORD_1
	v_or_b32_sdwa v128, v128, v130 dst_sel:DWORD dst_unused:UNUSED_PAD src0_sel:BYTE_0 src1_sel:DWORD
	v_or_b32_sdwa v124, v125, v124 dst_sel:WORD_1 dst_unused:UNUSED_PAD src0_sel:BYTE_0 src1_sel:DWORD
	v_or_b32_sdwa v125, v128, v124 dst_sel:DWORD dst_unused:UNUSED_PAD src0_sel:WORD_0 src1_sel:DWORD
	v_add3_u32 v124, v93, s20, v123
	v_add_u32_e32 v127, s36, v67
	ds_read_b32 v127, v127
	ds_read_u16 v124, v124 offset:25346
	v_mov_b32_e32 v128, 0
	v_dot4c_i32_i8_e32 v128, v129, v6
	v_dot4c_i32_i8_e32 v128, v131, v7
	v_dot4c_i32_i8_e32 v128, v132, v8
	v_dot4c_i32_i8_e32 v128, v133, v9
	s_waitcnt lgkmcnt(0)
	v_lshrrev_b16_e32 v129, 8, v124
	v_bfe_i32 v124, v124, 0, 8
	v_add_lshl_u32 v130, v69, s34, 2
	v_mul_lo_u32 v124, v128, v124
	v_mov_b32_e32 v128, 0
	v_dot4c_i32_i8_e32 v128, v134, v2
	v_dot4c_i32_i8_e32 v128, v135, v3
	;; [unrolled: 1-line block ×4, first 2 shown]
	v_bfe_i32 v125, v129, 0, 8
	v_add_u32_e32 v126, 0x4200, v130
	s_nop 0
	v_mad_u64_u32 v[124:125], s[38:39], v128, v125, v[124:125]
	v_cvt_f32_i32_e32 v124, v124
	v_mul_f32_e32 v125, v122, v127
	v_add_u32_e32 v128, s35, v71
	ds_read2_b32 v[126:127], v126 offset1:1
	v_fmac_f32_e32 v15, v125, v124
	ds_read2_b32 v[124:125], v128 offset1:1
	s_waitcnt lgkmcnt(1)
	v_ashrrev_i32_e32 v126, s2, v126
	v_lshlrev_b32_e32 v126, 2, v126
	s_waitcnt lgkmcnt(0)
	v_ashrrev_i32_e32 v124, s21, v124
	v_and_b32_e32 v129, 0x3030303, v124
	v_bfe_u32 v124, v124, 24, 2
	v_and_b32_e32 v126, 0x4040404, v126
	v_sub_u16_e32 v131, v129, v126
	v_sub_u16_sdwa v132, v129, v126 dst_sel:BYTE_1 dst_unused:UNUSED_PAD src0_sel:BYTE_1 src1_sel:BYTE_1
	v_sub_u16_sdwa v124, v124, v126 dst_sel:BYTE_1 dst_unused:UNUSED_PAD src0_sel:DWORD src1_sel:BYTE_3
	v_sub_u16_sdwa v126, v129, v126 dst_sel:DWORD dst_unused:UNUSED_PAD src0_sel:WORD_1 src1_sel:WORD_1
	v_or_b32_sdwa v131, v131, v132 dst_sel:DWORD dst_unused:UNUSED_PAD src0_sel:BYTE_0 src1_sel:DWORD
	v_or_b32_sdwa v124, v126, v124 dst_sel:WORD_1 dst_unused:UNUSED_PAD src0_sel:BYTE_0 src1_sel:DWORD
	v_ashrrev_i32_e32 v126, s2, v127
	v_or_b32_sdwa v129, v131, v124 dst_sel:DWORD dst_unused:UNUSED_PAD src0_sel:WORD_0 src1_sel:DWORD
	v_ashrrev_i32_e32 v124, s21, v125
	v_lshlrev_b32_e32 v126, 2, v126
	v_and_b32_e32 v125, 0x3030303, v124
	v_bfe_u32 v124, v124, 24, 2
	v_and_b32_e32 v126, 0x4040404, v126
	v_sub_u16_e32 v127, v125, v126
	v_sub_u16_sdwa v131, v125, v126 dst_sel:BYTE_1 dst_unused:UNUSED_PAD src0_sel:BYTE_1 src1_sel:BYTE_1
	v_sub_u16_sdwa v124, v124, v126 dst_sel:BYTE_1 dst_unused:UNUSED_PAD src0_sel:DWORD src1_sel:BYTE_3
	v_sub_u16_sdwa v125, v125, v126 dst_sel:DWORD dst_unused:UNUSED_PAD src0_sel:WORD_1 src1_sel:WORD_1
	v_or_b32_sdwa v127, v127, v131 dst_sel:DWORD dst_unused:UNUSED_PAD src0_sel:BYTE_0 src1_sel:DWORD
	v_or_b32_sdwa v124, v125, v124 dst_sel:WORD_1 dst_unused:UNUSED_PAD src0_sel:BYTE_0 src1_sel:DWORD
	v_add_u32_e32 v126, 0x4208, v130
	v_or_b32_sdwa v131, v127, v124 dst_sel:DWORD dst_unused:UNUSED_PAD src0_sel:WORD_0 src1_sel:DWORD
	ds_read2_b32 v[124:125], v128 offset0:2 offset1:3
	ds_read2_b32 v[126:127], v126 offset1:1
	s_waitcnt lgkmcnt(1)
	v_ashrrev_i32_e32 v124, s21, v124
	s_waitcnt lgkmcnt(0)
	v_ashrrev_i32_e32 v126, s2, v126
	v_lshlrev_b32_e32 v126, 2, v126
	v_and_b32_e32 v132, 0x3030303, v124
	v_bfe_u32 v124, v124, 24, 2
	v_and_b32_e32 v126, 0x4040404, v126
	v_sub_u16_e32 v133, v132, v126
	v_sub_u16_sdwa v134, v132, v126 dst_sel:BYTE_1 dst_unused:UNUSED_PAD src0_sel:BYTE_1 src1_sel:BYTE_1
	v_sub_u16_sdwa v124, v124, v126 dst_sel:BYTE_1 dst_unused:UNUSED_PAD src0_sel:DWORD src1_sel:BYTE_3
	v_sub_u16_sdwa v126, v132, v126 dst_sel:DWORD dst_unused:UNUSED_PAD src0_sel:WORD_1 src1_sel:WORD_1
	v_or_b32_sdwa v133, v133, v134 dst_sel:DWORD dst_unused:UNUSED_PAD src0_sel:BYTE_0 src1_sel:DWORD
	v_or_b32_sdwa v124, v126, v124 dst_sel:WORD_1 dst_unused:UNUSED_PAD src0_sel:BYTE_0 src1_sel:DWORD
	v_ashrrev_i32_e32 v126, s2, v127
	v_or_b32_sdwa v132, v133, v124 dst_sel:DWORD dst_unused:UNUSED_PAD src0_sel:WORD_0 src1_sel:DWORD
	v_ashrrev_i32_e32 v124, s21, v125
	v_lshlrev_b32_e32 v126, 2, v126
	v_and_b32_e32 v125, 0x3030303, v124
	v_bfe_u32 v124, v124, 24, 2
	v_and_b32_e32 v126, 0x4040404, v126
	v_sub_u16_e32 v127, v125, v126
	v_sub_u16_sdwa v133, v125, v126 dst_sel:BYTE_1 dst_unused:UNUSED_PAD src0_sel:BYTE_1 src1_sel:BYTE_1
	v_sub_u16_sdwa v124, v124, v126 dst_sel:BYTE_1 dst_unused:UNUSED_PAD src0_sel:DWORD src1_sel:BYTE_3
	v_sub_u16_sdwa v125, v125, v126 dst_sel:DWORD dst_unused:UNUSED_PAD src0_sel:WORD_1 src1_sel:WORD_1
	v_or_b32_sdwa v127, v127, v133 dst_sel:DWORD dst_unused:UNUSED_PAD src0_sel:BYTE_0 src1_sel:DWORD
	v_or_b32_sdwa v124, v125, v124 dst_sel:WORD_1 dst_unused:UNUSED_PAD src0_sel:BYTE_0 src1_sel:DWORD
	v_add_u32_e32 v126, 0x4210, v130
	v_or_b32_sdwa v133, v127, v124 dst_sel:DWORD dst_unused:UNUSED_PAD src0_sel:WORD_0 src1_sel:DWORD
	ds_read2_b32 v[124:125], v128 offset0:4 offset1:5
	ds_read2_b32 v[126:127], v126 offset1:1
	s_waitcnt lgkmcnt(1)
	v_ashrrev_i32_e32 v124, s21, v124
	s_waitcnt lgkmcnt(0)
	v_ashrrev_i32_e32 v126, s2, v126
	v_lshlrev_b32_e32 v126, 2, v126
	;; [unrolled: 31-line block ×3, first 2 shown]
	v_and_b32_e32 v128, 0x3030303, v124
	v_bfe_u32 v124, v124, 24, 2
	v_and_b32_e32 v126, 0x4040404, v126
	v_sub_u16_e32 v130, v128, v126
	v_sub_u16_sdwa v136, v128, v126 dst_sel:BYTE_1 dst_unused:UNUSED_PAD src0_sel:BYTE_1 src1_sel:BYTE_1
	v_sub_u16_sdwa v124, v124, v126 dst_sel:BYTE_1 dst_unused:UNUSED_PAD src0_sel:DWORD src1_sel:BYTE_3
	v_sub_u16_sdwa v126, v128, v126 dst_sel:DWORD dst_unused:UNUSED_PAD src0_sel:WORD_1 src1_sel:WORD_1
	v_or_b32_sdwa v130, v130, v136 dst_sel:DWORD dst_unused:UNUSED_PAD src0_sel:BYTE_0 src1_sel:DWORD
	v_or_b32_sdwa v124, v126, v124 dst_sel:WORD_1 dst_unused:UNUSED_PAD src0_sel:BYTE_0 src1_sel:DWORD
	v_ashrrev_i32_e32 v127, s2, v127
	v_or_b32_sdwa v126, v130, v124 dst_sel:DWORD dst_unused:UNUSED_PAD src0_sel:WORD_0 src1_sel:DWORD
	v_ashrrev_i32_e32 v124, s21, v125
	v_lshlrev_b32_e32 v127, 2, v127
	v_and_b32_e32 v125, 0x3030303, v124
	v_bfe_u32 v124, v124, 24, 2
	v_and_b32_e32 v127, 0x4040404, v127
	v_sub_u16_e32 v128, v125, v127
	v_sub_u16_sdwa v130, v125, v127 dst_sel:BYTE_1 dst_unused:UNUSED_PAD src0_sel:BYTE_1 src1_sel:BYTE_1
	v_sub_u16_sdwa v124, v124, v127 dst_sel:BYTE_1 dst_unused:UNUSED_PAD src0_sel:DWORD src1_sel:BYTE_3
	v_sub_u16_sdwa v125, v125, v127 dst_sel:DWORD dst_unused:UNUSED_PAD src0_sel:WORD_1 src1_sel:WORD_1
	v_or_b32_sdwa v128, v128, v130 dst_sel:DWORD dst_unused:UNUSED_PAD src0_sel:BYTE_0 src1_sel:DWORD
	v_or_b32_sdwa v124, v125, v124 dst_sel:WORD_1 dst_unused:UNUSED_PAD src0_sel:BYTE_0 src1_sel:DWORD
	v_or_b32_sdwa v125, v128, v124 dst_sel:DWORD dst_unused:UNUSED_PAD src0_sel:WORD_0 src1_sel:DWORD
	v_add3_u32 v124, v92, s20, v123
	v_add_u32_e32 v127, s36, v73
	ds_read_b32 v127, v127
	ds_read_u16 v124, v124 offset:26370
	v_mov_b32_e32 v128, 0
	v_dot4c_i32_i8_e32 v128, v129, v6
	v_dot4c_i32_i8_e32 v128, v131, v7
	;; [unrolled: 1-line block ×4, first 2 shown]
	s_waitcnt lgkmcnt(0)
	v_lshrrev_b16_e32 v129, 8, v124
	v_bfe_i32 v124, v124, 0, 8
	v_add_lshl_u32 v130, v75, s34, 2
	v_mul_lo_u32 v124, v128, v124
	v_mov_b32_e32 v128, 0
	v_dot4c_i32_i8_e32 v128, v134, v2
	v_dot4c_i32_i8_e32 v128, v135, v3
	;; [unrolled: 1-line block ×4, first 2 shown]
	v_bfe_i32 v125, v129, 0, 8
	v_add_u32_e32 v126, 0x4200, v130
	s_nop 0
	v_mad_u64_u32 v[124:125], s[38:39], v128, v125, v[124:125]
	v_cvt_f32_i32_e32 v124, v124
	v_mul_f32_e32 v125, v122, v127
	v_add_u32_e32 v128, s35, v77
	ds_read2_b32 v[126:127], v126 offset1:1
	v_fmac_f32_e32 v116, v125, v124
	ds_read2_b32 v[124:125], v128 offset1:1
	s_waitcnt lgkmcnt(1)
	v_ashrrev_i32_e32 v126, s2, v126
	v_lshlrev_b32_e32 v126, 2, v126
	s_waitcnt lgkmcnt(0)
	v_ashrrev_i32_e32 v124, s21, v124
	v_and_b32_e32 v129, 0x3030303, v124
	v_bfe_u32 v124, v124, 24, 2
	v_and_b32_e32 v126, 0x4040404, v126
	v_sub_u16_e32 v131, v129, v126
	v_sub_u16_sdwa v132, v129, v126 dst_sel:BYTE_1 dst_unused:UNUSED_PAD src0_sel:BYTE_1 src1_sel:BYTE_1
	v_sub_u16_sdwa v124, v124, v126 dst_sel:BYTE_1 dst_unused:UNUSED_PAD src0_sel:DWORD src1_sel:BYTE_3
	v_sub_u16_sdwa v126, v129, v126 dst_sel:DWORD dst_unused:UNUSED_PAD src0_sel:WORD_1 src1_sel:WORD_1
	v_or_b32_sdwa v131, v131, v132 dst_sel:DWORD dst_unused:UNUSED_PAD src0_sel:BYTE_0 src1_sel:DWORD
	v_or_b32_sdwa v124, v126, v124 dst_sel:WORD_1 dst_unused:UNUSED_PAD src0_sel:BYTE_0 src1_sel:DWORD
	v_ashrrev_i32_e32 v126, s2, v127
	v_or_b32_sdwa v129, v131, v124 dst_sel:DWORD dst_unused:UNUSED_PAD src0_sel:WORD_0 src1_sel:DWORD
	v_ashrrev_i32_e32 v124, s21, v125
	v_lshlrev_b32_e32 v126, 2, v126
	v_and_b32_e32 v125, 0x3030303, v124
	v_bfe_u32 v124, v124, 24, 2
	v_and_b32_e32 v126, 0x4040404, v126
	v_sub_u16_e32 v127, v125, v126
	v_sub_u16_sdwa v131, v125, v126 dst_sel:BYTE_1 dst_unused:UNUSED_PAD src0_sel:BYTE_1 src1_sel:BYTE_1
	v_sub_u16_sdwa v124, v124, v126 dst_sel:BYTE_1 dst_unused:UNUSED_PAD src0_sel:DWORD src1_sel:BYTE_3
	v_sub_u16_sdwa v125, v125, v126 dst_sel:DWORD dst_unused:UNUSED_PAD src0_sel:WORD_1 src1_sel:WORD_1
	v_or_b32_sdwa v127, v127, v131 dst_sel:DWORD dst_unused:UNUSED_PAD src0_sel:BYTE_0 src1_sel:DWORD
	v_or_b32_sdwa v124, v125, v124 dst_sel:WORD_1 dst_unused:UNUSED_PAD src0_sel:BYTE_0 src1_sel:DWORD
	v_add_u32_e32 v126, 0x4208, v130
	v_or_b32_sdwa v131, v127, v124 dst_sel:DWORD dst_unused:UNUSED_PAD src0_sel:WORD_0 src1_sel:DWORD
	ds_read2_b32 v[124:125], v128 offset0:2 offset1:3
	ds_read2_b32 v[126:127], v126 offset1:1
	s_waitcnt lgkmcnt(1)
	v_ashrrev_i32_e32 v124, s21, v124
	s_waitcnt lgkmcnt(0)
	v_ashrrev_i32_e32 v126, s2, v126
	v_lshlrev_b32_e32 v126, 2, v126
	v_and_b32_e32 v132, 0x3030303, v124
	v_bfe_u32 v124, v124, 24, 2
	v_and_b32_e32 v126, 0x4040404, v126
	v_sub_u16_e32 v133, v132, v126
	v_sub_u16_sdwa v134, v132, v126 dst_sel:BYTE_1 dst_unused:UNUSED_PAD src0_sel:BYTE_1 src1_sel:BYTE_1
	v_sub_u16_sdwa v124, v124, v126 dst_sel:BYTE_1 dst_unused:UNUSED_PAD src0_sel:DWORD src1_sel:BYTE_3
	v_sub_u16_sdwa v126, v132, v126 dst_sel:DWORD dst_unused:UNUSED_PAD src0_sel:WORD_1 src1_sel:WORD_1
	v_or_b32_sdwa v133, v133, v134 dst_sel:DWORD dst_unused:UNUSED_PAD src0_sel:BYTE_0 src1_sel:DWORD
	v_or_b32_sdwa v124, v126, v124 dst_sel:WORD_1 dst_unused:UNUSED_PAD src0_sel:BYTE_0 src1_sel:DWORD
	v_ashrrev_i32_e32 v126, s2, v127
	v_or_b32_sdwa v132, v133, v124 dst_sel:DWORD dst_unused:UNUSED_PAD src0_sel:WORD_0 src1_sel:DWORD
	v_ashrrev_i32_e32 v124, s21, v125
	v_lshlrev_b32_e32 v126, 2, v126
	v_and_b32_e32 v125, 0x3030303, v124
	v_bfe_u32 v124, v124, 24, 2
	v_and_b32_e32 v126, 0x4040404, v126
	v_sub_u16_e32 v127, v125, v126
	v_sub_u16_sdwa v133, v125, v126 dst_sel:BYTE_1 dst_unused:UNUSED_PAD src0_sel:BYTE_1 src1_sel:BYTE_1
	v_sub_u16_sdwa v124, v124, v126 dst_sel:BYTE_1 dst_unused:UNUSED_PAD src0_sel:DWORD src1_sel:BYTE_3
	v_sub_u16_sdwa v125, v125, v126 dst_sel:DWORD dst_unused:UNUSED_PAD src0_sel:WORD_1 src1_sel:WORD_1
	v_or_b32_sdwa v127, v127, v133 dst_sel:DWORD dst_unused:UNUSED_PAD src0_sel:BYTE_0 src1_sel:DWORD
	v_or_b32_sdwa v124, v125, v124 dst_sel:WORD_1 dst_unused:UNUSED_PAD src0_sel:BYTE_0 src1_sel:DWORD
	v_add_u32_e32 v126, 0x4210, v130
	v_or_b32_sdwa v133, v127, v124 dst_sel:DWORD dst_unused:UNUSED_PAD src0_sel:WORD_0 src1_sel:DWORD
	ds_read2_b32 v[124:125], v128 offset0:4 offset1:5
	ds_read2_b32 v[126:127], v126 offset1:1
	s_waitcnt lgkmcnt(1)
	v_ashrrev_i32_e32 v124, s21, v124
	s_waitcnt lgkmcnt(0)
	v_ashrrev_i32_e32 v126, s2, v126
	v_lshlrev_b32_e32 v126, 2, v126
	;; [unrolled: 31-line block ×3, first 2 shown]
	v_and_b32_e32 v128, 0x3030303, v124
	v_bfe_u32 v124, v124, 24, 2
	v_and_b32_e32 v126, 0x4040404, v126
	v_sub_u16_e32 v130, v128, v126
	v_sub_u16_sdwa v136, v128, v126 dst_sel:BYTE_1 dst_unused:UNUSED_PAD src0_sel:BYTE_1 src1_sel:BYTE_1
	v_sub_u16_sdwa v124, v124, v126 dst_sel:BYTE_1 dst_unused:UNUSED_PAD src0_sel:DWORD src1_sel:BYTE_3
	v_sub_u16_sdwa v126, v128, v126 dst_sel:DWORD dst_unused:UNUSED_PAD src0_sel:WORD_1 src1_sel:WORD_1
	v_or_b32_sdwa v130, v130, v136 dst_sel:DWORD dst_unused:UNUSED_PAD src0_sel:BYTE_0 src1_sel:DWORD
	v_or_b32_sdwa v124, v126, v124 dst_sel:WORD_1 dst_unused:UNUSED_PAD src0_sel:BYTE_0 src1_sel:DWORD
	v_ashrrev_i32_e32 v127, s2, v127
	v_or_b32_sdwa v126, v130, v124 dst_sel:DWORD dst_unused:UNUSED_PAD src0_sel:WORD_0 src1_sel:DWORD
	v_ashrrev_i32_e32 v124, s21, v125
	v_lshlrev_b32_e32 v127, 2, v127
	v_and_b32_e32 v125, 0x3030303, v124
	v_bfe_u32 v124, v124, 24, 2
	v_and_b32_e32 v127, 0x4040404, v127
	v_sub_u16_e32 v128, v125, v127
	v_sub_u16_sdwa v130, v125, v127 dst_sel:BYTE_1 dst_unused:UNUSED_PAD src0_sel:BYTE_1 src1_sel:BYTE_1
	v_sub_u16_sdwa v124, v124, v127 dst_sel:BYTE_1 dst_unused:UNUSED_PAD src0_sel:DWORD src1_sel:BYTE_3
	v_sub_u16_sdwa v125, v125, v127 dst_sel:DWORD dst_unused:UNUSED_PAD src0_sel:WORD_1 src1_sel:WORD_1
	v_or_b32_sdwa v128, v128, v130 dst_sel:DWORD dst_unused:UNUSED_PAD src0_sel:BYTE_0 src1_sel:DWORD
	v_or_b32_sdwa v124, v125, v124 dst_sel:WORD_1 dst_unused:UNUSED_PAD src0_sel:BYTE_0 src1_sel:DWORD
	v_or_b32_sdwa v125, v128, v124 dst_sel:DWORD dst_unused:UNUSED_PAD src0_sel:WORD_0 src1_sel:DWORD
	v_add3_u32 v124, v91, s20, v123
	v_add_u32_e32 v127, s36, v79
	ds_read_b32 v127, v127
	ds_read_u16 v124, v124 offset:27394
	v_mov_b32_e32 v128, 0
	v_dot4c_i32_i8_e32 v128, v129, v6
	v_dot4c_i32_i8_e32 v128, v131, v7
	v_dot4c_i32_i8_e32 v128, v132, v8
	v_dot4c_i32_i8_e32 v128, v133, v9
	s_waitcnt lgkmcnt(0)
	v_lshrrev_b16_e32 v129, 8, v124
	v_bfe_i32 v124, v124, 0, 8
	v_add_lshl_u32 v130, v81, s34, 2
	v_mul_lo_u32 v124, v128, v124
	v_mov_b32_e32 v128, 0
	v_dot4c_i32_i8_e32 v128, v134, v2
	v_dot4c_i32_i8_e32 v128, v135, v3
	;; [unrolled: 1-line block ×4, first 2 shown]
	v_bfe_i32 v125, v129, 0, 8
	v_add_u32_e32 v126, 0x4200, v130
	v_add3_u32 v123, v90, s20, v123
	v_mad_u64_u32 v[124:125], s[38:39], v128, v125, v[124:125]
	v_cvt_f32_i32_e32 v124, v124
	v_mul_f32_e32 v125, v122, v127
	v_add_u32_e32 v128, s35, v85
	ds_read2_b32 v[126:127], v126 offset1:1
	v_fmac_f32_e32 v117, v125, v124
	ds_read2_b32 v[124:125], v128 offset1:1
	s_mov_b32 s20, s21
	s_waitcnt lgkmcnt(1)
	v_ashrrev_i32_e32 v126, s2, v126
	v_lshlrev_b32_e32 v126, 2, v126
	s_waitcnt lgkmcnt(0)
	v_ashrrev_i32_e32 v124, s21, v124
	v_and_b32_e32 v129, 0x3030303, v124
	v_bfe_u32 v124, v124, 24, 2
	v_and_b32_e32 v126, 0x4040404, v126
	v_sub_u16_e32 v131, v129, v126
	v_sub_u16_sdwa v132, v129, v126 dst_sel:BYTE_1 dst_unused:UNUSED_PAD src0_sel:BYTE_1 src1_sel:BYTE_1
	v_sub_u16_sdwa v124, v124, v126 dst_sel:BYTE_1 dst_unused:UNUSED_PAD src0_sel:DWORD src1_sel:BYTE_3
	v_sub_u16_sdwa v126, v129, v126 dst_sel:DWORD dst_unused:UNUSED_PAD src0_sel:WORD_1 src1_sel:WORD_1
	v_or_b32_sdwa v131, v131, v132 dst_sel:DWORD dst_unused:UNUSED_PAD src0_sel:BYTE_0 src1_sel:DWORD
	v_or_b32_sdwa v124, v126, v124 dst_sel:WORD_1 dst_unused:UNUSED_PAD src0_sel:BYTE_0 src1_sel:DWORD
	v_ashrrev_i32_e32 v126, s2, v127
	v_or_b32_sdwa v129, v131, v124 dst_sel:DWORD dst_unused:UNUSED_PAD src0_sel:WORD_0 src1_sel:DWORD
	v_ashrrev_i32_e32 v124, s21, v125
	v_lshlrev_b32_e32 v126, 2, v126
	v_and_b32_e32 v125, 0x3030303, v124
	v_bfe_u32 v124, v124, 24, 2
	v_and_b32_e32 v126, 0x4040404, v126
	v_sub_u16_e32 v127, v125, v126
	v_sub_u16_sdwa v131, v125, v126 dst_sel:BYTE_1 dst_unused:UNUSED_PAD src0_sel:BYTE_1 src1_sel:BYTE_1
	v_sub_u16_sdwa v124, v124, v126 dst_sel:BYTE_1 dst_unused:UNUSED_PAD src0_sel:DWORD src1_sel:BYTE_3
	v_sub_u16_sdwa v125, v125, v126 dst_sel:DWORD dst_unused:UNUSED_PAD src0_sel:WORD_1 src1_sel:WORD_1
	v_or_b32_sdwa v127, v127, v131 dst_sel:DWORD dst_unused:UNUSED_PAD src0_sel:BYTE_0 src1_sel:DWORD
	v_or_b32_sdwa v124, v125, v124 dst_sel:WORD_1 dst_unused:UNUSED_PAD src0_sel:BYTE_0 src1_sel:DWORD
	v_add_u32_e32 v126, 0x4208, v130
	v_or_b32_sdwa v131, v127, v124 dst_sel:DWORD dst_unused:UNUSED_PAD src0_sel:WORD_0 src1_sel:DWORD
	ds_read2_b32 v[124:125], v128 offset0:2 offset1:3
	ds_read2_b32 v[126:127], v126 offset1:1
	s_waitcnt lgkmcnt(1)
	v_ashrrev_i32_e32 v124, s21, v124
	s_waitcnt lgkmcnt(0)
	v_ashrrev_i32_e32 v126, s2, v126
	v_lshlrev_b32_e32 v126, 2, v126
	v_and_b32_e32 v132, 0x3030303, v124
	v_bfe_u32 v124, v124, 24, 2
	v_and_b32_e32 v126, 0x4040404, v126
	v_sub_u16_e32 v133, v132, v126
	v_sub_u16_sdwa v134, v132, v126 dst_sel:BYTE_1 dst_unused:UNUSED_PAD src0_sel:BYTE_1 src1_sel:BYTE_1
	v_sub_u16_sdwa v124, v124, v126 dst_sel:BYTE_1 dst_unused:UNUSED_PAD src0_sel:DWORD src1_sel:BYTE_3
	v_sub_u16_sdwa v126, v132, v126 dst_sel:DWORD dst_unused:UNUSED_PAD src0_sel:WORD_1 src1_sel:WORD_1
	v_or_b32_sdwa v133, v133, v134 dst_sel:DWORD dst_unused:UNUSED_PAD src0_sel:BYTE_0 src1_sel:DWORD
	v_or_b32_sdwa v124, v126, v124 dst_sel:WORD_1 dst_unused:UNUSED_PAD src0_sel:BYTE_0 src1_sel:DWORD
	v_ashrrev_i32_e32 v126, s2, v127
	v_or_b32_sdwa v132, v133, v124 dst_sel:DWORD dst_unused:UNUSED_PAD src0_sel:WORD_0 src1_sel:DWORD
	v_ashrrev_i32_e32 v124, s21, v125
	v_lshlrev_b32_e32 v126, 2, v126
	v_and_b32_e32 v125, 0x3030303, v124
	v_bfe_u32 v124, v124, 24, 2
	v_and_b32_e32 v126, 0x4040404, v126
	v_sub_u16_e32 v127, v125, v126
	v_sub_u16_sdwa v133, v125, v126 dst_sel:BYTE_1 dst_unused:UNUSED_PAD src0_sel:BYTE_1 src1_sel:BYTE_1
	v_sub_u16_sdwa v124, v124, v126 dst_sel:BYTE_1 dst_unused:UNUSED_PAD src0_sel:DWORD src1_sel:BYTE_3
	v_sub_u16_sdwa v125, v125, v126 dst_sel:DWORD dst_unused:UNUSED_PAD src0_sel:WORD_1 src1_sel:WORD_1
	v_or_b32_sdwa v127, v127, v133 dst_sel:DWORD dst_unused:UNUSED_PAD src0_sel:BYTE_0 src1_sel:DWORD
	v_or_b32_sdwa v124, v125, v124 dst_sel:WORD_1 dst_unused:UNUSED_PAD src0_sel:BYTE_0 src1_sel:DWORD
	v_add_u32_e32 v126, 0x4210, v130
	v_or_b32_sdwa v133, v127, v124 dst_sel:DWORD dst_unused:UNUSED_PAD src0_sel:WORD_0 src1_sel:DWORD
	ds_read2_b32 v[124:125], v128 offset0:4 offset1:5
	ds_read2_b32 v[126:127], v126 offset1:1
	s_waitcnt lgkmcnt(1)
	v_ashrrev_i32_e32 v124, s21, v124
	s_waitcnt lgkmcnt(0)
	v_ashrrev_i32_e32 v126, s2, v126
	v_lshlrev_b32_e32 v126, 2, v126
	v_and_b32_e32 v134, 0x3030303, v124
	v_bfe_u32 v124, v124, 24, 2
	v_and_b32_e32 v126, 0x4040404, v126
	v_sub_u16_e32 v135, v134, v126
	v_sub_u16_sdwa v136, v134, v126 dst_sel:BYTE_1 dst_unused:UNUSED_PAD src0_sel:BYTE_1 src1_sel:BYTE_1
	v_sub_u16_sdwa v124, v124, v126 dst_sel:BYTE_1 dst_unused:UNUSED_PAD src0_sel:DWORD src1_sel:BYTE_3
	v_sub_u16_sdwa v126, v134, v126 dst_sel:DWORD dst_unused:UNUSED_PAD src0_sel:WORD_1 src1_sel:WORD_1
	v_or_b32_sdwa v135, v135, v136 dst_sel:DWORD dst_unused:UNUSED_PAD src0_sel:BYTE_0 src1_sel:DWORD
	v_or_b32_sdwa v124, v126, v124 dst_sel:WORD_1 dst_unused:UNUSED_PAD src0_sel:BYTE_0 src1_sel:DWORD
	v_ashrrev_i32_e32 v126, s2, v127
	v_or_b32_sdwa v134, v135, v124 dst_sel:DWORD dst_unused:UNUSED_PAD src0_sel:WORD_0 src1_sel:DWORD
	v_ashrrev_i32_e32 v124, s21, v125
	v_lshlrev_b32_e32 v126, 2, v126
	v_and_b32_e32 v125, 0x3030303, v124
	v_bfe_u32 v124, v124, 24, 2
	v_and_b32_e32 v126, 0x4040404, v126
	v_sub_u16_e32 v127, v125, v126
	v_sub_u16_sdwa v135, v125, v126 dst_sel:BYTE_1 dst_unused:UNUSED_PAD src0_sel:BYTE_1 src1_sel:BYTE_1
	v_sub_u16_sdwa v124, v124, v126 dst_sel:BYTE_1 dst_unused:UNUSED_PAD src0_sel:DWORD src1_sel:BYTE_3
	v_sub_u16_sdwa v125, v125, v126 dst_sel:DWORD dst_unused:UNUSED_PAD src0_sel:WORD_1 src1_sel:WORD_1
	v_or_b32_sdwa v127, v127, v135 dst_sel:DWORD dst_unused:UNUSED_PAD src0_sel:BYTE_0 src1_sel:DWORD
	v_or_b32_sdwa v124, v125, v124 dst_sel:WORD_1 dst_unused:UNUSED_PAD src0_sel:BYTE_0 src1_sel:DWORD
	v_add_u32_e32 v126, 0x4218, v130
	v_or_b32_sdwa v135, v127, v124 dst_sel:DWORD dst_unused:UNUSED_PAD src0_sel:WORD_0 src1_sel:DWORD
	ds_read2_b32 v[124:125], v128 offset0:6 offset1:7
	ds_read2_b32 v[126:127], v126 offset1:1
	s_waitcnt lgkmcnt(1)
	v_ashrrev_i32_e32 v124, s21, v124
	s_waitcnt lgkmcnt(0)
	v_ashrrev_i32_e32 v126, s2, v126
	v_lshlrev_b32_e32 v126, 2, v126
	v_and_b32_e32 v128, 0x3030303, v124
	v_bfe_u32 v124, v124, 24, 2
	v_and_b32_e32 v126, 0x4040404, v126
	v_ashrrev_i32_e32 v127, s2, v127
	v_sub_u16_e32 v130, v128, v126
	v_sub_u16_sdwa v136, v128, v126 dst_sel:BYTE_1 dst_unused:UNUSED_PAD src0_sel:BYTE_1 src1_sel:BYTE_1
	v_sub_u16_sdwa v124, v124, v126 dst_sel:BYTE_1 dst_unused:UNUSED_PAD src0_sel:DWORD src1_sel:BYTE_3
	v_sub_u16_sdwa v126, v128, v126 dst_sel:DWORD dst_unused:UNUSED_PAD src0_sel:WORD_1 src1_sel:WORD_1
	v_ashrrev_i32_e32 v125, s21, v125
	v_lshlrev_b32_e32 v127, 2, v127
	v_or_b32_sdwa v130, v130, v136 dst_sel:DWORD dst_unused:UNUSED_PAD src0_sel:BYTE_0 src1_sel:DWORD
	v_or_b32_sdwa v124, v126, v124 dst_sel:WORD_1 dst_unused:UNUSED_PAD src0_sel:BYTE_0 src1_sel:DWORD
	v_and_b32_e32 v126, 0x3030303, v125
	v_bfe_u32 v125, v125, 24, 2
	v_and_b32_e32 v127, 0x4040404, v127
	v_or_b32_sdwa v124, v130, v124 dst_sel:DWORD dst_unused:UNUSED_PAD src0_sel:WORD_0 src1_sel:DWORD
	v_sub_u16_e32 v128, v126, v127
	v_sub_u16_sdwa v130, v126, v127 dst_sel:BYTE_1 dst_unused:UNUSED_PAD src0_sel:BYTE_1 src1_sel:BYTE_1
	v_sub_u16_sdwa v125, v125, v127 dst_sel:BYTE_1 dst_unused:UNUSED_PAD src0_sel:DWORD src1_sel:BYTE_3
	v_sub_u16_sdwa v126, v126, v127 dst_sel:DWORD dst_unused:UNUSED_PAD src0_sel:WORD_1 src1_sel:WORD_1
	v_or_b32_sdwa v125, v126, v125 dst_sel:WORD_1 dst_unused:UNUSED_PAD src0_sel:BYTE_0 src1_sel:DWORD
	v_add_u32_e32 v126, s36, v86
	v_mov_b32_e32 v127, 0
	ds_read_b32 v126, v126
	v_dot4c_i32_i8_e32 v127, v129, v6
	ds_read_u16 v6, v123 offset:28418
	v_dot4c_i32_i8_e32 v127, v131, v7
	v_dot4c_i32_i8_e32 v127, v132, v8
	v_mov_b32_e32 v8, 0
	v_dot4c_i32_i8_e32 v8, v134, v2
	v_or_b32_sdwa v128, v128, v130 dst_sel:DWORD dst_unused:UNUSED_PAD src0_sel:BYTE_0 src1_sel:DWORD
	v_dot4c_i32_i8_e32 v8, v135, v3
	v_or_b32_sdwa v125, v128, v125 dst_sel:DWORD dst_unused:UNUSED_PAD src0_sel:WORD_0 src1_sel:DWORD
	v_dot4c_i32_i8_e32 v127, v133, v9
	s_waitcnt lgkmcnt(0)
	v_lshrrev_b16_e32 v7, 8, v6
	v_bfe_i32 v6, v6, 0, 8
	v_dot4c_i32_i8_e32 v8, v124, v4
	v_mul_lo_u32 v6, v127, v6
	v_dot4c_i32_i8_e32 v8, v125, v5
	v_bfe_i32 v2, v7, 0, 8
	s_add_i32 s2, s2, 1
	s_cmp_lt_u32 s21, 6
	v_mad_u64_u32 v[2:3], s[34:35], v8, v2, v[6:7]
	v_cvt_f32_i32_e32 v2, v2
	v_mul_f32_e32 v3, v122, v126
	v_fmac_f32_e32 v118, v3, v2
	s_cbranch_scc1 .LBB209_12
; %bb.13:                               ;   in Loop: Header=BB209_5 Depth=1
	s_or_b32 s2, s33, 0x80
	s_cmp_ge_i32 s2, s15
	s_barrier
	s_cbranch_scc1 .LBB209_4
; %bb.14:                               ;   in Loop: Header=BB209_5 Depth=1
	v_add_u32_e32 v2, s31, v87
	v_cmp_gt_i32_e64 s[2:3], s9, v2
	s_and_b64 s[20:21], s[0:1], s[2:3]
	s_and_saveexec_b64 s[2:3], s[20:21]
	s_cbranch_execz .LBB209_16
; %bb.15:                               ;   in Loop: Header=BB209_5 Depth=1
	v_add_u32_e32 v2, v84, v2
	v_mad_i64_i32 v[2:3], s[20:21], v2, 36, v[82:83]
	global_load_dword v2, v[2:3], off offset:4
	s_waitcnt vmcnt(0)
	ds_write_b32 v57, v2
.LBB209_16:                             ;   in Loop: Header=BB209_5 Depth=1
	s_or_b64 exec, exec, s[2:3]
	s_and_saveexec_b64 s[20:21], vcc
	s_cbranch_execz .LBB209_19
; %bb.17:                               ;   in Loop: Header=BB209_5 Depth=1
	v_or_b32_e32 v2, s31, v13
	v_or_b32_e32 v3, 4, v2
	v_cmp_gt_i32_e64 s[2:3], s9, v3
	s_and_b64 s[2:3], s[0:1], s[2:3]
	s_and_b64 exec, exec, s[2:3]
	s_cbranch_execz .LBB209_19
; %bb.18:                               ;   in Loop: Header=BB209_5 Depth=1
	v_ashrrev_i32_e32 v3, 31, v2
	v_add_co_u32_e64 v2, s[2:3], v84, v2
	v_addc_co_u32_e64 v4, s[2:3], v1, v3, s[2:3]
	v_mad_u64_u32 v[2:3], s[2:3], v2, 36, s[4:5]
	v_mad_i32_i24 v3, v4, 36, v3
	global_load_dword v2, v[2:3], off
	s_waitcnt vmcnt(0)
	v_cvt_f32_f16_e32 v2, v2
	ds_write_b32 v59, v2
.LBB209_19:                             ;   in Loop: Header=BB209_5 Depth=1
	s_or_b64 exec, exec, s[20:21]
	s_mov_b32 s2, 8
	s_mov_b32 s3, 0
	;; [unrolled: 1-line block ×3, first 2 shown]
	v_mov_b32_e32 v120, v94
	v_mov_b32_e32 v121, v95
	s_waitcnt lgkmcnt(0)
	s_barrier
.LBB209_20:                             ;   Parent Loop BB209_5 Depth=1
                                        ; =>  This Inner Loop Header: Depth=2
	s_add_i32 s21, s3, 8
	s_lshr_b32 s37, s21, 4
	s_and_b32 s36, s21, 0x3ffffff8
	s_lshl_b32 s35, s37, 3
	s_lshl_b32 s36, s36, 2
	v_add_lshl_u32 v129, v63, s35, 2
	v_add_u32_e32 v123, s36, v65
	v_add_u32_e32 v126, 0x4200, v129
	ds_read_b32 v122, v121
	ds_read_b128 v[6:9], v120
	ds_read_b128 v[2:5], v120 offset:16
	ds_read2_b32 v[124:125], v123 offset1:1
	ds_read2_b32 v[126:127], v126 offset1:1
	s_and_b32 s34, s2, -16
	s_lshl_b32 s37, s37, 2
	s_add_i32 s2, s2, 2
	s_waitcnt lgkmcnt(1)
	v_ashrrev_i32_e32 v124, s3, v124
	s_waitcnt lgkmcnt(0)
	v_ashrrev_i32_e32 v126, s20, v126
	v_lshlrev_b32_e32 v126, 2, v126
	v_and_b32_e32 v128, 0x3030303, v124
	v_bfe_u32 v124, v124, 24, 2
	v_and_b32_e32 v126, 0x4040404, v126
	v_sub_u16_e32 v130, v128, v126
	v_sub_u16_sdwa v131, v128, v126 dst_sel:BYTE_1 dst_unused:UNUSED_PAD src0_sel:BYTE_1 src1_sel:BYTE_1
	v_sub_u16_sdwa v124, v124, v126 dst_sel:BYTE_1 dst_unused:UNUSED_PAD src0_sel:DWORD src1_sel:BYTE_3
	v_sub_u16_sdwa v126, v128, v126 dst_sel:DWORD dst_unused:UNUSED_PAD src0_sel:WORD_1 src1_sel:WORD_1
	v_or_b32_sdwa v130, v130, v131 dst_sel:DWORD dst_unused:UNUSED_PAD src0_sel:BYTE_0 src1_sel:DWORD
	v_or_b32_sdwa v124, v126, v124 dst_sel:WORD_1 dst_unused:UNUSED_PAD src0_sel:BYTE_0 src1_sel:DWORD
	v_ashrrev_i32_e32 v126, s20, v127
	v_or_b32_sdwa v128, v130, v124 dst_sel:DWORD dst_unused:UNUSED_PAD src0_sel:WORD_0 src1_sel:DWORD
	v_ashrrev_i32_e32 v124, s3, v125
	v_lshlrev_b32_e32 v126, 2, v126
	v_and_b32_e32 v125, 0x3030303, v124
	v_bfe_u32 v124, v124, 24, 2
	v_and_b32_e32 v126, 0x4040404, v126
	v_sub_u16_e32 v127, v125, v126
	v_sub_u16_sdwa v130, v125, v126 dst_sel:BYTE_1 dst_unused:UNUSED_PAD src0_sel:BYTE_1 src1_sel:BYTE_1
	v_sub_u16_sdwa v124, v124, v126 dst_sel:BYTE_1 dst_unused:UNUSED_PAD src0_sel:DWORD src1_sel:BYTE_3
	v_sub_u16_sdwa v125, v125, v126 dst_sel:DWORD dst_unused:UNUSED_PAD src0_sel:WORD_1 src1_sel:WORD_1
	v_or_b32_sdwa v127, v127, v130 dst_sel:DWORD dst_unused:UNUSED_PAD src0_sel:BYTE_0 src1_sel:DWORD
	v_or_b32_sdwa v124, v125, v124 dst_sel:WORD_1 dst_unused:UNUSED_PAD src0_sel:BYTE_0 src1_sel:DWORD
	v_add_u32_e32 v126, 0x4208, v129
	v_or_b32_sdwa v130, v127, v124 dst_sel:DWORD dst_unused:UNUSED_PAD src0_sel:WORD_0 src1_sel:DWORD
	ds_read2_b32 v[124:125], v123 offset0:2 offset1:3
	ds_read2_b32 v[126:127], v126 offset1:1
	v_add_u32_e32 v121, 4, v121
	v_add_u32_e32 v120, 32, v120
	s_waitcnt lgkmcnt(1)
	v_ashrrev_i32_e32 v124, s3, v124
	s_waitcnt lgkmcnt(0)
	v_ashrrev_i32_e32 v126, s20, v126
	v_lshlrev_b32_e32 v126, 2, v126
	v_and_b32_e32 v131, 0x3030303, v124
	v_bfe_u32 v124, v124, 24, 2
	v_and_b32_e32 v126, 0x4040404, v126
	v_sub_u16_e32 v132, v131, v126
	v_sub_u16_sdwa v133, v131, v126 dst_sel:BYTE_1 dst_unused:UNUSED_PAD src0_sel:BYTE_1 src1_sel:BYTE_1
	v_sub_u16_sdwa v124, v124, v126 dst_sel:BYTE_1 dst_unused:UNUSED_PAD src0_sel:DWORD src1_sel:BYTE_3
	v_sub_u16_sdwa v126, v131, v126 dst_sel:DWORD dst_unused:UNUSED_PAD src0_sel:WORD_1 src1_sel:WORD_1
	v_or_b32_sdwa v132, v132, v133 dst_sel:DWORD dst_unused:UNUSED_PAD src0_sel:BYTE_0 src1_sel:DWORD
	v_or_b32_sdwa v124, v126, v124 dst_sel:WORD_1 dst_unused:UNUSED_PAD src0_sel:BYTE_0 src1_sel:DWORD
	v_ashrrev_i32_e32 v126, s20, v127
	v_or_b32_sdwa v131, v132, v124 dst_sel:DWORD dst_unused:UNUSED_PAD src0_sel:WORD_0 src1_sel:DWORD
	v_ashrrev_i32_e32 v124, s3, v125
	v_lshlrev_b32_e32 v126, 2, v126
	v_and_b32_e32 v125, 0x3030303, v124
	v_bfe_u32 v124, v124, 24, 2
	v_and_b32_e32 v126, 0x4040404, v126
	v_sub_u16_e32 v127, v125, v126
	v_sub_u16_sdwa v132, v125, v126 dst_sel:BYTE_1 dst_unused:UNUSED_PAD src0_sel:BYTE_1 src1_sel:BYTE_1
	v_sub_u16_sdwa v124, v124, v126 dst_sel:BYTE_1 dst_unused:UNUSED_PAD src0_sel:DWORD src1_sel:BYTE_3
	v_sub_u16_sdwa v125, v125, v126 dst_sel:DWORD dst_unused:UNUSED_PAD src0_sel:WORD_1 src1_sel:WORD_1
	v_or_b32_sdwa v127, v127, v132 dst_sel:DWORD dst_unused:UNUSED_PAD src0_sel:BYTE_0 src1_sel:DWORD
	v_or_b32_sdwa v124, v125, v124 dst_sel:WORD_1 dst_unused:UNUSED_PAD src0_sel:BYTE_0 src1_sel:DWORD
	v_add_u32_e32 v126, 0x4210, v129
	v_or_b32_sdwa v132, v127, v124 dst_sel:DWORD dst_unused:UNUSED_PAD src0_sel:WORD_0 src1_sel:DWORD
	ds_read2_b32 v[124:125], v123 offset0:4 offset1:5
	ds_read2_b32 v[126:127], v126 offset1:1
	s_waitcnt lgkmcnt(1)
	v_ashrrev_i32_e32 v124, s3, v124
	s_waitcnt lgkmcnt(0)
	v_ashrrev_i32_e32 v126, s20, v126
	v_lshlrev_b32_e32 v126, 2, v126
	v_and_b32_e32 v133, 0x3030303, v124
	v_bfe_u32 v124, v124, 24, 2
	v_and_b32_e32 v126, 0x4040404, v126
	v_sub_u16_e32 v134, v133, v126
	v_sub_u16_sdwa v135, v133, v126 dst_sel:BYTE_1 dst_unused:UNUSED_PAD src0_sel:BYTE_1 src1_sel:BYTE_1
	v_sub_u16_sdwa v124, v124, v126 dst_sel:BYTE_1 dst_unused:UNUSED_PAD src0_sel:DWORD src1_sel:BYTE_3
	v_sub_u16_sdwa v126, v133, v126 dst_sel:DWORD dst_unused:UNUSED_PAD src0_sel:WORD_1 src1_sel:WORD_1
	v_or_b32_sdwa v134, v134, v135 dst_sel:DWORD dst_unused:UNUSED_PAD src0_sel:BYTE_0 src1_sel:DWORD
	v_or_b32_sdwa v124, v126, v124 dst_sel:WORD_1 dst_unused:UNUSED_PAD src0_sel:BYTE_0 src1_sel:DWORD
	v_ashrrev_i32_e32 v126, s20, v127
	v_or_b32_sdwa v133, v134, v124 dst_sel:DWORD dst_unused:UNUSED_PAD src0_sel:WORD_0 src1_sel:DWORD
	v_ashrrev_i32_e32 v124, s3, v125
	v_lshlrev_b32_e32 v126, 2, v126
	v_and_b32_e32 v125, 0x3030303, v124
	v_bfe_u32 v124, v124, 24, 2
	v_and_b32_e32 v126, 0x4040404, v126
	v_sub_u16_e32 v127, v125, v126
	v_sub_u16_sdwa v134, v125, v126 dst_sel:BYTE_1 dst_unused:UNUSED_PAD src0_sel:BYTE_1 src1_sel:BYTE_1
	v_sub_u16_sdwa v124, v124, v126 dst_sel:BYTE_1 dst_unused:UNUSED_PAD src0_sel:DWORD src1_sel:BYTE_3
	v_sub_u16_sdwa v125, v125, v126 dst_sel:DWORD dst_unused:UNUSED_PAD src0_sel:WORD_1 src1_sel:WORD_1
	v_or_b32_sdwa v127, v127, v134 dst_sel:DWORD dst_unused:UNUSED_PAD src0_sel:BYTE_0 src1_sel:DWORD
	v_or_b32_sdwa v124, v125, v124 dst_sel:WORD_1 dst_unused:UNUSED_PAD src0_sel:BYTE_0 src1_sel:DWORD
	v_add_u32_e32 v126, 0x4218, v129
	v_or_b32_sdwa v134, v127, v124 dst_sel:DWORD dst_unused:UNUSED_PAD src0_sel:WORD_0 src1_sel:DWORD
	ds_read2_b32 v[124:125], v123 offset0:6 offset1:7
	ds_read2_b32 v[126:127], v126 offset1:1
	s_waitcnt lgkmcnt(1)
	v_ashrrev_i32_e32 v123, s3, v124
	s_waitcnt lgkmcnt(0)
	v_ashrrev_i32_e32 v126, s20, v126
	v_lshlrev_b32_e32 v126, 2, v126
	v_and_b32_e32 v124, 0x3030303, v123
	v_bfe_u32 v123, v123, 24, 2
	v_and_b32_e32 v126, 0x4040404, v126
	v_sub_u16_e32 v129, v124, v126
	v_sub_u16_sdwa v135, v124, v126 dst_sel:BYTE_1 dst_unused:UNUSED_PAD src0_sel:BYTE_1 src1_sel:BYTE_1
	v_sub_u16_sdwa v123, v123, v126 dst_sel:BYTE_1 dst_unused:UNUSED_PAD src0_sel:DWORD src1_sel:BYTE_3
	v_sub_u16_sdwa v124, v124, v126 dst_sel:DWORD dst_unused:UNUSED_PAD src0_sel:WORD_1 src1_sel:WORD_1
	v_or_b32_sdwa v129, v129, v135 dst_sel:DWORD dst_unused:UNUSED_PAD src0_sel:BYTE_0 src1_sel:DWORD
	v_or_b32_sdwa v123, v124, v123 dst_sel:WORD_1 dst_unused:UNUSED_PAD src0_sel:BYTE_0 src1_sel:DWORD
	v_or_b32_sdwa v126, v129, v123 dst_sel:DWORD dst_unused:UNUSED_PAD src0_sel:WORD_0 src1_sel:DWORD
	v_ashrrev_i32_e32 v123, s3, v125
	v_ashrrev_i32_e32 v125, s20, v127
	v_lshlrev_b32_e32 v125, 2, v125
	v_and_b32_e32 v124, 0x3030303, v123
	v_bfe_u32 v123, v123, 24, 2
	v_and_b32_e32 v125, 0x4040404, v125
	v_sub_u16_e32 v127, v124, v125
	v_sub_u16_sdwa v129, v124, v125 dst_sel:BYTE_1 dst_unused:UNUSED_PAD src0_sel:BYTE_1 src1_sel:BYTE_1
	v_sub_u16_sdwa v123, v123, v125 dst_sel:BYTE_1 dst_unused:UNUSED_PAD src0_sel:DWORD src1_sel:BYTE_3
	v_sub_u16_sdwa v124, v124, v125 dst_sel:DWORD dst_unused:UNUSED_PAD src0_sel:WORD_1 src1_sel:WORD_1
	v_or_b32_sdwa v127, v127, v129 dst_sel:DWORD dst_unused:UNUSED_PAD src0_sel:BYTE_0 src1_sel:DWORD
	v_or_b32_sdwa v123, v124, v123 dst_sel:WORD_1 dst_unused:UNUSED_PAD src0_sel:BYTE_0 src1_sel:DWORD
	v_or_b32_sdwa v125, v127, v123 dst_sel:DWORD dst_unused:UNUSED_PAD src0_sel:WORD_0 src1_sel:DWORD
	v_add_u32_e32 v123, s3, v61
	v_add3_u32 v124, v99, s34, v123
	v_add_u32_e32 v127, s37, v67
	ds_read_b32 v127, v127
	ds_read_u16 v124, v124
	v_mov_b32_e32 v129, 0
	v_dot4c_i32_i8_e32 v129, v128, v6
	v_dot4c_i32_i8_e32 v129, v130, v7
	;; [unrolled: 1-line block ×4, first 2 shown]
	s_waitcnt lgkmcnt(0)
	v_lshrrev_b16_e32 v128, 8, v124
	v_bfe_i32 v124, v124, 0, 8
	v_add_lshl_u32 v130, v69, s35, 2
	v_mul_lo_u32 v124, v129, v124
	v_mov_b32_e32 v129, 0
	v_dot4c_i32_i8_e32 v129, v133, v2
	v_dot4c_i32_i8_e32 v129, v134, v3
	;; [unrolled: 1-line block ×4, first 2 shown]
	v_bfe_i32 v125, v128, 0, 8
	v_add_u32_e32 v128, s36, v71
	v_add_u32_e32 v126, 0x4200, v130
	v_mad_u64_u32 v[124:125], s[38:39], v129, v125, v[124:125]
	v_cvt_f32_i32_e32 v124, v124
	v_mul_f32_e32 v125, v122, v127
	ds_read2_b32 v[126:127], v126 offset1:1
	v_fmac_f32_e32 v15, v125, v124
	ds_read2_b32 v[124:125], v128 offset1:1
	s_waitcnt lgkmcnt(1)
	v_ashrrev_i32_e32 v126, s20, v126
	v_lshlrev_b32_e32 v126, 2, v126
	v_and_b32_e32 v126, 0x4040404, v126
	s_waitcnt lgkmcnt(0)
	v_ashrrev_i32_e32 v124, s3, v124
	v_and_b32_e32 v129, 0x3030303, v124
	v_bfe_u32 v124, v124, 24, 2
	v_sub_u16_e32 v131, v129, v126
	v_sub_u16_sdwa v132, v129, v126 dst_sel:BYTE_1 dst_unused:UNUSED_PAD src0_sel:BYTE_1 src1_sel:BYTE_1
	v_sub_u16_sdwa v124, v124, v126 dst_sel:BYTE_1 dst_unused:UNUSED_PAD src0_sel:DWORD src1_sel:BYTE_3
	v_sub_u16_sdwa v126, v129, v126 dst_sel:DWORD dst_unused:UNUSED_PAD src0_sel:WORD_1 src1_sel:WORD_1
	v_or_b32_sdwa v131, v131, v132 dst_sel:DWORD dst_unused:UNUSED_PAD src0_sel:BYTE_0 src1_sel:DWORD
	v_or_b32_sdwa v124, v126, v124 dst_sel:WORD_1 dst_unused:UNUSED_PAD src0_sel:BYTE_0 src1_sel:DWORD
	v_ashrrev_i32_e32 v126, s20, v127
	v_or_b32_sdwa v129, v131, v124 dst_sel:DWORD dst_unused:UNUSED_PAD src0_sel:WORD_0 src1_sel:DWORD
	v_ashrrev_i32_e32 v124, s3, v125
	v_lshlrev_b32_e32 v126, 2, v126
	v_and_b32_e32 v125, 0x3030303, v124
	v_bfe_u32 v124, v124, 24, 2
	v_and_b32_e32 v126, 0x4040404, v126
	v_sub_u16_e32 v127, v125, v126
	v_sub_u16_sdwa v131, v125, v126 dst_sel:BYTE_1 dst_unused:UNUSED_PAD src0_sel:BYTE_1 src1_sel:BYTE_1
	v_sub_u16_sdwa v124, v124, v126 dst_sel:BYTE_1 dst_unused:UNUSED_PAD src0_sel:DWORD src1_sel:BYTE_3
	v_sub_u16_sdwa v125, v125, v126 dst_sel:DWORD dst_unused:UNUSED_PAD src0_sel:WORD_1 src1_sel:WORD_1
	v_or_b32_sdwa v127, v127, v131 dst_sel:DWORD dst_unused:UNUSED_PAD src0_sel:BYTE_0 src1_sel:DWORD
	v_or_b32_sdwa v124, v125, v124 dst_sel:WORD_1 dst_unused:UNUSED_PAD src0_sel:BYTE_0 src1_sel:DWORD
	v_add_u32_e32 v126, 0x4208, v130
	v_or_b32_sdwa v131, v127, v124 dst_sel:DWORD dst_unused:UNUSED_PAD src0_sel:WORD_0 src1_sel:DWORD
	ds_read2_b32 v[124:125], v128 offset0:2 offset1:3
	ds_read2_b32 v[126:127], v126 offset1:1
	s_waitcnt lgkmcnt(1)
	v_ashrrev_i32_e32 v124, s3, v124
	s_waitcnt lgkmcnt(0)
	v_ashrrev_i32_e32 v126, s20, v126
	v_lshlrev_b32_e32 v126, 2, v126
	v_and_b32_e32 v132, 0x3030303, v124
	v_bfe_u32 v124, v124, 24, 2
	v_and_b32_e32 v126, 0x4040404, v126
	v_sub_u16_e32 v133, v132, v126
	v_sub_u16_sdwa v134, v132, v126 dst_sel:BYTE_1 dst_unused:UNUSED_PAD src0_sel:BYTE_1 src1_sel:BYTE_1
	v_sub_u16_sdwa v124, v124, v126 dst_sel:BYTE_1 dst_unused:UNUSED_PAD src0_sel:DWORD src1_sel:BYTE_3
	v_sub_u16_sdwa v126, v132, v126 dst_sel:DWORD dst_unused:UNUSED_PAD src0_sel:WORD_1 src1_sel:WORD_1
	v_or_b32_sdwa v133, v133, v134 dst_sel:DWORD dst_unused:UNUSED_PAD src0_sel:BYTE_0 src1_sel:DWORD
	v_or_b32_sdwa v124, v126, v124 dst_sel:WORD_1 dst_unused:UNUSED_PAD src0_sel:BYTE_0 src1_sel:DWORD
	v_ashrrev_i32_e32 v126, s20, v127
	v_or_b32_sdwa v132, v133, v124 dst_sel:DWORD dst_unused:UNUSED_PAD src0_sel:WORD_0 src1_sel:DWORD
	v_ashrrev_i32_e32 v124, s3, v125
	v_lshlrev_b32_e32 v126, 2, v126
	v_and_b32_e32 v125, 0x3030303, v124
	v_bfe_u32 v124, v124, 24, 2
	v_and_b32_e32 v126, 0x4040404, v126
	v_sub_u16_e32 v127, v125, v126
	v_sub_u16_sdwa v133, v125, v126 dst_sel:BYTE_1 dst_unused:UNUSED_PAD src0_sel:BYTE_1 src1_sel:BYTE_1
	v_sub_u16_sdwa v124, v124, v126 dst_sel:BYTE_1 dst_unused:UNUSED_PAD src0_sel:DWORD src1_sel:BYTE_3
	v_sub_u16_sdwa v125, v125, v126 dst_sel:DWORD dst_unused:UNUSED_PAD src0_sel:WORD_1 src1_sel:WORD_1
	v_or_b32_sdwa v127, v127, v133 dst_sel:DWORD dst_unused:UNUSED_PAD src0_sel:BYTE_0 src1_sel:DWORD
	v_or_b32_sdwa v124, v125, v124 dst_sel:WORD_1 dst_unused:UNUSED_PAD src0_sel:BYTE_0 src1_sel:DWORD
	v_add_u32_e32 v126, 0x4210, v130
	v_or_b32_sdwa v133, v127, v124 dst_sel:DWORD dst_unused:UNUSED_PAD src0_sel:WORD_0 src1_sel:DWORD
	ds_read2_b32 v[124:125], v128 offset0:4 offset1:5
	ds_read2_b32 v[126:127], v126 offset1:1
	s_waitcnt lgkmcnt(1)
	v_ashrrev_i32_e32 v124, s3, v124
	s_waitcnt lgkmcnt(0)
	v_ashrrev_i32_e32 v126, s20, v126
	v_lshlrev_b32_e32 v126, 2, v126
	v_and_b32_e32 v134, 0x3030303, v124
	v_bfe_u32 v124, v124, 24, 2
	v_and_b32_e32 v126, 0x4040404, v126
	;; [unrolled: 31-line block ×3, first 2 shown]
	v_sub_u16_e32 v130, v128, v126
	v_sub_u16_sdwa v136, v128, v126 dst_sel:BYTE_1 dst_unused:UNUSED_PAD src0_sel:BYTE_1 src1_sel:BYTE_1
	v_sub_u16_sdwa v124, v124, v126 dst_sel:BYTE_1 dst_unused:UNUSED_PAD src0_sel:DWORD src1_sel:BYTE_3
	v_sub_u16_sdwa v126, v128, v126 dst_sel:DWORD dst_unused:UNUSED_PAD src0_sel:WORD_1 src1_sel:WORD_1
	v_or_b32_sdwa v130, v130, v136 dst_sel:DWORD dst_unused:UNUSED_PAD src0_sel:BYTE_0 src1_sel:DWORD
	v_or_b32_sdwa v124, v126, v124 dst_sel:WORD_1 dst_unused:UNUSED_PAD src0_sel:BYTE_0 src1_sel:DWORD
	v_ashrrev_i32_e32 v127, s20, v127
	v_or_b32_sdwa v126, v130, v124 dst_sel:DWORD dst_unused:UNUSED_PAD src0_sel:WORD_0 src1_sel:DWORD
	v_ashrrev_i32_e32 v124, s3, v125
	v_lshlrev_b32_e32 v127, 2, v127
	v_and_b32_e32 v125, 0x3030303, v124
	v_bfe_u32 v124, v124, 24, 2
	v_and_b32_e32 v127, 0x4040404, v127
	v_sub_u16_e32 v128, v125, v127
	v_sub_u16_sdwa v130, v125, v127 dst_sel:BYTE_1 dst_unused:UNUSED_PAD src0_sel:BYTE_1 src1_sel:BYTE_1
	v_sub_u16_sdwa v124, v124, v127 dst_sel:BYTE_1 dst_unused:UNUSED_PAD src0_sel:DWORD src1_sel:BYTE_3
	v_sub_u16_sdwa v125, v125, v127 dst_sel:DWORD dst_unused:UNUSED_PAD src0_sel:WORD_1 src1_sel:WORD_1
	v_or_b32_sdwa v128, v128, v130 dst_sel:DWORD dst_unused:UNUSED_PAD src0_sel:BYTE_0 src1_sel:DWORD
	v_or_b32_sdwa v124, v125, v124 dst_sel:WORD_1 dst_unused:UNUSED_PAD src0_sel:BYTE_0 src1_sel:DWORD
	v_or_b32_sdwa v125, v128, v124 dst_sel:DWORD dst_unused:UNUSED_PAD src0_sel:WORD_0 src1_sel:DWORD
	v_add3_u32 v124, v98, s34, v123
	v_add_u32_e32 v127, s37, v73
	ds_read_b32 v127, v127
	ds_read_u16 v124, v124
	v_mov_b32_e32 v128, 0
	v_dot4c_i32_i8_e32 v128, v129, v6
	v_dot4c_i32_i8_e32 v128, v131, v7
	v_dot4c_i32_i8_e32 v128, v132, v8
	v_dot4c_i32_i8_e32 v128, v133, v9
	s_waitcnt lgkmcnt(0)
	v_lshrrev_b16_e32 v129, 8, v124
	v_bfe_i32 v124, v124, 0, 8
	v_add_lshl_u32 v130, v75, s35, 2
	v_mul_lo_u32 v124, v128, v124
	v_mov_b32_e32 v128, 0
	v_dot4c_i32_i8_e32 v128, v134, v2
	v_dot4c_i32_i8_e32 v128, v135, v3
	;; [unrolled: 1-line block ×4, first 2 shown]
	v_bfe_i32 v125, v129, 0, 8
	v_add_u32_e32 v126, 0x4200, v130
	s_nop 0
	v_mad_u64_u32 v[124:125], s[38:39], v128, v125, v[124:125]
	v_cvt_f32_i32_e32 v124, v124
	v_mul_f32_e32 v125, v122, v127
	v_add_u32_e32 v128, s36, v77
	ds_read2_b32 v[126:127], v126 offset1:1
	v_fmac_f32_e32 v116, v125, v124
	ds_read2_b32 v[124:125], v128 offset1:1
	s_waitcnt lgkmcnt(1)
	v_ashrrev_i32_e32 v126, s20, v126
	v_lshlrev_b32_e32 v126, 2, v126
	s_waitcnt lgkmcnt(0)
	v_ashrrev_i32_e32 v124, s3, v124
	v_and_b32_e32 v129, 0x3030303, v124
	v_bfe_u32 v124, v124, 24, 2
	v_and_b32_e32 v126, 0x4040404, v126
	v_sub_u16_e32 v131, v129, v126
	v_sub_u16_sdwa v132, v129, v126 dst_sel:BYTE_1 dst_unused:UNUSED_PAD src0_sel:BYTE_1 src1_sel:BYTE_1
	v_sub_u16_sdwa v124, v124, v126 dst_sel:BYTE_1 dst_unused:UNUSED_PAD src0_sel:DWORD src1_sel:BYTE_3
	v_sub_u16_sdwa v126, v129, v126 dst_sel:DWORD dst_unused:UNUSED_PAD src0_sel:WORD_1 src1_sel:WORD_1
	v_or_b32_sdwa v131, v131, v132 dst_sel:DWORD dst_unused:UNUSED_PAD src0_sel:BYTE_0 src1_sel:DWORD
	v_or_b32_sdwa v124, v126, v124 dst_sel:WORD_1 dst_unused:UNUSED_PAD src0_sel:BYTE_0 src1_sel:DWORD
	v_ashrrev_i32_e32 v126, s20, v127
	v_or_b32_sdwa v129, v131, v124 dst_sel:DWORD dst_unused:UNUSED_PAD src0_sel:WORD_0 src1_sel:DWORD
	v_ashrrev_i32_e32 v124, s3, v125
	v_lshlrev_b32_e32 v126, 2, v126
	v_and_b32_e32 v125, 0x3030303, v124
	v_bfe_u32 v124, v124, 24, 2
	v_and_b32_e32 v126, 0x4040404, v126
	v_sub_u16_e32 v127, v125, v126
	v_sub_u16_sdwa v131, v125, v126 dst_sel:BYTE_1 dst_unused:UNUSED_PAD src0_sel:BYTE_1 src1_sel:BYTE_1
	v_sub_u16_sdwa v124, v124, v126 dst_sel:BYTE_1 dst_unused:UNUSED_PAD src0_sel:DWORD src1_sel:BYTE_3
	v_sub_u16_sdwa v125, v125, v126 dst_sel:DWORD dst_unused:UNUSED_PAD src0_sel:WORD_1 src1_sel:WORD_1
	v_or_b32_sdwa v127, v127, v131 dst_sel:DWORD dst_unused:UNUSED_PAD src0_sel:BYTE_0 src1_sel:DWORD
	v_or_b32_sdwa v124, v125, v124 dst_sel:WORD_1 dst_unused:UNUSED_PAD src0_sel:BYTE_0 src1_sel:DWORD
	v_add_u32_e32 v126, 0x4208, v130
	v_or_b32_sdwa v131, v127, v124 dst_sel:DWORD dst_unused:UNUSED_PAD src0_sel:WORD_0 src1_sel:DWORD
	ds_read2_b32 v[124:125], v128 offset0:2 offset1:3
	ds_read2_b32 v[126:127], v126 offset1:1
	s_waitcnt lgkmcnt(1)
	v_ashrrev_i32_e32 v124, s3, v124
	s_waitcnt lgkmcnt(0)
	v_ashrrev_i32_e32 v126, s20, v126
	v_lshlrev_b32_e32 v126, 2, v126
	v_and_b32_e32 v132, 0x3030303, v124
	v_bfe_u32 v124, v124, 24, 2
	v_and_b32_e32 v126, 0x4040404, v126
	v_sub_u16_e32 v133, v132, v126
	v_sub_u16_sdwa v134, v132, v126 dst_sel:BYTE_1 dst_unused:UNUSED_PAD src0_sel:BYTE_1 src1_sel:BYTE_1
	v_sub_u16_sdwa v124, v124, v126 dst_sel:BYTE_1 dst_unused:UNUSED_PAD src0_sel:DWORD src1_sel:BYTE_3
	v_sub_u16_sdwa v126, v132, v126 dst_sel:DWORD dst_unused:UNUSED_PAD src0_sel:WORD_1 src1_sel:WORD_1
	v_or_b32_sdwa v133, v133, v134 dst_sel:DWORD dst_unused:UNUSED_PAD src0_sel:BYTE_0 src1_sel:DWORD
	v_or_b32_sdwa v124, v126, v124 dst_sel:WORD_1 dst_unused:UNUSED_PAD src0_sel:BYTE_0 src1_sel:DWORD
	v_ashrrev_i32_e32 v126, s20, v127
	v_or_b32_sdwa v132, v133, v124 dst_sel:DWORD dst_unused:UNUSED_PAD src0_sel:WORD_0 src1_sel:DWORD
	v_ashrrev_i32_e32 v124, s3, v125
	v_lshlrev_b32_e32 v126, 2, v126
	v_and_b32_e32 v125, 0x3030303, v124
	v_bfe_u32 v124, v124, 24, 2
	v_and_b32_e32 v126, 0x4040404, v126
	v_sub_u16_e32 v127, v125, v126
	v_sub_u16_sdwa v133, v125, v126 dst_sel:BYTE_1 dst_unused:UNUSED_PAD src0_sel:BYTE_1 src1_sel:BYTE_1
	v_sub_u16_sdwa v124, v124, v126 dst_sel:BYTE_1 dst_unused:UNUSED_PAD src0_sel:DWORD src1_sel:BYTE_3
	v_sub_u16_sdwa v125, v125, v126 dst_sel:DWORD dst_unused:UNUSED_PAD src0_sel:WORD_1 src1_sel:WORD_1
	v_or_b32_sdwa v127, v127, v133 dst_sel:DWORD dst_unused:UNUSED_PAD src0_sel:BYTE_0 src1_sel:DWORD
	v_or_b32_sdwa v124, v125, v124 dst_sel:WORD_1 dst_unused:UNUSED_PAD src0_sel:BYTE_0 src1_sel:DWORD
	v_add_u32_e32 v126, 0x4210, v130
	v_or_b32_sdwa v133, v127, v124 dst_sel:DWORD dst_unused:UNUSED_PAD src0_sel:WORD_0 src1_sel:DWORD
	ds_read2_b32 v[124:125], v128 offset0:4 offset1:5
	ds_read2_b32 v[126:127], v126 offset1:1
	s_waitcnt lgkmcnt(1)
	v_ashrrev_i32_e32 v124, s3, v124
	s_waitcnt lgkmcnt(0)
	v_ashrrev_i32_e32 v126, s20, v126
	v_lshlrev_b32_e32 v126, 2, v126
	;; [unrolled: 31-line block ×3, first 2 shown]
	v_and_b32_e32 v128, 0x3030303, v124
	v_bfe_u32 v124, v124, 24, 2
	v_and_b32_e32 v126, 0x4040404, v126
	v_sub_u16_e32 v130, v128, v126
	v_sub_u16_sdwa v136, v128, v126 dst_sel:BYTE_1 dst_unused:UNUSED_PAD src0_sel:BYTE_1 src1_sel:BYTE_1
	v_sub_u16_sdwa v124, v124, v126 dst_sel:BYTE_1 dst_unused:UNUSED_PAD src0_sel:DWORD src1_sel:BYTE_3
	v_sub_u16_sdwa v126, v128, v126 dst_sel:DWORD dst_unused:UNUSED_PAD src0_sel:WORD_1 src1_sel:WORD_1
	v_or_b32_sdwa v130, v130, v136 dst_sel:DWORD dst_unused:UNUSED_PAD src0_sel:BYTE_0 src1_sel:DWORD
	v_or_b32_sdwa v124, v126, v124 dst_sel:WORD_1 dst_unused:UNUSED_PAD src0_sel:BYTE_0 src1_sel:DWORD
	v_ashrrev_i32_e32 v127, s20, v127
	v_or_b32_sdwa v126, v130, v124 dst_sel:DWORD dst_unused:UNUSED_PAD src0_sel:WORD_0 src1_sel:DWORD
	v_ashrrev_i32_e32 v124, s3, v125
	v_lshlrev_b32_e32 v127, 2, v127
	v_and_b32_e32 v125, 0x3030303, v124
	v_bfe_u32 v124, v124, 24, 2
	v_and_b32_e32 v127, 0x4040404, v127
	v_sub_u16_e32 v128, v125, v127
	v_sub_u16_sdwa v130, v125, v127 dst_sel:BYTE_1 dst_unused:UNUSED_PAD src0_sel:BYTE_1 src1_sel:BYTE_1
	v_sub_u16_sdwa v124, v124, v127 dst_sel:BYTE_1 dst_unused:UNUSED_PAD src0_sel:DWORD src1_sel:BYTE_3
	v_sub_u16_sdwa v125, v125, v127 dst_sel:DWORD dst_unused:UNUSED_PAD src0_sel:WORD_1 src1_sel:WORD_1
	v_or_b32_sdwa v128, v128, v130 dst_sel:DWORD dst_unused:UNUSED_PAD src0_sel:BYTE_0 src1_sel:DWORD
	v_or_b32_sdwa v124, v125, v124 dst_sel:WORD_1 dst_unused:UNUSED_PAD src0_sel:BYTE_0 src1_sel:DWORD
	v_or_b32_sdwa v125, v128, v124 dst_sel:DWORD dst_unused:UNUSED_PAD src0_sel:WORD_0 src1_sel:DWORD
	v_add3_u32 v124, v97, s34, v123
	v_add_u32_e32 v127, s37, v79
	ds_read_b32 v127, v127
	ds_read_u16 v124, v124
	v_mov_b32_e32 v128, 0
	v_dot4c_i32_i8_e32 v128, v129, v6
	v_dot4c_i32_i8_e32 v128, v131, v7
	;; [unrolled: 1-line block ×4, first 2 shown]
	s_waitcnt lgkmcnt(0)
	v_lshrrev_b16_e32 v129, 8, v124
	v_bfe_i32 v124, v124, 0, 8
	v_add_lshl_u32 v130, v81, s35, 2
	v_mul_lo_u32 v124, v128, v124
	v_mov_b32_e32 v128, 0
	v_dot4c_i32_i8_e32 v128, v134, v2
	v_dot4c_i32_i8_e32 v128, v135, v3
	;; [unrolled: 1-line block ×4, first 2 shown]
	v_bfe_i32 v125, v129, 0, 8
	v_add_u32_e32 v126, 0x4200, v130
	v_add3_u32 v123, v96, s34, v123
	v_mad_u64_u32 v[124:125], s[38:39], v128, v125, v[124:125]
	v_cvt_f32_i32_e32 v124, v124
	v_mul_f32_e32 v125, v122, v127
	v_add_u32_e32 v128, s36, v85
	ds_read2_b32 v[126:127], v126 offset1:1
	v_fmac_f32_e32 v117, v125, v124
	ds_read2_b32 v[124:125], v128 offset1:1
	s_waitcnt lgkmcnt(1)
	v_ashrrev_i32_e32 v126, s20, v126
	v_lshlrev_b32_e32 v126, 2, v126
	s_waitcnt lgkmcnt(0)
	v_ashrrev_i32_e32 v124, s3, v124
	v_and_b32_e32 v129, 0x3030303, v124
	v_bfe_u32 v124, v124, 24, 2
	v_and_b32_e32 v126, 0x4040404, v126
	v_sub_u16_e32 v131, v129, v126
	v_sub_u16_sdwa v132, v129, v126 dst_sel:BYTE_1 dst_unused:UNUSED_PAD src0_sel:BYTE_1 src1_sel:BYTE_1
	v_sub_u16_sdwa v124, v124, v126 dst_sel:BYTE_1 dst_unused:UNUSED_PAD src0_sel:DWORD src1_sel:BYTE_3
	v_sub_u16_sdwa v126, v129, v126 dst_sel:DWORD dst_unused:UNUSED_PAD src0_sel:WORD_1 src1_sel:WORD_1
	v_or_b32_sdwa v131, v131, v132 dst_sel:DWORD dst_unused:UNUSED_PAD src0_sel:BYTE_0 src1_sel:DWORD
	v_or_b32_sdwa v124, v126, v124 dst_sel:WORD_1 dst_unused:UNUSED_PAD src0_sel:BYTE_0 src1_sel:DWORD
	v_ashrrev_i32_e32 v126, s20, v127
	v_or_b32_sdwa v129, v131, v124 dst_sel:DWORD dst_unused:UNUSED_PAD src0_sel:WORD_0 src1_sel:DWORD
	v_ashrrev_i32_e32 v124, s3, v125
	v_lshlrev_b32_e32 v126, 2, v126
	v_and_b32_e32 v125, 0x3030303, v124
	v_bfe_u32 v124, v124, 24, 2
	v_and_b32_e32 v126, 0x4040404, v126
	v_sub_u16_e32 v127, v125, v126
	v_sub_u16_sdwa v131, v125, v126 dst_sel:BYTE_1 dst_unused:UNUSED_PAD src0_sel:BYTE_1 src1_sel:BYTE_1
	v_sub_u16_sdwa v124, v124, v126 dst_sel:BYTE_1 dst_unused:UNUSED_PAD src0_sel:DWORD src1_sel:BYTE_3
	v_sub_u16_sdwa v125, v125, v126 dst_sel:DWORD dst_unused:UNUSED_PAD src0_sel:WORD_1 src1_sel:WORD_1
	v_or_b32_sdwa v127, v127, v131 dst_sel:DWORD dst_unused:UNUSED_PAD src0_sel:BYTE_0 src1_sel:DWORD
	v_or_b32_sdwa v124, v125, v124 dst_sel:WORD_1 dst_unused:UNUSED_PAD src0_sel:BYTE_0 src1_sel:DWORD
	v_add_u32_e32 v126, 0x4208, v130
	v_or_b32_sdwa v131, v127, v124 dst_sel:DWORD dst_unused:UNUSED_PAD src0_sel:WORD_0 src1_sel:DWORD
	ds_read2_b32 v[124:125], v128 offset0:2 offset1:3
	ds_read2_b32 v[126:127], v126 offset1:1
	s_waitcnt lgkmcnt(1)
	v_ashrrev_i32_e32 v124, s3, v124
	s_waitcnt lgkmcnt(0)
	v_ashrrev_i32_e32 v126, s20, v126
	v_lshlrev_b32_e32 v126, 2, v126
	v_and_b32_e32 v132, 0x3030303, v124
	v_bfe_u32 v124, v124, 24, 2
	v_and_b32_e32 v126, 0x4040404, v126
	v_sub_u16_e32 v133, v132, v126
	v_sub_u16_sdwa v134, v132, v126 dst_sel:BYTE_1 dst_unused:UNUSED_PAD src0_sel:BYTE_1 src1_sel:BYTE_1
	v_sub_u16_sdwa v124, v124, v126 dst_sel:BYTE_1 dst_unused:UNUSED_PAD src0_sel:DWORD src1_sel:BYTE_3
	v_sub_u16_sdwa v126, v132, v126 dst_sel:DWORD dst_unused:UNUSED_PAD src0_sel:WORD_1 src1_sel:WORD_1
	v_or_b32_sdwa v133, v133, v134 dst_sel:DWORD dst_unused:UNUSED_PAD src0_sel:BYTE_0 src1_sel:DWORD
	v_or_b32_sdwa v124, v126, v124 dst_sel:WORD_1 dst_unused:UNUSED_PAD src0_sel:BYTE_0 src1_sel:DWORD
	v_ashrrev_i32_e32 v126, s20, v127
	v_or_b32_sdwa v132, v133, v124 dst_sel:DWORD dst_unused:UNUSED_PAD src0_sel:WORD_0 src1_sel:DWORD
	v_ashrrev_i32_e32 v124, s3, v125
	v_lshlrev_b32_e32 v126, 2, v126
	v_and_b32_e32 v125, 0x3030303, v124
	v_bfe_u32 v124, v124, 24, 2
	v_and_b32_e32 v126, 0x4040404, v126
	v_sub_u16_e32 v127, v125, v126
	v_sub_u16_sdwa v133, v125, v126 dst_sel:BYTE_1 dst_unused:UNUSED_PAD src0_sel:BYTE_1 src1_sel:BYTE_1
	v_sub_u16_sdwa v124, v124, v126 dst_sel:BYTE_1 dst_unused:UNUSED_PAD src0_sel:DWORD src1_sel:BYTE_3
	v_sub_u16_sdwa v125, v125, v126 dst_sel:DWORD dst_unused:UNUSED_PAD src0_sel:WORD_1 src1_sel:WORD_1
	v_or_b32_sdwa v127, v127, v133 dst_sel:DWORD dst_unused:UNUSED_PAD src0_sel:BYTE_0 src1_sel:DWORD
	v_or_b32_sdwa v124, v125, v124 dst_sel:WORD_1 dst_unused:UNUSED_PAD src0_sel:BYTE_0 src1_sel:DWORD
	v_add_u32_e32 v126, 0x4210, v130
	v_or_b32_sdwa v133, v127, v124 dst_sel:DWORD dst_unused:UNUSED_PAD src0_sel:WORD_0 src1_sel:DWORD
	ds_read2_b32 v[124:125], v128 offset0:4 offset1:5
	ds_read2_b32 v[126:127], v126 offset1:1
	s_waitcnt lgkmcnt(1)
	v_ashrrev_i32_e32 v124, s3, v124
	s_waitcnt lgkmcnt(0)
	v_ashrrev_i32_e32 v126, s20, v126
	v_lshlrev_b32_e32 v126, 2, v126
	;; [unrolled: 31-line block ×3, first 2 shown]
	v_and_b32_e32 v128, 0x3030303, v124
	v_bfe_u32 v124, v124, 24, 2
	v_and_b32_e32 v126, 0x4040404, v126
	v_ashrrev_i32_e32 v127, s20, v127
	v_sub_u16_e32 v130, v128, v126
	v_sub_u16_sdwa v136, v128, v126 dst_sel:BYTE_1 dst_unused:UNUSED_PAD src0_sel:BYTE_1 src1_sel:BYTE_1
	v_sub_u16_sdwa v124, v124, v126 dst_sel:BYTE_1 dst_unused:UNUSED_PAD src0_sel:DWORD src1_sel:BYTE_3
	v_sub_u16_sdwa v126, v128, v126 dst_sel:DWORD dst_unused:UNUSED_PAD src0_sel:WORD_1 src1_sel:WORD_1
	v_ashrrev_i32_e32 v125, s3, v125
	v_lshlrev_b32_e32 v127, 2, v127
	v_or_b32_sdwa v130, v130, v136 dst_sel:DWORD dst_unused:UNUSED_PAD src0_sel:BYTE_0 src1_sel:DWORD
	v_or_b32_sdwa v124, v126, v124 dst_sel:WORD_1 dst_unused:UNUSED_PAD src0_sel:BYTE_0 src1_sel:DWORD
	v_and_b32_e32 v126, 0x3030303, v125
	v_bfe_u32 v125, v125, 24, 2
	v_and_b32_e32 v127, 0x4040404, v127
	v_or_b32_sdwa v124, v130, v124 dst_sel:DWORD dst_unused:UNUSED_PAD src0_sel:WORD_0 src1_sel:DWORD
	v_sub_u16_e32 v128, v126, v127
	v_sub_u16_sdwa v130, v126, v127 dst_sel:BYTE_1 dst_unused:UNUSED_PAD src0_sel:BYTE_1 src1_sel:BYTE_1
	v_sub_u16_sdwa v125, v125, v127 dst_sel:BYTE_1 dst_unused:UNUSED_PAD src0_sel:DWORD src1_sel:BYTE_3
	v_sub_u16_sdwa v126, v126, v127 dst_sel:DWORD dst_unused:UNUSED_PAD src0_sel:WORD_1 src1_sel:WORD_1
	v_or_b32_sdwa v125, v126, v125 dst_sel:WORD_1 dst_unused:UNUSED_PAD src0_sel:BYTE_0 src1_sel:DWORD
	v_add_u32_e32 v126, s37, v86
	v_mov_b32_e32 v127, 0
	ds_read_b32 v126, v126
	v_dot4c_i32_i8_e32 v127, v129, v6
	ds_read_u16 v6, v123
	v_dot4c_i32_i8_e32 v127, v131, v7
	v_dot4c_i32_i8_e32 v127, v132, v8
	v_mov_b32_e32 v8, 0
	v_dot4c_i32_i8_e32 v8, v134, v2
	v_or_b32_sdwa v128, v128, v130 dst_sel:DWORD dst_unused:UNUSED_PAD src0_sel:BYTE_0 src1_sel:DWORD
	v_dot4c_i32_i8_e32 v8, v135, v3
	v_or_b32_sdwa v125, v128, v125 dst_sel:DWORD dst_unused:UNUSED_PAD src0_sel:WORD_0 src1_sel:DWORD
	v_dot4c_i32_i8_e32 v127, v133, v9
	s_waitcnt lgkmcnt(0)
	v_lshrrev_b16_e32 v7, 8, v6
	v_bfe_i32 v6, v6, 0, 8
	v_dot4c_i32_i8_e32 v8, v124, v4
	v_mul_lo_u32 v6, v127, v6
	v_dot4c_i32_i8_e32 v8, v125, v5
	v_bfe_i32 v2, v7, 0, 8
	s_add_i32 s3, s3, 2
	s_add_i32 s20, s20, 1
	v_mad_u64_u32 v[2:3], s[34:35], v8, v2, v[6:7]
	v_cvt_f32_i32_e32 v2, v2
	v_mul_f32_e32 v3, v122, v126
	s_cmp_lt_u32 s21, 14
	v_fmac_f32_e32 v118, v3, v2
	s_cbranch_scc1 .LBB209_20
; %bb.21:                               ;   in Loop: Header=BB209_5 Depth=1
	s_or_b32 s2, s33, 0x100
	s_cmp_ge_i32 s2, s15
	s_barrier
	s_cbranch_scc1 .LBB209_4
; %bb.22:                               ;   in Loop: Header=BB209_5 Depth=1
	v_add_u32_e32 v2, s31, v88
	v_cmp_gt_i32_e64 s[2:3], s9, v2
	s_and_b64 s[20:21], s[0:1], s[2:3]
	s_and_saveexec_b64 s[2:3], s[20:21]
	s_cbranch_execz .LBB209_24
; %bb.23:                               ;   in Loop: Header=BB209_5 Depth=1
	v_add_u32_e32 v2, v84, v2
	v_mad_i64_i32 v[2:3], s[20:21], v2, 36, v[82:83]
	global_load_dword v2, v[2:3], off offset:4
	s_waitcnt vmcnt(0)
	ds_write_b32 v57, v2
.LBB209_24:                             ;   in Loop: Header=BB209_5 Depth=1
	s_or_b64 exec, exec, s[2:3]
	s_and_saveexec_b64 s[20:21], vcc
	s_cbranch_execz .LBB209_27
; %bb.25:                               ;   in Loop: Header=BB209_5 Depth=1
	v_or_b32_e32 v2, s31, v13
	v_or_b32_e32 v3, 8, v2
	v_cmp_gt_i32_e64 s[2:3], s9, v3
	s_and_b64 s[2:3], s[0:1], s[2:3]
	s_and_b64 exec, exec, s[2:3]
	s_cbranch_execz .LBB209_27
; %bb.26:                               ;   in Loop: Header=BB209_5 Depth=1
	v_ashrrev_i32_e32 v3, 31, v2
	v_add_co_u32_e64 v2, s[2:3], v84, v2
	v_addc_co_u32_e64 v4, s[2:3], v1, v3, s[2:3]
	v_mad_u64_u32 v[2:3], s[2:3], v2, 36, s[16:17]
	v_mad_i32_i24 v3, v4, 36, v3
	global_load_dword v2, v[2:3], off
	s_waitcnt vmcnt(0)
	v_cvt_f32_f16_e32 v2, v2
	ds_write_b32 v59, v2
.LBB209_27:                             ;   in Loop: Header=BB209_5 Depth=1
	s_or_b64 exec, exec, s[20:21]
	s_mov_b32 s2, 16
	s_mov_b32 s35, 14
	;; [unrolled: 1-line block ×3, first 2 shown]
	v_mov_b32_e32 v120, v94
	v_mov_b32_e32 v121, v95
	s_waitcnt lgkmcnt(0)
	s_barrier
.LBB209_28:                             ;   Parent Loop BB209_5 Depth=1
                                        ; =>  This Inner Loop Header: Depth=2
	s_add_i32 s20, s35, 2
	s_lshr_b32 s38, s20, 4
	s_and_b32 s36, s20, 0x3ffffff8
	s_lshl_b32 s34, s38, 3
	s_lshl_b32 s36, s36, 2
	v_add_lshl_u32 v129, v63, s34, 2
	v_add_u32_e32 v123, s36, v65
	v_add_u32_e32 v126, 0x4200, v129
	ds_read_b32 v122, v121
	ds_read_b128 v[6:9], v120
	ds_read_b128 v[2:5], v120 offset:16
	ds_read2_b32 v[124:125], v123 offset1:1
	ds_read2_b32 v[126:127], v126 offset1:1
	s_add_i32 s21, s35, -14
	s_and_b32 s37, s2, -16
	s_add_i32 s35, s35, s37
	s_waitcnt lgkmcnt(1)
	v_ashrrev_i32_e32 v124, s21, v124
	s_waitcnt lgkmcnt(0)
	v_ashrrev_i32_e32 v126, s3, v126
	v_lshlrev_b32_e32 v126, 2, v126
	v_and_b32_e32 v128, 0x3030303, v124
	v_bfe_u32 v124, v124, 24, 2
	v_and_b32_e32 v126, 0x4040404, v126
	v_sub_u16_e32 v130, v128, v126
	v_sub_u16_sdwa v131, v128, v126 dst_sel:BYTE_1 dst_unused:UNUSED_PAD src0_sel:BYTE_1 src1_sel:BYTE_1
	v_sub_u16_sdwa v124, v124, v126 dst_sel:BYTE_1 dst_unused:UNUSED_PAD src0_sel:DWORD src1_sel:BYTE_3
	v_sub_u16_sdwa v126, v128, v126 dst_sel:DWORD dst_unused:UNUSED_PAD src0_sel:WORD_1 src1_sel:WORD_1
	v_or_b32_sdwa v130, v130, v131 dst_sel:DWORD dst_unused:UNUSED_PAD src0_sel:BYTE_0 src1_sel:DWORD
	v_or_b32_sdwa v124, v126, v124 dst_sel:WORD_1 dst_unused:UNUSED_PAD src0_sel:BYTE_0 src1_sel:DWORD
	v_ashrrev_i32_e32 v126, s3, v127
	v_or_b32_sdwa v128, v130, v124 dst_sel:DWORD dst_unused:UNUSED_PAD src0_sel:WORD_0 src1_sel:DWORD
	v_ashrrev_i32_e32 v124, s21, v125
	v_lshlrev_b32_e32 v126, 2, v126
	v_and_b32_e32 v125, 0x3030303, v124
	v_bfe_u32 v124, v124, 24, 2
	v_and_b32_e32 v126, 0x4040404, v126
	v_sub_u16_e32 v127, v125, v126
	v_sub_u16_sdwa v130, v125, v126 dst_sel:BYTE_1 dst_unused:UNUSED_PAD src0_sel:BYTE_1 src1_sel:BYTE_1
	v_sub_u16_sdwa v124, v124, v126 dst_sel:BYTE_1 dst_unused:UNUSED_PAD src0_sel:DWORD src1_sel:BYTE_3
	v_sub_u16_sdwa v125, v125, v126 dst_sel:DWORD dst_unused:UNUSED_PAD src0_sel:WORD_1 src1_sel:WORD_1
	v_or_b32_sdwa v127, v127, v130 dst_sel:DWORD dst_unused:UNUSED_PAD src0_sel:BYTE_0 src1_sel:DWORD
	v_or_b32_sdwa v124, v125, v124 dst_sel:WORD_1 dst_unused:UNUSED_PAD src0_sel:BYTE_0 src1_sel:DWORD
	v_add_u32_e32 v126, 0x4208, v129
	v_or_b32_sdwa v130, v127, v124 dst_sel:DWORD dst_unused:UNUSED_PAD src0_sel:WORD_0 src1_sel:DWORD
	ds_read2_b32 v[124:125], v123 offset0:2 offset1:3
	ds_read2_b32 v[126:127], v126 offset1:1
	s_lshl_b32 s37, s38, 2
	s_add_i32 s2, s2, 2
	v_add_u32_e32 v121, 4, v121
	s_waitcnt lgkmcnt(1)
	v_ashrrev_i32_e32 v124, s21, v124
	s_waitcnt lgkmcnt(0)
	v_ashrrev_i32_e32 v126, s3, v126
	v_lshlrev_b32_e32 v126, 2, v126
	v_and_b32_e32 v131, 0x3030303, v124
	v_bfe_u32 v124, v124, 24, 2
	v_and_b32_e32 v126, 0x4040404, v126
	v_sub_u16_e32 v132, v131, v126
	v_sub_u16_sdwa v133, v131, v126 dst_sel:BYTE_1 dst_unused:UNUSED_PAD src0_sel:BYTE_1 src1_sel:BYTE_1
	v_sub_u16_sdwa v124, v124, v126 dst_sel:BYTE_1 dst_unused:UNUSED_PAD src0_sel:DWORD src1_sel:BYTE_3
	v_sub_u16_sdwa v126, v131, v126 dst_sel:DWORD dst_unused:UNUSED_PAD src0_sel:WORD_1 src1_sel:WORD_1
	v_or_b32_sdwa v132, v132, v133 dst_sel:DWORD dst_unused:UNUSED_PAD src0_sel:BYTE_0 src1_sel:DWORD
	v_or_b32_sdwa v124, v126, v124 dst_sel:WORD_1 dst_unused:UNUSED_PAD src0_sel:BYTE_0 src1_sel:DWORD
	v_ashrrev_i32_e32 v126, s3, v127
	v_or_b32_sdwa v131, v132, v124 dst_sel:DWORD dst_unused:UNUSED_PAD src0_sel:WORD_0 src1_sel:DWORD
	v_ashrrev_i32_e32 v124, s21, v125
	v_lshlrev_b32_e32 v126, 2, v126
	v_and_b32_e32 v125, 0x3030303, v124
	v_bfe_u32 v124, v124, 24, 2
	v_and_b32_e32 v126, 0x4040404, v126
	v_sub_u16_e32 v127, v125, v126
	v_sub_u16_sdwa v132, v125, v126 dst_sel:BYTE_1 dst_unused:UNUSED_PAD src0_sel:BYTE_1 src1_sel:BYTE_1
	v_sub_u16_sdwa v124, v124, v126 dst_sel:BYTE_1 dst_unused:UNUSED_PAD src0_sel:DWORD src1_sel:BYTE_3
	v_sub_u16_sdwa v125, v125, v126 dst_sel:DWORD dst_unused:UNUSED_PAD src0_sel:WORD_1 src1_sel:WORD_1
	v_or_b32_sdwa v127, v127, v132 dst_sel:DWORD dst_unused:UNUSED_PAD src0_sel:BYTE_0 src1_sel:DWORD
	v_or_b32_sdwa v124, v125, v124 dst_sel:WORD_1 dst_unused:UNUSED_PAD src0_sel:BYTE_0 src1_sel:DWORD
	v_add_u32_e32 v126, 0x4210, v129
	v_or_b32_sdwa v132, v127, v124 dst_sel:DWORD dst_unused:UNUSED_PAD src0_sel:WORD_0 src1_sel:DWORD
	ds_read2_b32 v[124:125], v123 offset0:4 offset1:5
	ds_read2_b32 v[126:127], v126 offset1:1
	v_add_u32_e32 v120, 32, v120
	s_waitcnt lgkmcnt(1)
	v_ashrrev_i32_e32 v124, s21, v124
	s_waitcnt lgkmcnt(0)
	v_ashrrev_i32_e32 v126, s3, v126
	v_lshlrev_b32_e32 v126, 2, v126
	v_and_b32_e32 v133, 0x3030303, v124
	v_bfe_u32 v124, v124, 24, 2
	v_and_b32_e32 v126, 0x4040404, v126
	v_sub_u16_e32 v134, v133, v126
	v_sub_u16_sdwa v135, v133, v126 dst_sel:BYTE_1 dst_unused:UNUSED_PAD src0_sel:BYTE_1 src1_sel:BYTE_1
	v_sub_u16_sdwa v124, v124, v126 dst_sel:BYTE_1 dst_unused:UNUSED_PAD src0_sel:DWORD src1_sel:BYTE_3
	v_sub_u16_sdwa v126, v133, v126 dst_sel:DWORD dst_unused:UNUSED_PAD src0_sel:WORD_1 src1_sel:WORD_1
	v_or_b32_sdwa v134, v134, v135 dst_sel:DWORD dst_unused:UNUSED_PAD src0_sel:BYTE_0 src1_sel:DWORD
	v_or_b32_sdwa v124, v126, v124 dst_sel:WORD_1 dst_unused:UNUSED_PAD src0_sel:BYTE_0 src1_sel:DWORD
	v_ashrrev_i32_e32 v126, s3, v127
	v_or_b32_sdwa v133, v134, v124 dst_sel:DWORD dst_unused:UNUSED_PAD src0_sel:WORD_0 src1_sel:DWORD
	v_ashrrev_i32_e32 v124, s21, v125
	v_lshlrev_b32_e32 v126, 2, v126
	v_and_b32_e32 v125, 0x3030303, v124
	v_bfe_u32 v124, v124, 24, 2
	v_and_b32_e32 v126, 0x4040404, v126
	v_sub_u16_e32 v127, v125, v126
	v_sub_u16_sdwa v134, v125, v126 dst_sel:BYTE_1 dst_unused:UNUSED_PAD src0_sel:BYTE_1 src1_sel:BYTE_1
	v_sub_u16_sdwa v124, v124, v126 dst_sel:BYTE_1 dst_unused:UNUSED_PAD src0_sel:DWORD src1_sel:BYTE_3
	v_sub_u16_sdwa v125, v125, v126 dst_sel:DWORD dst_unused:UNUSED_PAD src0_sel:WORD_1 src1_sel:WORD_1
	v_or_b32_sdwa v127, v127, v134 dst_sel:DWORD dst_unused:UNUSED_PAD src0_sel:BYTE_0 src1_sel:DWORD
	v_or_b32_sdwa v124, v125, v124 dst_sel:WORD_1 dst_unused:UNUSED_PAD src0_sel:BYTE_0 src1_sel:DWORD
	v_add_u32_e32 v126, 0x4218, v129
	v_or_b32_sdwa v134, v127, v124 dst_sel:DWORD dst_unused:UNUSED_PAD src0_sel:WORD_0 src1_sel:DWORD
	ds_read2_b32 v[124:125], v123 offset0:6 offset1:7
	ds_read2_b32 v[126:127], v126 offset1:1
	s_waitcnt lgkmcnt(1)
	v_ashrrev_i32_e32 v123, s21, v124
	s_waitcnt lgkmcnt(0)
	v_ashrrev_i32_e32 v126, s3, v126
	v_lshlrev_b32_e32 v126, 2, v126
	v_and_b32_e32 v124, 0x3030303, v123
	v_bfe_u32 v123, v123, 24, 2
	v_and_b32_e32 v126, 0x4040404, v126
	v_sub_u16_e32 v129, v124, v126
	v_sub_u16_sdwa v135, v124, v126 dst_sel:BYTE_1 dst_unused:UNUSED_PAD src0_sel:BYTE_1 src1_sel:BYTE_1
	v_sub_u16_sdwa v123, v123, v126 dst_sel:BYTE_1 dst_unused:UNUSED_PAD src0_sel:DWORD src1_sel:BYTE_3
	v_sub_u16_sdwa v124, v124, v126 dst_sel:DWORD dst_unused:UNUSED_PAD src0_sel:WORD_1 src1_sel:WORD_1
	v_ashrrev_i32_e32 v126, s3, v127
	v_or_b32_sdwa v123, v124, v123 dst_sel:WORD_1 dst_unused:UNUSED_PAD src0_sel:BYTE_0 src1_sel:DWORD
	v_ashrrev_i32_e32 v124, s21, v125
	v_lshlrev_b32_e32 v126, 2, v126
	v_or_b32_sdwa v129, v129, v135 dst_sel:DWORD dst_unused:UNUSED_PAD src0_sel:BYTE_0 src1_sel:DWORD
	v_and_b32_e32 v125, 0x3030303, v124
	v_bfe_u32 v124, v124, 24, 2
	v_and_b32_e32 v126, 0x4040404, v126
	v_or_b32_sdwa v123, v129, v123 dst_sel:DWORD dst_unused:UNUSED_PAD src0_sel:WORD_0 src1_sel:DWORD
	v_sub_u16_e32 v127, v125, v126
	v_sub_u16_sdwa v129, v125, v126 dst_sel:BYTE_1 dst_unused:UNUSED_PAD src0_sel:BYTE_1 src1_sel:BYTE_1
	v_sub_u16_sdwa v124, v124, v126 dst_sel:BYTE_1 dst_unused:UNUSED_PAD src0_sel:DWORD src1_sel:BYTE_3
	v_sub_u16_sdwa v125, v125, v126 dst_sel:DWORD dst_unused:UNUSED_PAD src0_sel:WORD_1 src1_sel:WORD_1
	v_or_b32_sdwa v127, v127, v129 dst_sel:DWORD dst_unused:UNUSED_PAD src0_sel:BYTE_0 src1_sel:DWORD
	v_or_b32_sdwa v124, v125, v124 dst_sel:WORD_1 dst_unused:UNUSED_PAD src0_sel:BYTE_0 src1_sel:DWORD
	v_or_b32_sdwa v125, v127, v124 dst_sel:DWORD dst_unused:UNUSED_PAD src0_sel:WORD_0 src1_sel:DWORD
	v_add_u32_e32 v124, s35, v103
	v_add_u32_e32 v126, s37, v67
	ds_read_b32 v126, v126
	ds_read_u16 v124, v124 offset:25330
	v_mov_b32_e32 v127, 0
	v_dot4c_i32_i8_e32 v127, v128, v6
	v_dot4c_i32_i8_e32 v127, v130, v7
	v_dot4c_i32_i8_e32 v127, v131, v8
	v_dot4c_i32_i8_e32 v127, v132, v9
	s_waitcnt lgkmcnt(0)
	v_lshrrev_b16_e32 v128, 8, v124
	v_bfe_i32 v124, v124, 0, 8
	v_add_lshl_u32 v129, v69, s34, 2
	v_mul_lo_u32 v124, v127, v124
	v_mov_b32_e32 v127, 0
	v_dot4c_i32_i8_e32 v127, v133, v2
	v_dot4c_i32_i8_e32 v127, v134, v3
	v_dot4c_i32_i8_e32 v127, v123, v4
	v_dot4c_i32_i8_e32 v127, v125, v5
	v_bfe_i32 v123, v128, 0, 8
                                        ; kill: def $vgpr125 killed $sgpr0 killed $exec
	s_nop 1
	v_mad_u64_u32 v[124:125], s[38:39], v127, v123, v[124:125]
	v_cvt_f32_i32_e32 v124, v124
	v_mul_f32_e32 v123, v122, v126
	v_add_u32_e32 v126, 0x4200, v129
	ds_read2_b32 v[126:127], v126 offset1:1
	v_fmac_f32_e32 v15, v123, v124
	v_add_u32_e32 v123, s36, v71
	ds_read2_b32 v[124:125], v123 offset1:1
	s_waitcnt lgkmcnt(1)
	v_ashrrev_i32_e32 v126, s3, v126
	v_lshlrev_b32_e32 v126, 2, v126
	v_and_b32_e32 v126, 0x4040404, v126
	s_waitcnt lgkmcnt(0)
	v_ashrrev_i32_e32 v124, s21, v124
	v_and_b32_e32 v128, 0x3030303, v124
	v_bfe_u32 v124, v124, 24, 2
	v_sub_u16_e32 v130, v128, v126
	v_sub_u16_sdwa v131, v128, v126 dst_sel:BYTE_1 dst_unused:UNUSED_PAD src0_sel:BYTE_1 src1_sel:BYTE_1
	v_sub_u16_sdwa v124, v124, v126 dst_sel:BYTE_1 dst_unused:UNUSED_PAD src0_sel:DWORD src1_sel:BYTE_3
	v_sub_u16_sdwa v126, v128, v126 dst_sel:DWORD dst_unused:UNUSED_PAD src0_sel:WORD_1 src1_sel:WORD_1
	v_or_b32_sdwa v130, v130, v131 dst_sel:DWORD dst_unused:UNUSED_PAD src0_sel:BYTE_0 src1_sel:DWORD
	v_or_b32_sdwa v124, v126, v124 dst_sel:WORD_1 dst_unused:UNUSED_PAD src0_sel:BYTE_0 src1_sel:DWORD
	v_ashrrev_i32_e32 v126, s3, v127
	v_or_b32_sdwa v128, v130, v124 dst_sel:DWORD dst_unused:UNUSED_PAD src0_sel:WORD_0 src1_sel:DWORD
	v_ashrrev_i32_e32 v124, s21, v125
	v_lshlrev_b32_e32 v126, 2, v126
	v_and_b32_e32 v125, 0x3030303, v124
	v_bfe_u32 v124, v124, 24, 2
	v_and_b32_e32 v126, 0x4040404, v126
	v_sub_u16_e32 v127, v125, v126
	v_sub_u16_sdwa v130, v125, v126 dst_sel:BYTE_1 dst_unused:UNUSED_PAD src0_sel:BYTE_1 src1_sel:BYTE_1
	v_sub_u16_sdwa v124, v124, v126 dst_sel:BYTE_1 dst_unused:UNUSED_PAD src0_sel:DWORD src1_sel:BYTE_3
	v_sub_u16_sdwa v125, v125, v126 dst_sel:DWORD dst_unused:UNUSED_PAD src0_sel:WORD_1 src1_sel:WORD_1
	v_or_b32_sdwa v127, v127, v130 dst_sel:DWORD dst_unused:UNUSED_PAD src0_sel:BYTE_0 src1_sel:DWORD
	v_or_b32_sdwa v124, v125, v124 dst_sel:WORD_1 dst_unused:UNUSED_PAD src0_sel:BYTE_0 src1_sel:DWORD
	v_add_u32_e32 v126, 0x4208, v129
	v_or_b32_sdwa v130, v127, v124 dst_sel:DWORD dst_unused:UNUSED_PAD src0_sel:WORD_0 src1_sel:DWORD
	ds_read2_b32 v[124:125], v123 offset0:2 offset1:3
	ds_read2_b32 v[126:127], v126 offset1:1
	s_waitcnt lgkmcnt(1)
	v_ashrrev_i32_e32 v124, s21, v124
	s_waitcnt lgkmcnt(0)
	v_ashrrev_i32_e32 v126, s3, v126
	v_lshlrev_b32_e32 v126, 2, v126
	v_and_b32_e32 v131, 0x3030303, v124
	v_bfe_u32 v124, v124, 24, 2
	v_and_b32_e32 v126, 0x4040404, v126
	v_sub_u16_e32 v132, v131, v126
	v_sub_u16_sdwa v133, v131, v126 dst_sel:BYTE_1 dst_unused:UNUSED_PAD src0_sel:BYTE_1 src1_sel:BYTE_1
	v_sub_u16_sdwa v124, v124, v126 dst_sel:BYTE_1 dst_unused:UNUSED_PAD src0_sel:DWORD src1_sel:BYTE_3
	v_sub_u16_sdwa v126, v131, v126 dst_sel:DWORD dst_unused:UNUSED_PAD src0_sel:WORD_1 src1_sel:WORD_1
	v_or_b32_sdwa v132, v132, v133 dst_sel:DWORD dst_unused:UNUSED_PAD src0_sel:BYTE_0 src1_sel:DWORD
	v_or_b32_sdwa v124, v126, v124 dst_sel:WORD_1 dst_unused:UNUSED_PAD src0_sel:BYTE_0 src1_sel:DWORD
	v_ashrrev_i32_e32 v126, s3, v127
	v_or_b32_sdwa v131, v132, v124 dst_sel:DWORD dst_unused:UNUSED_PAD src0_sel:WORD_0 src1_sel:DWORD
	v_ashrrev_i32_e32 v124, s21, v125
	v_lshlrev_b32_e32 v126, 2, v126
	v_and_b32_e32 v125, 0x3030303, v124
	v_bfe_u32 v124, v124, 24, 2
	v_and_b32_e32 v126, 0x4040404, v126
	v_sub_u16_e32 v127, v125, v126
	v_sub_u16_sdwa v132, v125, v126 dst_sel:BYTE_1 dst_unused:UNUSED_PAD src0_sel:BYTE_1 src1_sel:BYTE_1
	v_sub_u16_sdwa v124, v124, v126 dst_sel:BYTE_1 dst_unused:UNUSED_PAD src0_sel:DWORD src1_sel:BYTE_3
	v_sub_u16_sdwa v125, v125, v126 dst_sel:DWORD dst_unused:UNUSED_PAD src0_sel:WORD_1 src1_sel:WORD_1
	v_or_b32_sdwa v127, v127, v132 dst_sel:DWORD dst_unused:UNUSED_PAD src0_sel:BYTE_0 src1_sel:DWORD
	v_or_b32_sdwa v124, v125, v124 dst_sel:WORD_1 dst_unused:UNUSED_PAD src0_sel:BYTE_0 src1_sel:DWORD
	v_add_u32_e32 v126, 0x4210, v129
	v_or_b32_sdwa v132, v127, v124 dst_sel:DWORD dst_unused:UNUSED_PAD src0_sel:WORD_0 src1_sel:DWORD
	ds_read2_b32 v[124:125], v123 offset0:4 offset1:5
	ds_read2_b32 v[126:127], v126 offset1:1
	s_waitcnt lgkmcnt(1)
	v_ashrrev_i32_e32 v124, s21, v124
	s_waitcnt lgkmcnt(0)
	v_ashrrev_i32_e32 v126, s3, v126
	v_lshlrev_b32_e32 v126, 2, v126
	v_and_b32_e32 v133, 0x3030303, v124
	v_bfe_u32 v124, v124, 24, 2
	v_and_b32_e32 v126, 0x4040404, v126
	;; [unrolled: 31-line block ×3, first 2 shown]
	v_sub_u16_e32 v129, v124, v126
	v_sub_u16_sdwa v135, v124, v126 dst_sel:BYTE_1 dst_unused:UNUSED_PAD src0_sel:BYTE_1 src1_sel:BYTE_1
	v_sub_u16_sdwa v123, v123, v126 dst_sel:BYTE_1 dst_unused:UNUSED_PAD src0_sel:DWORD src1_sel:BYTE_3
	v_sub_u16_sdwa v124, v124, v126 dst_sel:DWORD dst_unused:UNUSED_PAD src0_sel:WORD_1 src1_sel:WORD_1
	v_ashrrev_i32_e32 v126, s3, v127
	v_or_b32_sdwa v123, v124, v123 dst_sel:WORD_1 dst_unused:UNUSED_PAD src0_sel:BYTE_0 src1_sel:DWORD
	v_ashrrev_i32_e32 v124, s21, v125
	v_lshlrev_b32_e32 v126, 2, v126
	v_or_b32_sdwa v129, v129, v135 dst_sel:DWORD dst_unused:UNUSED_PAD src0_sel:BYTE_0 src1_sel:DWORD
	v_and_b32_e32 v125, 0x3030303, v124
	v_bfe_u32 v124, v124, 24, 2
	v_and_b32_e32 v126, 0x4040404, v126
	v_or_b32_sdwa v123, v129, v123 dst_sel:DWORD dst_unused:UNUSED_PAD src0_sel:WORD_0 src1_sel:DWORD
	v_sub_u16_e32 v127, v125, v126
	v_sub_u16_sdwa v129, v125, v126 dst_sel:BYTE_1 dst_unused:UNUSED_PAD src0_sel:BYTE_1 src1_sel:BYTE_1
	v_sub_u16_sdwa v124, v124, v126 dst_sel:BYTE_1 dst_unused:UNUSED_PAD src0_sel:DWORD src1_sel:BYTE_3
	v_sub_u16_sdwa v125, v125, v126 dst_sel:DWORD dst_unused:UNUSED_PAD src0_sel:WORD_1 src1_sel:WORD_1
	v_or_b32_sdwa v127, v127, v129 dst_sel:DWORD dst_unused:UNUSED_PAD src0_sel:BYTE_0 src1_sel:DWORD
	v_or_b32_sdwa v124, v125, v124 dst_sel:WORD_1 dst_unused:UNUSED_PAD src0_sel:BYTE_0 src1_sel:DWORD
	v_or_b32_sdwa v125, v127, v124 dst_sel:DWORD dst_unused:UNUSED_PAD src0_sel:WORD_0 src1_sel:DWORD
	v_add_u32_e32 v124, s35, v102
	v_add_u32_e32 v126, s37, v73
	ds_read_b32 v126, v126
	ds_read_u16 v124, v124 offset:26354
	v_mov_b32_e32 v127, 0
	v_dot4c_i32_i8_e32 v127, v128, v6
	v_dot4c_i32_i8_e32 v127, v130, v7
	;; [unrolled: 1-line block ×4, first 2 shown]
	s_waitcnt lgkmcnt(0)
	v_lshrrev_b16_e32 v128, 8, v124
	v_bfe_i32 v124, v124, 0, 8
	v_add_lshl_u32 v129, v75, s34, 2
	v_mul_lo_u32 v124, v127, v124
	v_mov_b32_e32 v127, 0
	v_dot4c_i32_i8_e32 v127, v133, v2
	v_dot4c_i32_i8_e32 v127, v134, v3
	;; [unrolled: 1-line block ×4, first 2 shown]
	v_bfe_i32 v123, v128, 0, 8
                                        ; kill: def $vgpr125 killed $sgpr0 killed $exec
	s_nop 1
	v_mad_u64_u32 v[124:125], s[38:39], v127, v123, v[124:125]
	v_cvt_f32_i32_e32 v124, v124
	v_mul_f32_e32 v123, v122, v126
	v_add_u32_e32 v126, 0x4200, v129
	ds_read2_b32 v[126:127], v126 offset1:1
	v_fmac_f32_e32 v116, v123, v124
	v_add_u32_e32 v123, s36, v77
	ds_read2_b32 v[124:125], v123 offset1:1
	s_waitcnt lgkmcnt(1)
	v_ashrrev_i32_e32 v126, s3, v126
	v_lshlrev_b32_e32 v126, 2, v126
	v_and_b32_e32 v126, 0x4040404, v126
	s_waitcnt lgkmcnt(0)
	v_ashrrev_i32_e32 v124, s21, v124
	v_and_b32_e32 v128, 0x3030303, v124
	v_bfe_u32 v124, v124, 24, 2
	v_sub_u16_e32 v130, v128, v126
	v_sub_u16_sdwa v131, v128, v126 dst_sel:BYTE_1 dst_unused:UNUSED_PAD src0_sel:BYTE_1 src1_sel:BYTE_1
	v_sub_u16_sdwa v124, v124, v126 dst_sel:BYTE_1 dst_unused:UNUSED_PAD src0_sel:DWORD src1_sel:BYTE_3
	v_sub_u16_sdwa v126, v128, v126 dst_sel:DWORD dst_unused:UNUSED_PAD src0_sel:WORD_1 src1_sel:WORD_1
	v_or_b32_sdwa v130, v130, v131 dst_sel:DWORD dst_unused:UNUSED_PAD src0_sel:BYTE_0 src1_sel:DWORD
	v_or_b32_sdwa v124, v126, v124 dst_sel:WORD_1 dst_unused:UNUSED_PAD src0_sel:BYTE_0 src1_sel:DWORD
	v_ashrrev_i32_e32 v126, s3, v127
	v_or_b32_sdwa v128, v130, v124 dst_sel:DWORD dst_unused:UNUSED_PAD src0_sel:WORD_0 src1_sel:DWORD
	v_ashrrev_i32_e32 v124, s21, v125
	v_lshlrev_b32_e32 v126, 2, v126
	v_and_b32_e32 v125, 0x3030303, v124
	v_bfe_u32 v124, v124, 24, 2
	v_and_b32_e32 v126, 0x4040404, v126
	v_sub_u16_e32 v127, v125, v126
	v_sub_u16_sdwa v130, v125, v126 dst_sel:BYTE_1 dst_unused:UNUSED_PAD src0_sel:BYTE_1 src1_sel:BYTE_1
	v_sub_u16_sdwa v124, v124, v126 dst_sel:BYTE_1 dst_unused:UNUSED_PAD src0_sel:DWORD src1_sel:BYTE_3
	v_sub_u16_sdwa v125, v125, v126 dst_sel:DWORD dst_unused:UNUSED_PAD src0_sel:WORD_1 src1_sel:WORD_1
	v_or_b32_sdwa v127, v127, v130 dst_sel:DWORD dst_unused:UNUSED_PAD src0_sel:BYTE_0 src1_sel:DWORD
	v_or_b32_sdwa v124, v125, v124 dst_sel:WORD_1 dst_unused:UNUSED_PAD src0_sel:BYTE_0 src1_sel:DWORD
	v_add_u32_e32 v126, 0x4208, v129
	v_or_b32_sdwa v130, v127, v124 dst_sel:DWORD dst_unused:UNUSED_PAD src0_sel:WORD_0 src1_sel:DWORD
	ds_read2_b32 v[124:125], v123 offset0:2 offset1:3
	ds_read2_b32 v[126:127], v126 offset1:1
	s_waitcnt lgkmcnt(1)
	v_ashrrev_i32_e32 v124, s21, v124
	s_waitcnt lgkmcnt(0)
	v_ashrrev_i32_e32 v126, s3, v126
	v_lshlrev_b32_e32 v126, 2, v126
	v_and_b32_e32 v131, 0x3030303, v124
	v_bfe_u32 v124, v124, 24, 2
	v_and_b32_e32 v126, 0x4040404, v126
	v_sub_u16_e32 v132, v131, v126
	v_sub_u16_sdwa v133, v131, v126 dst_sel:BYTE_1 dst_unused:UNUSED_PAD src0_sel:BYTE_1 src1_sel:BYTE_1
	v_sub_u16_sdwa v124, v124, v126 dst_sel:BYTE_1 dst_unused:UNUSED_PAD src0_sel:DWORD src1_sel:BYTE_3
	v_sub_u16_sdwa v126, v131, v126 dst_sel:DWORD dst_unused:UNUSED_PAD src0_sel:WORD_1 src1_sel:WORD_1
	v_or_b32_sdwa v132, v132, v133 dst_sel:DWORD dst_unused:UNUSED_PAD src0_sel:BYTE_0 src1_sel:DWORD
	v_or_b32_sdwa v124, v126, v124 dst_sel:WORD_1 dst_unused:UNUSED_PAD src0_sel:BYTE_0 src1_sel:DWORD
	v_ashrrev_i32_e32 v126, s3, v127
	v_or_b32_sdwa v131, v132, v124 dst_sel:DWORD dst_unused:UNUSED_PAD src0_sel:WORD_0 src1_sel:DWORD
	v_ashrrev_i32_e32 v124, s21, v125
	v_lshlrev_b32_e32 v126, 2, v126
	v_and_b32_e32 v125, 0x3030303, v124
	v_bfe_u32 v124, v124, 24, 2
	v_and_b32_e32 v126, 0x4040404, v126
	v_sub_u16_e32 v127, v125, v126
	v_sub_u16_sdwa v132, v125, v126 dst_sel:BYTE_1 dst_unused:UNUSED_PAD src0_sel:BYTE_1 src1_sel:BYTE_1
	v_sub_u16_sdwa v124, v124, v126 dst_sel:BYTE_1 dst_unused:UNUSED_PAD src0_sel:DWORD src1_sel:BYTE_3
	v_sub_u16_sdwa v125, v125, v126 dst_sel:DWORD dst_unused:UNUSED_PAD src0_sel:WORD_1 src1_sel:WORD_1
	v_or_b32_sdwa v127, v127, v132 dst_sel:DWORD dst_unused:UNUSED_PAD src0_sel:BYTE_0 src1_sel:DWORD
	v_or_b32_sdwa v124, v125, v124 dst_sel:WORD_1 dst_unused:UNUSED_PAD src0_sel:BYTE_0 src1_sel:DWORD
	v_add_u32_e32 v126, 0x4210, v129
	v_or_b32_sdwa v132, v127, v124 dst_sel:DWORD dst_unused:UNUSED_PAD src0_sel:WORD_0 src1_sel:DWORD
	ds_read2_b32 v[124:125], v123 offset0:4 offset1:5
	ds_read2_b32 v[126:127], v126 offset1:1
	s_waitcnt lgkmcnt(1)
	v_ashrrev_i32_e32 v124, s21, v124
	s_waitcnt lgkmcnt(0)
	v_ashrrev_i32_e32 v126, s3, v126
	v_lshlrev_b32_e32 v126, 2, v126
	v_and_b32_e32 v133, 0x3030303, v124
	v_bfe_u32 v124, v124, 24, 2
	v_and_b32_e32 v126, 0x4040404, v126
	;; [unrolled: 31-line block ×3, first 2 shown]
	v_sub_u16_e32 v129, v124, v126
	v_sub_u16_sdwa v135, v124, v126 dst_sel:BYTE_1 dst_unused:UNUSED_PAD src0_sel:BYTE_1 src1_sel:BYTE_1
	v_sub_u16_sdwa v123, v123, v126 dst_sel:BYTE_1 dst_unused:UNUSED_PAD src0_sel:DWORD src1_sel:BYTE_3
	v_sub_u16_sdwa v124, v124, v126 dst_sel:DWORD dst_unused:UNUSED_PAD src0_sel:WORD_1 src1_sel:WORD_1
	v_ashrrev_i32_e32 v126, s3, v127
	v_or_b32_sdwa v123, v124, v123 dst_sel:WORD_1 dst_unused:UNUSED_PAD src0_sel:BYTE_0 src1_sel:DWORD
	v_ashrrev_i32_e32 v124, s21, v125
	v_lshlrev_b32_e32 v126, 2, v126
	v_or_b32_sdwa v129, v129, v135 dst_sel:DWORD dst_unused:UNUSED_PAD src0_sel:BYTE_0 src1_sel:DWORD
	v_and_b32_e32 v125, 0x3030303, v124
	v_bfe_u32 v124, v124, 24, 2
	v_and_b32_e32 v126, 0x4040404, v126
	v_or_b32_sdwa v123, v129, v123 dst_sel:DWORD dst_unused:UNUSED_PAD src0_sel:WORD_0 src1_sel:DWORD
	v_sub_u16_e32 v127, v125, v126
	v_sub_u16_sdwa v129, v125, v126 dst_sel:BYTE_1 dst_unused:UNUSED_PAD src0_sel:BYTE_1 src1_sel:BYTE_1
	v_sub_u16_sdwa v124, v124, v126 dst_sel:BYTE_1 dst_unused:UNUSED_PAD src0_sel:DWORD src1_sel:BYTE_3
	v_sub_u16_sdwa v125, v125, v126 dst_sel:DWORD dst_unused:UNUSED_PAD src0_sel:WORD_1 src1_sel:WORD_1
	v_or_b32_sdwa v127, v127, v129 dst_sel:DWORD dst_unused:UNUSED_PAD src0_sel:BYTE_0 src1_sel:DWORD
	v_or_b32_sdwa v124, v125, v124 dst_sel:WORD_1 dst_unused:UNUSED_PAD src0_sel:BYTE_0 src1_sel:DWORD
	v_or_b32_sdwa v125, v127, v124 dst_sel:DWORD dst_unused:UNUSED_PAD src0_sel:WORD_0 src1_sel:DWORD
	v_add_u32_e32 v124, s35, v101
	v_add_u32_e32 v126, s37, v79
	ds_read_b32 v126, v126
	ds_read_u16 v124, v124 offset:27378
	v_mov_b32_e32 v127, 0
	v_dot4c_i32_i8_e32 v127, v128, v6
	v_dot4c_i32_i8_e32 v127, v130, v7
	;; [unrolled: 1-line block ×4, first 2 shown]
	s_waitcnt lgkmcnt(0)
	v_lshrrev_b16_e32 v128, 8, v124
	v_bfe_i32 v124, v124, 0, 8
	v_add_lshl_u32 v129, v81, s34, 2
	v_mul_lo_u32 v124, v127, v124
	v_mov_b32_e32 v127, 0
	v_dot4c_i32_i8_e32 v127, v133, v2
	v_dot4c_i32_i8_e32 v127, v134, v3
	;; [unrolled: 1-line block ×4, first 2 shown]
	v_bfe_i32 v123, v128, 0, 8
                                        ; kill: def $vgpr125 killed $sgpr0 killed $exec
	s_nop 1
	v_mad_u64_u32 v[124:125], s[38:39], v127, v123, v[124:125]
	v_cvt_f32_i32_e32 v124, v124
	v_mul_f32_e32 v123, v122, v126
	v_add_u32_e32 v126, 0x4200, v129
	ds_read2_b32 v[126:127], v126 offset1:1
	v_fmac_f32_e32 v117, v123, v124
	v_add_u32_e32 v123, s36, v85
	ds_read2_b32 v[124:125], v123 offset1:1
	s_waitcnt lgkmcnt(1)
	v_ashrrev_i32_e32 v126, s3, v126
	v_lshlrev_b32_e32 v126, 2, v126
	v_and_b32_e32 v126, 0x4040404, v126
	s_waitcnt lgkmcnt(0)
	v_ashrrev_i32_e32 v124, s21, v124
	v_and_b32_e32 v128, 0x3030303, v124
	v_bfe_u32 v124, v124, 24, 2
	v_sub_u16_e32 v130, v128, v126
	v_sub_u16_sdwa v131, v128, v126 dst_sel:BYTE_1 dst_unused:UNUSED_PAD src0_sel:BYTE_1 src1_sel:BYTE_1
	v_sub_u16_sdwa v124, v124, v126 dst_sel:BYTE_1 dst_unused:UNUSED_PAD src0_sel:DWORD src1_sel:BYTE_3
	v_sub_u16_sdwa v126, v128, v126 dst_sel:DWORD dst_unused:UNUSED_PAD src0_sel:WORD_1 src1_sel:WORD_1
	v_or_b32_sdwa v130, v130, v131 dst_sel:DWORD dst_unused:UNUSED_PAD src0_sel:BYTE_0 src1_sel:DWORD
	v_or_b32_sdwa v124, v126, v124 dst_sel:WORD_1 dst_unused:UNUSED_PAD src0_sel:BYTE_0 src1_sel:DWORD
	v_ashrrev_i32_e32 v126, s3, v127
	v_or_b32_sdwa v128, v130, v124 dst_sel:DWORD dst_unused:UNUSED_PAD src0_sel:WORD_0 src1_sel:DWORD
	v_ashrrev_i32_e32 v124, s21, v125
	v_lshlrev_b32_e32 v126, 2, v126
	v_and_b32_e32 v125, 0x3030303, v124
	v_bfe_u32 v124, v124, 24, 2
	v_and_b32_e32 v126, 0x4040404, v126
	v_sub_u16_e32 v127, v125, v126
	v_sub_u16_sdwa v130, v125, v126 dst_sel:BYTE_1 dst_unused:UNUSED_PAD src0_sel:BYTE_1 src1_sel:BYTE_1
	v_sub_u16_sdwa v124, v124, v126 dst_sel:BYTE_1 dst_unused:UNUSED_PAD src0_sel:DWORD src1_sel:BYTE_3
	v_sub_u16_sdwa v125, v125, v126 dst_sel:DWORD dst_unused:UNUSED_PAD src0_sel:WORD_1 src1_sel:WORD_1
	v_or_b32_sdwa v127, v127, v130 dst_sel:DWORD dst_unused:UNUSED_PAD src0_sel:BYTE_0 src1_sel:DWORD
	v_or_b32_sdwa v124, v125, v124 dst_sel:WORD_1 dst_unused:UNUSED_PAD src0_sel:BYTE_0 src1_sel:DWORD
	v_add_u32_e32 v126, 0x4208, v129
	v_or_b32_sdwa v130, v127, v124 dst_sel:DWORD dst_unused:UNUSED_PAD src0_sel:WORD_0 src1_sel:DWORD
	ds_read2_b32 v[124:125], v123 offset0:2 offset1:3
	ds_read2_b32 v[126:127], v126 offset1:1
	s_waitcnt lgkmcnt(1)
	v_ashrrev_i32_e32 v124, s21, v124
	s_waitcnt lgkmcnt(0)
	v_ashrrev_i32_e32 v126, s3, v126
	v_lshlrev_b32_e32 v126, 2, v126
	v_and_b32_e32 v131, 0x3030303, v124
	v_bfe_u32 v124, v124, 24, 2
	v_and_b32_e32 v126, 0x4040404, v126
	v_sub_u16_e32 v132, v131, v126
	v_sub_u16_sdwa v133, v131, v126 dst_sel:BYTE_1 dst_unused:UNUSED_PAD src0_sel:BYTE_1 src1_sel:BYTE_1
	v_sub_u16_sdwa v124, v124, v126 dst_sel:BYTE_1 dst_unused:UNUSED_PAD src0_sel:DWORD src1_sel:BYTE_3
	v_sub_u16_sdwa v126, v131, v126 dst_sel:DWORD dst_unused:UNUSED_PAD src0_sel:WORD_1 src1_sel:WORD_1
	v_or_b32_sdwa v132, v132, v133 dst_sel:DWORD dst_unused:UNUSED_PAD src0_sel:BYTE_0 src1_sel:DWORD
	v_or_b32_sdwa v124, v126, v124 dst_sel:WORD_1 dst_unused:UNUSED_PAD src0_sel:BYTE_0 src1_sel:DWORD
	v_ashrrev_i32_e32 v126, s3, v127
	v_or_b32_sdwa v131, v132, v124 dst_sel:DWORD dst_unused:UNUSED_PAD src0_sel:WORD_0 src1_sel:DWORD
	v_ashrrev_i32_e32 v124, s21, v125
	v_lshlrev_b32_e32 v126, 2, v126
	v_and_b32_e32 v125, 0x3030303, v124
	v_bfe_u32 v124, v124, 24, 2
	v_and_b32_e32 v126, 0x4040404, v126
	v_sub_u16_e32 v127, v125, v126
	v_sub_u16_sdwa v132, v125, v126 dst_sel:BYTE_1 dst_unused:UNUSED_PAD src0_sel:BYTE_1 src1_sel:BYTE_1
	v_sub_u16_sdwa v124, v124, v126 dst_sel:BYTE_1 dst_unused:UNUSED_PAD src0_sel:DWORD src1_sel:BYTE_3
	v_sub_u16_sdwa v125, v125, v126 dst_sel:DWORD dst_unused:UNUSED_PAD src0_sel:WORD_1 src1_sel:WORD_1
	v_or_b32_sdwa v127, v127, v132 dst_sel:DWORD dst_unused:UNUSED_PAD src0_sel:BYTE_0 src1_sel:DWORD
	v_or_b32_sdwa v124, v125, v124 dst_sel:WORD_1 dst_unused:UNUSED_PAD src0_sel:BYTE_0 src1_sel:DWORD
	v_add_u32_e32 v126, 0x4210, v129
	v_or_b32_sdwa v132, v127, v124 dst_sel:DWORD dst_unused:UNUSED_PAD src0_sel:WORD_0 src1_sel:DWORD
	ds_read2_b32 v[124:125], v123 offset0:4 offset1:5
	ds_read2_b32 v[126:127], v126 offset1:1
	s_waitcnt lgkmcnt(1)
	v_ashrrev_i32_e32 v124, s21, v124
	s_waitcnt lgkmcnt(0)
	v_ashrrev_i32_e32 v126, s3, v126
	v_lshlrev_b32_e32 v126, 2, v126
	v_and_b32_e32 v133, 0x3030303, v124
	v_bfe_u32 v124, v124, 24, 2
	v_and_b32_e32 v126, 0x4040404, v126
	;; [unrolled: 31-line block ×3, first 2 shown]
	v_sub_u16_e32 v129, v124, v126
	v_sub_u16_sdwa v135, v124, v126 dst_sel:BYTE_1 dst_unused:UNUSED_PAD src0_sel:BYTE_1 src1_sel:BYTE_1
	v_sub_u16_sdwa v123, v123, v126 dst_sel:BYTE_1 dst_unused:UNUSED_PAD src0_sel:DWORD src1_sel:BYTE_3
	v_sub_u16_sdwa v124, v124, v126 dst_sel:DWORD dst_unused:UNUSED_PAD src0_sel:WORD_1 src1_sel:WORD_1
	v_ashrrev_i32_e32 v126, s3, v127
	v_or_b32_sdwa v123, v124, v123 dst_sel:WORD_1 dst_unused:UNUSED_PAD src0_sel:BYTE_0 src1_sel:DWORD
	v_ashrrev_i32_e32 v124, s21, v125
	v_lshlrev_b32_e32 v126, 2, v126
	v_or_b32_sdwa v129, v129, v135 dst_sel:DWORD dst_unused:UNUSED_PAD src0_sel:BYTE_0 src1_sel:DWORD
	v_and_b32_e32 v125, 0x3030303, v124
	v_bfe_u32 v124, v124, 24, 2
	v_and_b32_e32 v126, 0x4040404, v126
	v_or_b32_sdwa v123, v129, v123 dst_sel:DWORD dst_unused:UNUSED_PAD src0_sel:WORD_0 src1_sel:DWORD
	v_sub_u16_e32 v127, v125, v126
	v_sub_u16_sdwa v129, v125, v126 dst_sel:BYTE_1 dst_unused:UNUSED_PAD src0_sel:BYTE_1 src1_sel:BYTE_1
	v_sub_u16_sdwa v124, v124, v126 dst_sel:BYTE_1 dst_unused:UNUSED_PAD src0_sel:DWORD src1_sel:BYTE_3
	v_sub_u16_sdwa v125, v125, v126 dst_sel:DWORD dst_unused:UNUSED_PAD src0_sel:WORD_1 src1_sel:WORD_1
	v_or_b32_sdwa v127, v127, v129 dst_sel:DWORD dst_unused:UNUSED_PAD src0_sel:BYTE_0 src1_sel:DWORD
	v_or_b32_sdwa v124, v125, v124 dst_sel:WORD_1 dst_unused:UNUSED_PAD src0_sel:BYTE_0 src1_sel:DWORD
	v_or_b32_sdwa v124, v127, v124 dst_sel:DWORD dst_unused:UNUSED_PAD src0_sel:WORD_0 src1_sel:DWORD
	v_add_u32_e32 v125, s35, v100
	v_add_u32_e32 v126, s37, v86
	v_mov_b32_e32 v127, 0
	ds_read_b32 v126, v126
	v_dot4c_i32_i8_e32 v127, v128, v6
	ds_read_u16 v6, v125 offset:28402
	v_dot4c_i32_i8_e32 v127, v130, v7
	v_dot4c_i32_i8_e32 v127, v131, v8
	v_mov_b32_e32 v8, 0
	v_dot4c_i32_i8_e32 v8, v133, v2
	v_dot4c_i32_i8_e32 v8, v134, v3
	;; [unrolled: 1-line block ×3, first 2 shown]
	s_waitcnt lgkmcnt(0)
	v_lshrrev_b16_e32 v7, 8, v6
	v_bfe_i32 v6, v6, 0, 8
	v_dot4c_i32_i8_e32 v8, v123, v4
	v_mul_lo_u32 v6, v127, v6
	v_dot4c_i32_i8_e32 v8, v124, v5
	v_bfe_i32 v2, v7, 0, 8
	s_add_i32 s3, s3, 1
	s_cmp_lt_u32 s20, 22
	v_mad_u64_u32 v[2:3], s[34:35], v8, v2, v[6:7]
	v_cvt_f32_i32_e32 v2, v2
	v_mul_f32_e32 v3, v122, v126
	s_mov_b32 s35, s20
	v_fmac_f32_e32 v118, v3, v2
	s_cbranch_scc1 .LBB209_28
; %bb.29:                               ;   in Loop: Header=BB209_5 Depth=1
	s_or_b32 s2, s33, 0x180
	s_cmp_ge_i32 s2, s15
	s_barrier
	s_cbranch_scc1 .LBB209_4
; %bb.30:                               ;   in Loop: Header=BB209_5 Depth=1
	v_add_u32_e32 v2, s31, v89
	v_cmp_gt_i32_e64 s[2:3], s9, v2
	s_and_b64 s[20:21], s[0:1], s[2:3]
	s_and_saveexec_b64 s[2:3], s[20:21]
	s_cbranch_execz .LBB209_32
; %bb.31:                               ;   in Loop: Header=BB209_5 Depth=1
	v_add_u32_e32 v2, v84, v2
	v_mad_i64_i32 v[2:3], s[20:21], v2, 36, v[82:83]
	global_load_dword v2, v[2:3], off offset:4
	s_waitcnt vmcnt(0)
	ds_write_b32 v57, v2
.LBB209_32:                             ;   in Loop: Header=BB209_5 Depth=1
	s_or_b64 exec, exec, s[2:3]
	s_and_saveexec_b64 s[20:21], vcc
	s_cbranch_execz .LBB209_35
; %bb.33:                               ;   in Loop: Header=BB209_5 Depth=1
	v_or_b32_e32 v2, s31, v13
	v_or_b32_e32 v3, 12, v2
	v_cmp_gt_i32_e64 s[2:3], s9, v3
	s_and_b64 s[2:3], s[0:1], s[2:3]
	s_and_b64 exec, exec, s[2:3]
	s_cbranch_execz .LBB209_35
; %bb.34:                               ;   in Loop: Header=BB209_5 Depth=1
	v_ashrrev_i32_e32 v3, 31, v2
	v_add_co_u32_e64 v2, s[2:3], v84, v2
	v_addc_co_u32_e64 v4, s[2:3], v1, v3, s[2:3]
	v_mad_u64_u32 v[2:3], s[2:3], v2, 36, s[18:19]
	v_mad_i32_i24 v3, v4, 36, v3
	global_load_dword v2, v[2:3], off
	s_waitcnt vmcnt(0)
	v_cvt_f32_f16_e32 v2, v2
	ds_write_b32 v59, v2
.LBB209_35:                             ;   in Loop: Header=BB209_5 Depth=1
	s_or_b64 exec, exec, s[20:21]
	s_mov_b32 s2, 24
	s_mov_b32 s33, 22
	;; [unrolled: 1-line block ×3, first 2 shown]
	v_mov_b32_e32 v120, v94
	v_mov_b32_e32 v121, v95
	s_waitcnt lgkmcnt(0)
	s_barrier
.LBB209_36:                             ;   Parent Loop BB209_5 Depth=1
                                        ; =>  This Inner Loop Header: Depth=2
	s_add_i32 s20, s33, 2
	s_lshr_b32 s36, s20, 4
	s_and_b32 s34, s20, 0x3ffffff8
	s_lshl_b32 s31, s36, 3
	s_lshl_b32 s34, s34, 2
	v_add_lshl_u32 v129, v63, s31, 2
	v_add_u32_e32 v123, s34, v65
	v_add_u32_e32 v126, 0x4200, v129
	ds_read_b32 v122, v121
	ds_read_b128 v[6:9], v120
	ds_read_b128 v[2:5], v120 offset:16
	ds_read2_b32 v[124:125], v123 offset1:1
	ds_read2_b32 v[126:127], v126 offset1:1
	s_sub_i32 s21, s33, 22
	s_and_b32 s35, s2, -16
	s_add_i32 s33, s33, s35
	s_waitcnt lgkmcnt(1)
	v_ashrrev_i32_e32 v124, s21, v124
	s_waitcnt lgkmcnt(0)
	v_ashrrev_i32_e32 v126, s3, v126
	v_lshlrev_b32_e32 v126, 2, v126
	v_and_b32_e32 v128, 0x3030303, v124
	v_bfe_u32 v124, v124, 24, 2
	v_and_b32_e32 v126, 0x4040404, v126
	v_sub_u16_e32 v130, v128, v126
	v_sub_u16_sdwa v131, v128, v126 dst_sel:BYTE_1 dst_unused:UNUSED_PAD src0_sel:BYTE_1 src1_sel:BYTE_1
	v_sub_u16_sdwa v124, v124, v126 dst_sel:BYTE_1 dst_unused:UNUSED_PAD src0_sel:DWORD src1_sel:BYTE_3
	v_sub_u16_sdwa v126, v128, v126 dst_sel:DWORD dst_unused:UNUSED_PAD src0_sel:WORD_1 src1_sel:WORD_1
	v_or_b32_sdwa v130, v130, v131 dst_sel:DWORD dst_unused:UNUSED_PAD src0_sel:BYTE_0 src1_sel:DWORD
	v_or_b32_sdwa v124, v126, v124 dst_sel:WORD_1 dst_unused:UNUSED_PAD src0_sel:BYTE_0 src1_sel:DWORD
	v_ashrrev_i32_e32 v126, s3, v127
	v_or_b32_sdwa v128, v130, v124 dst_sel:DWORD dst_unused:UNUSED_PAD src0_sel:WORD_0 src1_sel:DWORD
	v_ashrrev_i32_e32 v124, s21, v125
	v_lshlrev_b32_e32 v126, 2, v126
	v_and_b32_e32 v125, 0x3030303, v124
	v_bfe_u32 v124, v124, 24, 2
	v_and_b32_e32 v126, 0x4040404, v126
	v_sub_u16_e32 v127, v125, v126
	v_sub_u16_sdwa v130, v125, v126 dst_sel:BYTE_1 dst_unused:UNUSED_PAD src0_sel:BYTE_1 src1_sel:BYTE_1
	v_sub_u16_sdwa v124, v124, v126 dst_sel:BYTE_1 dst_unused:UNUSED_PAD src0_sel:DWORD src1_sel:BYTE_3
	v_sub_u16_sdwa v125, v125, v126 dst_sel:DWORD dst_unused:UNUSED_PAD src0_sel:WORD_1 src1_sel:WORD_1
	v_or_b32_sdwa v127, v127, v130 dst_sel:DWORD dst_unused:UNUSED_PAD src0_sel:BYTE_0 src1_sel:DWORD
	v_or_b32_sdwa v124, v125, v124 dst_sel:WORD_1 dst_unused:UNUSED_PAD src0_sel:BYTE_0 src1_sel:DWORD
	v_add_u32_e32 v126, 0x4208, v129
	v_or_b32_sdwa v130, v127, v124 dst_sel:DWORD dst_unused:UNUSED_PAD src0_sel:WORD_0 src1_sel:DWORD
	ds_read2_b32 v[124:125], v123 offset0:2 offset1:3
	ds_read2_b32 v[126:127], v126 offset1:1
	s_lshl_b32 s35, s36, 2
	s_add_i32 s2, s2, 2
	v_add_u32_e32 v121, 4, v121
	s_waitcnt lgkmcnt(1)
	v_ashrrev_i32_e32 v124, s21, v124
	s_waitcnt lgkmcnt(0)
	v_ashrrev_i32_e32 v126, s3, v126
	v_lshlrev_b32_e32 v126, 2, v126
	v_and_b32_e32 v131, 0x3030303, v124
	v_bfe_u32 v124, v124, 24, 2
	v_and_b32_e32 v126, 0x4040404, v126
	v_sub_u16_e32 v132, v131, v126
	v_sub_u16_sdwa v133, v131, v126 dst_sel:BYTE_1 dst_unused:UNUSED_PAD src0_sel:BYTE_1 src1_sel:BYTE_1
	v_sub_u16_sdwa v124, v124, v126 dst_sel:BYTE_1 dst_unused:UNUSED_PAD src0_sel:DWORD src1_sel:BYTE_3
	v_sub_u16_sdwa v126, v131, v126 dst_sel:DWORD dst_unused:UNUSED_PAD src0_sel:WORD_1 src1_sel:WORD_1
	v_or_b32_sdwa v132, v132, v133 dst_sel:DWORD dst_unused:UNUSED_PAD src0_sel:BYTE_0 src1_sel:DWORD
	v_or_b32_sdwa v124, v126, v124 dst_sel:WORD_1 dst_unused:UNUSED_PAD src0_sel:BYTE_0 src1_sel:DWORD
	v_ashrrev_i32_e32 v126, s3, v127
	v_or_b32_sdwa v131, v132, v124 dst_sel:DWORD dst_unused:UNUSED_PAD src0_sel:WORD_0 src1_sel:DWORD
	v_ashrrev_i32_e32 v124, s21, v125
	v_lshlrev_b32_e32 v126, 2, v126
	v_and_b32_e32 v125, 0x3030303, v124
	v_bfe_u32 v124, v124, 24, 2
	v_and_b32_e32 v126, 0x4040404, v126
	v_sub_u16_e32 v127, v125, v126
	v_sub_u16_sdwa v132, v125, v126 dst_sel:BYTE_1 dst_unused:UNUSED_PAD src0_sel:BYTE_1 src1_sel:BYTE_1
	v_sub_u16_sdwa v124, v124, v126 dst_sel:BYTE_1 dst_unused:UNUSED_PAD src0_sel:DWORD src1_sel:BYTE_3
	v_sub_u16_sdwa v125, v125, v126 dst_sel:DWORD dst_unused:UNUSED_PAD src0_sel:WORD_1 src1_sel:WORD_1
	v_or_b32_sdwa v127, v127, v132 dst_sel:DWORD dst_unused:UNUSED_PAD src0_sel:BYTE_0 src1_sel:DWORD
	v_or_b32_sdwa v124, v125, v124 dst_sel:WORD_1 dst_unused:UNUSED_PAD src0_sel:BYTE_0 src1_sel:DWORD
	v_add_u32_e32 v126, 0x4210, v129
	v_or_b32_sdwa v132, v127, v124 dst_sel:DWORD dst_unused:UNUSED_PAD src0_sel:WORD_0 src1_sel:DWORD
	ds_read2_b32 v[124:125], v123 offset0:4 offset1:5
	ds_read2_b32 v[126:127], v126 offset1:1
	v_add_u32_e32 v120, 32, v120
	s_waitcnt lgkmcnt(1)
	v_ashrrev_i32_e32 v124, s21, v124
	s_waitcnt lgkmcnt(0)
	v_ashrrev_i32_e32 v126, s3, v126
	v_lshlrev_b32_e32 v126, 2, v126
	v_and_b32_e32 v133, 0x3030303, v124
	v_bfe_u32 v124, v124, 24, 2
	v_and_b32_e32 v126, 0x4040404, v126
	v_sub_u16_e32 v134, v133, v126
	v_sub_u16_sdwa v135, v133, v126 dst_sel:BYTE_1 dst_unused:UNUSED_PAD src0_sel:BYTE_1 src1_sel:BYTE_1
	v_sub_u16_sdwa v124, v124, v126 dst_sel:BYTE_1 dst_unused:UNUSED_PAD src0_sel:DWORD src1_sel:BYTE_3
	v_sub_u16_sdwa v126, v133, v126 dst_sel:DWORD dst_unused:UNUSED_PAD src0_sel:WORD_1 src1_sel:WORD_1
	v_or_b32_sdwa v134, v134, v135 dst_sel:DWORD dst_unused:UNUSED_PAD src0_sel:BYTE_0 src1_sel:DWORD
	v_or_b32_sdwa v124, v126, v124 dst_sel:WORD_1 dst_unused:UNUSED_PAD src0_sel:BYTE_0 src1_sel:DWORD
	v_ashrrev_i32_e32 v126, s3, v127
	v_or_b32_sdwa v133, v134, v124 dst_sel:DWORD dst_unused:UNUSED_PAD src0_sel:WORD_0 src1_sel:DWORD
	v_ashrrev_i32_e32 v124, s21, v125
	v_lshlrev_b32_e32 v126, 2, v126
	v_and_b32_e32 v125, 0x3030303, v124
	v_bfe_u32 v124, v124, 24, 2
	v_and_b32_e32 v126, 0x4040404, v126
	v_sub_u16_e32 v127, v125, v126
	v_sub_u16_sdwa v134, v125, v126 dst_sel:BYTE_1 dst_unused:UNUSED_PAD src0_sel:BYTE_1 src1_sel:BYTE_1
	v_sub_u16_sdwa v124, v124, v126 dst_sel:BYTE_1 dst_unused:UNUSED_PAD src0_sel:DWORD src1_sel:BYTE_3
	v_sub_u16_sdwa v125, v125, v126 dst_sel:DWORD dst_unused:UNUSED_PAD src0_sel:WORD_1 src1_sel:WORD_1
	v_or_b32_sdwa v127, v127, v134 dst_sel:DWORD dst_unused:UNUSED_PAD src0_sel:BYTE_0 src1_sel:DWORD
	v_or_b32_sdwa v124, v125, v124 dst_sel:WORD_1 dst_unused:UNUSED_PAD src0_sel:BYTE_0 src1_sel:DWORD
	v_add_u32_e32 v126, 0x4218, v129
	v_or_b32_sdwa v134, v127, v124 dst_sel:DWORD dst_unused:UNUSED_PAD src0_sel:WORD_0 src1_sel:DWORD
	ds_read2_b32 v[124:125], v123 offset0:6 offset1:7
	ds_read2_b32 v[126:127], v126 offset1:1
	s_waitcnt lgkmcnt(1)
	v_ashrrev_i32_e32 v123, s21, v124
	s_waitcnt lgkmcnt(0)
	v_ashrrev_i32_e32 v126, s3, v126
	v_lshlrev_b32_e32 v126, 2, v126
	v_and_b32_e32 v124, 0x3030303, v123
	v_bfe_u32 v123, v123, 24, 2
	v_and_b32_e32 v126, 0x4040404, v126
	v_sub_u16_e32 v129, v124, v126
	v_sub_u16_sdwa v135, v124, v126 dst_sel:BYTE_1 dst_unused:UNUSED_PAD src0_sel:BYTE_1 src1_sel:BYTE_1
	v_sub_u16_sdwa v123, v123, v126 dst_sel:BYTE_1 dst_unused:UNUSED_PAD src0_sel:DWORD src1_sel:BYTE_3
	v_sub_u16_sdwa v124, v124, v126 dst_sel:DWORD dst_unused:UNUSED_PAD src0_sel:WORD_1 src1_sel:WORD_1
	v_ashrrev_i32_e32 v126, s3, v127
	v_or_b32_sdwa v123, v124, v123 dst_sel:WORD_1 dst_unused:UNUSED_PAD src0_sel:BYTE_0 src1_sel:DWORD
	v_ashrrev_i32_e32 v124, s21, v125
	v_lshlrev_b32_e32 v126, 2, v126
	v_or_b32_sdwa v129, v129, v135 dst_sel:DWORD dst_unused:UNUSED_PAD src0_sel:BYTE_0 src1_sel:DWORD
	v_and_b32_e32 v125, 0x3030303, v124
	v_bfe_u32 v124, v124, 24, 2
	v_and_b32_e32 v126, 0x4040404, v126
	v_or_b32_sdwa v123, v129, v123 dst_sel:DWORD dst_unused:UNUSED_PAD src0_sel:WORD_0 src1_sel:DWORD
	v_sub_u16_e32 v127, v125, v126
	v_sub_u16_sdwa v129, v125, v126 dst_sel:BYTE_1 dst_unused:UNUSED_PAD src0_sel:BYTE_1 src1_sel:BYTE_1
	v_sub_u16_sdwa v124, v124, v126 dst_sel:BYTE_1 dst_unused:UNUSED_PAD src0_sel:DWORD src1_sel:BYTE_3
	v_sub_u16_sdwa v125, v125, v126 dst_sel:DWORD dst_unused:UNUSED_PAD src0_sel:WORD_1 src1_sel:WORD_1
	v_or_b32_sdwa v127, v127, v129 dst_sel:DWORD dst_unused:UNUSED_PAD src0_sel:BYTE_0 src1_sel:DWORD
	v_or_b32_sdwa v124, v125, v124 dst_sel:WORD_1 dst_unused:UNUSED_PAD src0_sel:BYTE_0 src1_sel:DWORD
	v_or_b32_sdwa v125, v127, v124 dst_sel:DWORD dst_unused:UNUSED_PAD src0_sel:WORD_0 src1_sel:DWORD
	v_add_u32_e32 v124, s33, v103
	v_add_u32_e32 v126, s35, v67
	ds_read_b32 v126, v126
	ds_read_u16 v124, v124 offset:25330
	v_mov_b32_e32 v127, 0
	v_dot4c_i32_i8_e32 v127, v128, v6
	v_dot4c_i32_i8_e32 v127, v130, v7
	;; [unrolled: 1-line block ×4, first 2 shown]
	s_waitcnt lgkmcnt(0)
	v_lshrrev_b16_e32 v128, 8, v124
	v_bfe_i32 v124, v124, 0, 8
	v_add_lshl_u32 v129, v69, s31, 2
	v_mul_lo_u32 v124, v127, v124
	v_mov_b32_e32 v127, 0
	v_dot4c_i32_i8_e32 v127, v133, v2
	v_dot4c_i32_i8_e32 v127, v134, v3
	;; [unrolled: 1-line block ×4, first 2 shown]
	v_bfe_i32 v123, v128, 0, 8
                                        ; kill: def $vgpr125 killed $sgpr0 killed $exec
	s_nop 1
	v_mad_u64_u32 v[124:125], s[36:37], v127, v123, v[124:125]
	v_cvt_f32_i32_e32 v124, v124
	v_mul_f32_e32 v123, v122, v126
	v_add_u32_e32 v126, 0x4200, v129
	ds_read2_b32 v[126:127], v126 offset1:1
	v_fmac_f32_e32 v15, v123, v124
	v_add_u32_e32 v123, s34, v71
	ds_read2_b32 v[124:125], v123 offset1:1
	s_waitcnt lgkmcnt(1)
	v_ashrrev_i32_e32 v126, s3, v126
	v_lshlrev_b32_e32 v126, 2, v126
	v_and_b32_e32 v126, 0x4040404, v126
	s_waitcnt lgkmcnt(0)
	v_ashrrev_i32_e32 v124, s21, v124
	v_and_b32_e32 v128, 0x3030303, v124
	v_bfe_u32 v124, v124, 24, 2
	v_sub_u16_e32 v130, v128, v126
	v_sub_u16_sdwa v131, v128, v126 dst_sel:BYTE_1 dst_unused:UNUSED_PAD src0_sel:BYTE_1 src1_sel:BYTE_1
	v_sub_u16_sdwa v124, v124, v126 dst_sel:BYTE_1 dst_unused:UNUSED_PAD src0_sel:DWORD src1_sel:BYTE_3
	v_sub_u16_sdwa v126, v128, v126 dst_sel:DWORD dst_unused:UNUSED_PAD src0_sel:WORD_1 src1_sel:WORD_1
	v_or_b32_sdwa v130, v130, v131 dst_sel:DWORD dst_unused:UNUSED_PAD src0_sel:BYTE_0 src1_sel:DWORD
	v_or_b32_sdwa v124, v126, v124 dst_sel:WORD_1 dst_unused:UNUSED_PAD src0_sel:BYTE_0 src1_sel:DWORD
	v_ashrrev_i32_e32 v126, s3, v127
	v_or_b32_sdwa v128, v130, v124 dst_sel:DWORD dst_unused:UNUSED_PAD src0_sel:WORD_0 src1_sel:DWORD
	v_ashrrev_i32_e32 v124, s21, v125
	v_lshlrev_b32_e32 v126, 2, v126
	v_and_b32_e32 v125, 0x3030303, v124
	v_bfe_u32 v124, v124, 24, 2
	v_and_b32_e32 v126, 0x4040404, v126
	v_sub_u16_e32 v127, v125, v126
	v_sub_u16_sdwa v130, v125, v126 dst_sel:BYTE_1 dst_unused:UNUSED_PAD src0_sel:BYTE_1 src1_sel:BYTE_1
	v_sub_u16_sdwa v124, v124, v126 dst_sel:BYTE_1 dst_unused:UNUSED_PAD src0_sel:DWORD src1_sel:BYTE_3
	v_sub_u16_sdwa v125, v125, v126 dst_sel:DWORD dst_unused:UNUSED_PAD src0_sel:WORD_1 src1_sel:WORD_1
	v_or_b32_sdwa v127, v127, v130 dst_sel:DWORD dst_unused:UNUSED_PAD src0_sel:BYTE_0 src1_sel:DWORD
	v_or_b32_sdwa v124, v125, v124 dst_sel:WORD_1 dst_unused:UNUSED_PAD src0_sel:BYTE_0 src1_sel:DWORD
	v_add_u32_e32 v126, 0x4208, v129
	v_or_b32_sdwa v130, v127, v124 dst_sel:DWORD dst_unused:UNUSED_PAD src0_sel:WORD_0 src1_sel:DWORD
	ds_read2_b32 v[124:125], v123 offset0:2 offset1:3
	ds_read2_b32 v[126:127], v126 offset1:1
	s_waitcnt lgkmcnt(1)
	v_ashrrev_i32_e32 v124, s21, v124
	s_waitcnt lgkmcnt(0)
	v_ashrrev_i32_e32 v126, s3, v126
	v_lshlrev_b32_e32 v126, 2, v126
	v_and_b32_e32 v131, 0x3030303, v124
	v_bfe_u32 v124, v124, 24, 2
	v_and_b32_e32 v126, 0x4040404, v126
	v_sub_u16_e32 v132, v131, v126
	v_sub_u16_sdwa v133, v131, v126 dst_sel:BYTE_1 dst_unused:UNUSED_PAD src0_sel:BYTE_1 src1_sel:BYTE_1
	v_sub_u16_sdwa v124, v124, v126 dst_sel:BYTE_1 dst_unused:UNUSED_PAD src0_sel:DWORD src1_sel:BYTE_3
	v_sub_u16_sdwa v126, v131, v126 dst_sel:DWORD dst_unused:UNUSED_PAD src0_sel:WORD_1 src1_sel:WORD_1
	v_or_b32_sdwa v132, v132, v133 dst_sel:DWORD dst_unused:UNUSED_PAD src0_sel:BYTE_0 src1_sel:DWORD
	v_or_b32_sdwa v124, v126, v124 dst_sel:WORD_1 dst_unused:UNUSED_PAD src0_sel:BYTE_0 src1_sel:DWORD
	v_ashrrev_i32_e32 v126, s3, v127
	v_or_b32_sdwa v131, v132, v124 dst_sel:DWORD dst_unused:UNUSED_PAD src0_sel:WORD_0 src1_sel:DWORD
	v_ashrrev_i32_e32 v124, s21, v125
	v_lshlrev_b32_e32 v126, 2, v126
	v_and_b32_e32 v125, 0x3030303, v124
	v_bfe_u32 v124, v124, 24, 2
	v_and_b32_e32 v126, 0x4040404, v126
	v_sub_u16_e32 v127, v125, v126
	v_sub_u16_sdwa v132, v125, v126 dst_sel:BYTE_1 dst_unused:UNUSED_PAD src0_sel:BYTE_1 src1_sel:BYTE_1
	v_sub_u16_sdwa v124, v124, v126 dst_sel:BYTE_1 dst_unused:UNUSED_PAD src0_sel:DWORD src1_sel:BYTE_3
	v_sub_u16_sdwa v125, v125, v126 dst_sel:DWORD dst_unused:UNUSED_PAD src0_sel:WORD_1 src1_sel:WORD_1
	v_or_b32_sdwa v127, v127, v132 dst_sel:DWORD dst_unused:UNUSED_PAD src0_sel:BYTE_0 src1_sel:DWORD
	v_or_b32_sdwa v124, v125, v124 dst_sel:WORD_1 dst_unused:UNUSED_PAD src0_sel:BYTE_0 src1_sel:DWORD
	v_add_u32_e32 v126, 0x4210, v129
	v_or_b32_sdwa v132, v127, v124 dst_sel:DWORD dst_unused:UNUSED_PAD src0_sel:WORD_0 src1_sel:DWORD
	ds_read2_b32 v[124:125], v123 offset0:4 offset1:5
	ds_read2_b32 v[126:127], v126 offset1:1
	s_waitcnt lgkmcnt(1)
	v_ashrrev_i32_e32 v124, s21, v124
	s_waitcnt lgkmcnt(0)
	v_ashrrev_i32_e32 v126, s3, v126
	v_lshlrev_b32_e32 v126, 2, v126
	v_and_b32_e32 v133, 0x3030303, v124
	v_bfe_u32 v124, v124, 24, 2
	v_and_b32_e32 v126, 0x4040404, v126
	;; [unrolled: 31-line block ×3, first 2 shown]
	v_sub_u16_e32 v129, v124, v126
	v_sub_u16_sdwa v135, v124, v126 dst_sel:BYTE_1 dst_unused:UNUSED_PAD src0_sel:BYTE_1 src1_sel:BYTE_1
	v_sub_u16_sdwa v123, v123, v126 dst_sel:BYTE_1 dst_unused:UNUSED_PAD src0_sel:DWORD src1_sel:BYTE_3
	v_sub_u16_sdwa v124, v124, v126 dst_sel:DWORD dst_unused:UNUSED_PAD src0_sel:WORD_1 src1_sel:WORD_1
	v_ashrrev_i32_e32 v126, s3, v127
	v_or_b32_sdwa v123, v124, v123 dst_sel:WORD_1 dst_unused:UNUSED_PAD src0_sel:BYTE_0 src1_sel:DWORD
	v_ashrrev_i32_e32 v124, s21, v125
	v_lshlrev_b32_e32 v126, 2, v126
	v_or_b32_sdwa v129, v129, v135 dst_sel:DWORD dst_unused:UNUSED_PAD src0_sel:BYTE_0 src1_sel:DWORD
	v_and_b32_e32 v125, 0x3030303, v124
	v_bfe_u32 v124, v124, 24, 2
	v_and_b32_e32 v126, 0x4040404, v126
	v_or_b32_sdwa v123, v129, v123 dst_sel:DWORD dst_unused:UNUSED_PAD src0_sel:WORD_0 src1_sel:DWORD
	v_sub_u16_e32 v127, v125, v126
	v_sub_u16_sdwa v129, v125, v126 dst_sel:BYTE_1 dst_unused:UNUSED_PAD src0_sel:BYTE_1 src1_sel:BYTE_1
	v_sub_u16_sdwa v124, v124, v126 dst_sel:BYTE_1 dst_unused:UNUSED_PAD src0_sel:DWORD src1_sel:BYTE_3
	v_sub_u16_sdwa v125, v125, v126 dst_sel:DWORD dst_unused:UNUSED_PAD src0_sel:WORD_1 src1_sel:WORD_1
	v_or_b32_sdwa v127, v127, v129 dst_sel:DWORD dst_unused:UNUSED_PAD src0_sel:BYTE_0 src1_sel:DWORD
	v_or_b32_sdwa v124, v125, v124 dst_sel:WORD_1 dst_unused:UNUSED_PAD src0_sel:BYTE_0 src1_sel:DWORD
	v_or_b32_sdwa v125, v127, v124 dst_sel:DWORD dst_unused:UNUSED_PAD src0_sel:WORD_0 src1_sel:DWORD
	v_add_u32_e32 v124, s33, v102
	v_add_u32_e32 v126, s35, v73
	ds_read_b32 v126, v126
	ds_read_u16 v124, v124 offset:26354
	v_mov_b32_e32 v127, 0
	v_dot4c_i32_i8_e32 v127, v128, v6
	v_dot4c_i32_i8_e32 v127, v130, v7
	;; [unrolled: 1-line block ×4, first 2 shown]
	s_waitcnt lgkmcnt(0)
	v_lshrrev_b16_e32 v128, 8, v124
	v_bfe_i32 v124, v124, 0, 8
	v_add_lshl_u32 v129, v75, s31, 2
	v_mul_lo_u32 v124, v127, v124
	v_mov_b32_e32 v127, 0
	v_dot4c_i32_i8_e32 v127, v133, v2
	v_dot4c_i32_i8_e32 v127, v134, v3
	;; [unrolled: 1-line block ×4, first 2 shown]
	v_bfe_i32 v123, v128, 0, 8
                                        ; kill: def $vgpr125 killed $sgpr0 killed $exec
	s_nop 1
	v_mad_u64_u32 v[124:125], s[36:37], v127, v123, v[124:125]
	v_cvt_f32_i32_e32 v124, v124
	v_mul_f32_e32 v123, v122, v126
	v_add_u32_e32 v126, 0x4200, v129
	ds_read2_b32 v[126:127], v126 offset1:1
	v_fmac_f32_e32 v116, v123, v124
	v_add_u32_e32 v123, s34, v77
	ds_read2_b32 v[124:125], v123 offset1:1
	s_waitcnt lgkmcnt(1)
	v_ashrrev_i32_e32 v126, s3, v126
	v_lshlrev_b32_e32 v126, 2, v126
	v_and_b32_e32 v126, 0x4040404, v126
	s_waitcnt lgkmcnt(0)
	v_ashrrev_i32_e32 v124, s21, v124
	v_and_b32_e32 v128, 0x3030303, v124
	v_bfe_u32 v124, v124, 24, 2
	v_sub_u16_e32 v130, v128, v126
	v_sub_u16_sdwa v131, v128, v126 dst_sel:BYTE_1 dst_unused:UNUSED_PAD src0_sel:BYTE_1 src1_sel:BYTE_1
	v_sub_u16_sdwa v124, v124, v126 dst_sel:BYTE_1 dst_unused:UNUSED_PAD src0_sel:DWORD src1_sel:BYTE_3
	v_sub_u16_sdwa v126, v128, v126 dst_sel:DWORD dst_unused:UNUSED_PAD src0_sel:WORD_1 src1_sel:WORD_1
	v_or_b32_sdwa v130, v130, v131 dst_sel:DWORD dst_unused:UNUSED_PAD src0_sel:BYTE_0 src1_sel:DWORD
	v_or_b32_sdwa v124, v126, v124 dst_sel:WORD_1 dst_unused:UNUSED_PAD src0_sel:BYTE_0 src1_sel:DWORD
	v_ashrrev_i32_e32 v126, s3, v127
	v_or_b32_sdwa v128, v130, v124 dst_sel:DWORD dst_unused:UNUSED_PAD src0_sel:WORD_0 src1_sel:DWORD
	v_ashrrev_i32_e32 v124, s21, v125
	v_lshlrev_b32_e32 v126, 2, v126
	v_and_b32_e32 v125, 0x3030303, v124
	v_bfe_u32 v124, v124, 24, 2
	v_and_b32_e32 v126, 0x4040404, v126
	v_sub_u16_e32 v127, v125, v126
	v_sub_u16_sdwa v130, v125, v126 dst_sel:BYTE_1 dst_unused:UNUSED_PAD src0_sel:BYTE_1 src1_sel:BYTE_1
	v_sub_u16_sdwa v124, v124, v126 dst_sel:BYTE_1 dst_unused:UNUSED_PAD src0_sel:DWORD src1_sel:BYTE_3
	v_sub_u16_sdwa v125, v125, v126 dst_sel:DWORD dst_unused:UNUSED_PAD src0_sel:WORD_1 src1_sel:WORD_1
	v_or_b32_sdwa v127, v127, v130 dst_sel:DWORD dst_unused:UNUSED_PAD src0_sel:BYTE_0 src1_sel:DWORD
	v_or_b32_sdwa v124, v125, v124 dst_sel:WORD_1 dst_unused:UNUSED_PAD src0_sel:BYTE_0 src1_sel:DWORD
	v_add_u32_e32 v126, 0x4208, v129
	v_or_b32_sdwa v130, v127, v124 dst_sel:DWORD dst_unused:UNUSED_PAD src0_sel:WORD_0 src1_sel:DWORD
	ds_read2_b32 v[124:125], v123 offset0:2 offset1:3
	ds_read2_b32 v[126:127], v126 offset1:1
	s_waitcnt lgkmcnt(1)
	v_ashrrev_i32_e32 v124, s21, v124
	s_waitcnt lgkmcnt(0)
	v_ashrrev_i32_e32 v126, s3, v126
	v_lshlrev_b32_e32 v126, 2, v126
	v_and_b32_e32 v131, 0x3030303, v124
	v_bfe_u32 v124, v124, 24, 2
	v_and_b32_e32 v126, 0x4040404, v126
	v_sub_u16_e32 v132, v131, v126
	v_sub_u16_sdwa v133, v131, v126 dst_sel:BYTE_1 dst_unused:UNUSED_PAD src0_sel:BYTE_1 src1_sel:BYTE_1
	v_sub_u16_sdwa v124, v124, v126 dst_sel:BYTE_1 dst_unused:UNUSED_PAD src0_sel:DWORD src1_sel:BYTE_3
	v_sub_u16_sdwa v126, v131, v126 dst_sel:DWORD dst_unused:UNUSED_PAD src0_sel:WORD_1 src1_sel:WORD_1
	v_or_b32_sdwa v132, v132, v133 dst_sel:DWORD dst_unused:UNUSED_PAD src0_sel:BYTE_0 src1_sel:DWORD
	v_or_b32_sdwa v124, v126, v124 dst_sel:WORD_1 dst_unused:UNUSED_PAD src0_sel:BYTE_0 src1_sel:DWORD
	v_ashrrev_i32_e32 v126, s3, v127
	v_or_b32_sdwa v131, v132, v124 dst_sel:DWORD dst_unused:UNUSED_PAD src0_sel:WORD_0 src1_sel:DWORD
	v_ashrrev_i32_e32 v124, s21, v125
	v_lshlrev_b32_e32 v126, 2, v126
	v_and_b32_e32 v125, 0x3030303, v124
	v_bfe_u32 v124, v124, 24, 2
	v_and_b32_e32 v126, 0x4040404, v126
	v_sub_u16_e32 v127, v125, v126
	v_sub_u16_sdwa v132, v125, v126 dst_sel:BYTE_1 dst_unused:UNUSED_PAD src0_sel:BYTE_1 src1_sel:BYTE_1
	v_sub_u16_sdwa v124, v124, v126 dst_sel:BYTE_1 dst_unused:UNUSED_PAD src0_sel:DWORD src1_sel:BYTE_3
	v_sub_u16_sdwa v125, v125, v126 dst_sel:DWORD dst_unused:UNUSED_PAD src0_sel:WORD_1 src1_sel:WORD_1
	v_or_b32_sdwa v127, v127, v132 dst_sel:DWORD dst_unused:UNUSED_PAD src0_sel:BYTE_0 src1_sel:DWORD
	v_or_b32_sdwa v124, v125, v124 dst_sel:WORD_1 dst_unused:UNUSED_PAD src0_sel:BYTE_0 src1_sel:DWORD
	v_add_u32_e32 v126, 0x4210, v129
	v_or_b32_sdwa v132, v127, v124 dst_sel:DWORD dst_unused:UNUSED_PAD src0_sel:WORD_0 src1_sel:DWORD
	ds_read2_b32 v[124:125], v123 offset0:4 offset1:5
	ds_read2_b32 v[126:127], v126 offset1:1
	s_waitcnt lgkmcnt(1)
	v_ashrrev_i32_e32 v124, s21, v124
	s_waitcnt lgkmcnt(0)
	v_ashrrev_i32_e32 v126, s3, v126
	v_lshlrev_b32_e32 v126, 2, v126
	v_and_b32_e32 v133, 0x3030303, v124
	v_bfe_u32 v124, v124, 24, 2
	v_and_b32_e32 v126, 0x4040404, v126
	;; [unrolled: 31-line block ×3, first 2 shown]
	v_sub_u16_e32 v129, v124, v126
	v_sub_u16_sdwa v135, v124, v126 dst_sel:BYTE_1 dst_unused:UNUSED_PAD src0_sel:BYTE_1 src1_sel:BYTE_1
	v_sub_u16_sdwa v123, v123, v126 dst_sel:BYTE_1 dst_unused:UNUSED_PAD src0_sel:DWORD src1_sel:BYTE_3
	v_sub_u16_sdwa v124, v124, v126 dst_sel:DWORD dst_unused:UNUSED_PAD src0_sel:WORD_1 src1_sel:WORD_1
	v_ashrrev_i32_e32 v126, s3, v127
	v_or_b32_sdwa v123, v124, v123 dst_sel:WORD_1 dst_unused:UNUSED_PAD src0_sel:BYTE_0 src1_sel:DWORD
	v_ashrrev_i32_e32 v124, s21, v125
	v_lshlrev_b32_e32 v126, 2, v126
	v_or_b32_sdwa v129, v129, v135 dst_sel:DWORD dst_unused:UNUSED_PAD src0_sel:BYTE_0 src1_sel:DWORD
	v_and_b32_e32 v125, 0x3030303, v124
	v_bfe_u32 v124, v124, 24, 2
	v_and_b32_e32 v126, 0x4040404, v126
	v_or_b32_sdwa v123, v129, v123 dst_sel:DWORD dst_unused:UNUSED_PAD src0_sel:WORD_0 src1_sel:DWORD
	v_sub_u16_e32 v127, v125, v126
	v_sub_u16_sdwa v129, v125, v126 dst_sel:BYTE_1 dst_unused:UNUSED_PAD src0_sel:BYTE_1 src1_sel:BYTE_1
	v_sub_u16_sdwa v124, v124, v126 dst_sel:BYTE_1 dst_unused:UNUSED_PAD src0_sel:DWORD src1_sel:BYTE_3
	v_sub_u16_sdwa v125, v125, v126 dst_sel:DWORD dst_unused:UNUSED_PAD src0_sel:WORD_1 src1_sel:WORD_1
	v_or_b32_sdwa v127, v127, v129 dst_sel:DWORD dst_unused:UNUSED_PAD src0_sel:BYTE_0 src1_sel:DWORD
	v_or_b32_sdwa v124, v125, v124 dst_sel:WORD_1 dst_unused:UNUSED_PAD src0_sel:BYTE_0 src1_sel:DWORD
	v_or_b32_sdwa v125, v127, v124 dst_sel:DWORD dst_unused:UNUSED_PAD src0_sel:WORD_0 src1_sel:DWORD
	v_add_u32_e32 v124, s33, v101
	v_add_u32_e32 v126, s35, v79
	ds_read_b32 v126, v126
	ds_read_u16 v124, v124 offset:27378
	v_mov_b32_e32 v127, 0
	v_dot4c_i32_i8_e32 v127, v128, v6
	v_dot4c_i32_i8_e32 v127, v130, v7
	;; [unrolled: 1-line block ×4, first 2 shown]
	s_waitcnt lgkmcnt(0)
	v_lshrrev_b16_e32 v128, 8, v124
	v_bfe_i32 v124, v124, 0, 8
	v_add_lshl_u32 v129, v81, s31, 2
	v_mul_lo_u32 v124, v127, v124
	v_mov_b32_e32 v127, 0
	v_dot4c_i32_i8_e32 v127, v133, v2
	v_dot4c_i32_i8_e32 v127, v134, v3
	;; [unrolled: 1-line block ×4, first 2 shown]
	v_bfe_i32 v123, v128, 0, 8
                                        ; kill: def $vgpr125 killed $sgpr0 killed $exec
	s_nop 1
	v_mad_u64_u32 v[124:125], s[36:37], v127, v123, v[124:125]
	v_cvt_f32_i32_e32 v124, v124
	v_mul_f32_e32 v123, v122, v126
	v_add_u32_e32 v126, 0x4200, v129
	ds_read2_b32 v[126:127], v126 offset1:1
	v_fmac_f32_e32 v117, v123, v124
	v_add_u32_e32 v123, s34, v85
	ds_read2_b32 v[124:125], v123 offset1:1
	s_waitcnt lgkmcnt(1)
	v_ashrrev_i32_e32 v126, s3, v126
	v_lshlrev_b32_e32 v126, 2, v126
	v_and_b32_e32 v126, 0x4040404, v126
	s_waitcnt lgkmcnt(0)
	v_ashrrev_i32_e32 v124, s21, v124
	v_and_b32_e32 v128, 0x3030303, v124
	v_bfe_u32 v124, v124, 24, 2
	v_sub_u16_e32 v130, v128, v126
	v_sub_u16_sdwa v131, v128, v126 dst_sel:BYTE_1 dst_unused:UNUSED_PAD src0_sel:BYTE_1 src1_sel:BYTE_1
	v_sub_u16_sdwa v124, v124, v126 dst_sel:BYTE_1 dst_unused:UNUSED_PAD src0_sel:DWORD src1_sel:BYTE_3
	v_sub_u16_sdwa v126, v128, v126 dst_sel:DWORD dst_unused:UNUSED_PAD src0_sel:WORD_1 src1_sel:WORD_1
	v_or_b32_sdwa v130, v130, v131 dst_sel:DWORD dst_unused:UNUSED_PAD src0_sel:BYTE_0 src1_sel:DWORD
	v_or_b32_sdwa v124, v126, v124 dst_sel:WORD_1 dst_unused:UNUSED_PAD src0_sel:BYTE_0 src1_sel:DWORD
	v_ashrrev_i32_e32 v126, s3, v127
	v_or_b32_sdwa v128, v130, v124 dst_sel:DWORD dst_unused:UNUSED_PAD src0_sel:WORD_0 src1_sel:DWORD
	v_ashrrev_i32_e32 v124, s21, v125
	v_lshlrev_b32_e32 v126, 2, v126
	v_and_b32_e32 v125, 0x3030303, v124
	v_bfe_u32 v124, v124, 24, 2
	v_and_b32_e32 v126, 0x4040404, v126
	v_sub_u16_e32 v127, v125, v126
	v_sub_u16_sdwa v130, v125, v126 dst_sel:BYTE_1 dst_unused:UNUSED_PAD src0_sel:BYTE_1 src1_sel:BYTE_1
	v_sub_u16_sdwa v124, v124, v126 dst_sel:BYTE_1 dst_unused:UNUSED_PAD src0_sel:DWORD src1_sel:BYTE_3
	v_sub_u16_sdwa v125, v125, v126 dst_sel:DWORD dst_unused:UNUSED_PAD src0_sel:WORD_1 src1_sel:WORD_1
	v_or_b32_sdwa v127, v127, v130 dst_sel:DWORD dst_unused:UNUSED_PAD src0_sel:BYTE_0 src1_sel:DWORD
	v_or_b32_sdwa v124, v125, v124 dst_sel:WORD_1 dst_unused:UNUSED_PAD src0_sel:BYTE_0 src1_sel:DWORD
	v_add_u32_e32 v126, 0x4208, v129
	v_or_b32_sdwa v130, v127, v124 dst_sel:DWORD dst_unused:UNUSED_PAD src0_sel:WORD_0 src1_sel:DWORD
	ds_read2_b32 v[124:125], v123 offset0:2 offset1:3
	ds_read2_b32 v[126:127], v126 offset1:1
	s_waitcnt lgkmcnt(1)
	v_ashrrev_i32_e32 v124, s21, v124
	s_waitcnt lgkmcnt(0)
	v_ashrrev_i32_e32 v126, s3, v126
	v_lshlrev_b32_e32 v126, 2, v126
	v_and_b32_e32 v131, 0x3030303, v124
	v_bfe_u32 v124, v124, 24, 2
	v_and_b32_e32 v126, 0x4040404, v126
	v_sub_u16_e32 v132, v131, v126
	v_sub_u16_sdwa v133, v131, v126 dst_sel:BYTE_1 dst_unused:UNUSED_PAD src0_sel:BYTE_1 src1_sel:BYTE_1
	v_sub_u16_sdwa v124, v124, v126 dst_sel:BYTE_1 dst_unused:UNUSED_PAD src0_sel:DWORD src1_sel:BYTE_3
	v_sub_u16_sdwa v126, v131, v126 dst_sel:DWORD dst_unused:UNUSED_PAD src0_sel:WORD_1 src1_sel:WORD_1
	v_or_b32_sdwa v132, v132, v133 dst_sel:DWORD dst_unused:UNUSED_PAD src0_sel:BYTE_0 src1_sel:DWORD
	v_or_b32_sdwa v124, v126, v124 dst_sel:WORD_1 dst_unused:UNUSED_PAD src0_sel:BYTE_0 src1_sel:DWORD
	v_ashrrev_i32_e32 v126, s3, v127
	v_or_b32_sdwa v131, v132, v124 dst_sel:DWORD dst_unused:UNUSED_PAD src0_sel:WORD_0 src1_sel:DWORD
	v_ashrrev_i32_e32 v124, s21, v125
	v_lshlrev_b32_e32 v126, 2, v126
	v_and_b32_e32 v125, 0x3030303, v124
	v_bfe_u32 v124, v124, 24, 2
	v_and_b32_e32 v126, 0x4040404, v126
	v_sub_u16_e32 v127, v125, v126
	v_sub_u16_sdwa v132, v125, v126 dst_sel:BYTE_1 dst_unused:UNUSED_PAD src0_sel:BYTE_1 src1_sel:BYTE_1
	v_sub_u16_sdwa v124, v124, v126 dst_sel:BYTE_1 dst_unused:UNUSED_PAD src0_sel:DWORD src1_sel:BYTE_3
	v_sub_u16_sdwa v125, v125, v126 dst_sel:DWORD dst_unused:UNUSED_PAD src0_sel:WORD_1 src1_sel:WORD_1
	v_or_b32_sdwa v127, v127, v132 dst_sel:DWORD dst_unused:UNUSED_PAD src0_sel:BYTE_0 src1_sel:DWORD
	v_or_b32_sdwa v124, v125, v124 dst_sel:WORD_1 dst_unused:UNUSED_PAD src0_sel:BYTE_0 src1_sel:DWORD
	v_add_u32_e32 v126, 0x4210, v129
	v_or_b32_sdwa v132, v127, v124 dst_sel:DWORD dst_unused:UNUSED_PAD src0_sel:WORD_0 src1_sel:DWORD
	ds_read2_b32 v[124:125], v123 offset0:4 offset1:5
	ds_read2_b32 v[126:127], v126 offset1:1
	s_waitcnt lgkmcnt(1)
	v_ashrrev_i32_e32 v124, s21, v124
	s_waitcnt lgkmcnt(0)
	v_ashrrev_i32_e32 v126, s3, v126
	v_lshlrev_b32_e32 v126, 2, v126
	v_and_b32_e32 v133, 0x3030303, v124
	v_bfe_u32 v124, v124, 24, 2
	v_and_b32_e32 v126, 0x4040404, v126
	v_sub_u16_e32 v134, v133, v126
	v_sub_u16_sdwa v135, v133, v126 dst_sel:BYTE_1 dst_unused:UNUSED_PAD src0_sel:BYTE_1 src1_sel:BYTE_1
	v_sub_u16_sdwa v124, v124, v126 dst_sel:BYTE_1 dst_unused:UNUSED_PAD src0_sel:DWORD src1_sel:BYTE_3
	v_sub_u16_sdwa v126, v133, v126 dst_sel:DWORD dst_unused:UNUSED_PAD src0_sel:WORD_1 src1_sel:WORD_1
	v_or_b32_sdwa v134, v134, v135 dst_sel:DWORD dst_unused:UNUSED_PAD src0_sel:BYTE_0 src1_sel:DWORD
	v_or_b32_sdwa v124, v126, v124 dst_sel:WORD_1 dst_unused:UNUSED_PAD src0_sel:BYTE_0 src1_sel:DWORD
	v_ashrrev_i32_e32 v126, s3, v127
	v_or_b32_sdwa v133, v134, v124 dst_sel:DWORD dst_unused:UNUSED_PAD src0_sel:WORD_0 src1_sel:DWORD
	v_ashrrev_i32_e32 v124, s21, v125
	v_lshlrev_b32_e32 v126, 2, v126
	v_and_b32_e32 v125, 0x3030303, v124
	v_bfe_u32 v124, v124, 24, 2
	v_and_b32_e32 v126, 0x4040404, v126
	v_sub_u16_e32 v127, v125, v126
	v_sub_u16_sdwa v134, v125, v126 dst_sel:BYTE_1 dst_unused:UNUSED_PAD src0_sel:BYTE_1 src1_sel:BYTE_1
	v_sub_u16_sdwa v124, v124, v126 dst_sel:BYTE_1 dst_unused:UNUSED_PAD src0_sel:DWORD src1_sel:BYTE_3
	v_sub_u16_sdwa v125, v125, v126 dst_sel:DWORD dst_unused:UNUSED_PAD src0_sel:WORD_1 src1_sel:WORD_1
	v_or_b32_sdwa v127, v127, v134 dst_sel:DWORD dst_unused:UNUSED_PAD src0_sel:BYTE_0 src1_sel:DWORD
	v_or_b32_sdwa v124, v125, v124 dst_sel:WORD_1 dst_unused:UNUSED_PAD src0_sel:BYTE_0 src1_sel:DWORD
	v_add_u32_e32 v126, 0x4218, v129
	v_or_b32_sdwa v134, v127, v124 dst_sel:DWORD dst_unused:UNUSED_PAD src0_sel:WORD_0 src1_sel:DWORD
	ds_read2_b32 v[124:125], v123 offset0:6 offset1:7
	ds_read2_b32 v[126:127], v126 offset1:1
	s_waitcnt lgkmcnt(1)
	v_ashrrev_i32_e32 v123, s21, v124
	s_waitcnt lgkmcnt(0)
	v_ashrrev_i32_e32 v126, s3, v126
	v_lshlrev_b32_e32 v126, 2, v126
	v_and_b32_e32 v124, 0x3030303, v123
	v_bfe_u32 v123, v123, 24, 2
	v_and_b32_e32 v126, 0x4040404, v126
	v_sub_u16_e32 v129, v124, v126
	v_sub_u16_sdwa v135, v124, v126 dst_sel:BYTE_1 dst_unused:UNUSED_PAD src0_sel:BYTE_1 src1_sel:BYTE_1
	v_sub_u16_sdwa v123, v123, v126 dst_sel:BYTE_1 dst_unused:UNUSED_PAD src0_sel:DWORD src1_sel:BYTE_3
	v_sub_u16_sdwa v124, v124, v126 dst_sel:DWORD dst_unused:UNUSED_PAD src0_sel:WORD_1 src1_sel:WORD_1
	v_ashrrev_i32_e32 v126, s3, v127
	v_or_b32_sdwa v123, v124, v123 dst_sel:WORD_1 dst_unused:UNUSED_PAD src0_sel:BYTE_0 src1_sel:DWORD
	v_ashrrev_i32_e32 v124, s21, v125
	v_lshlrev_b32_e32 v126, 2, v126
	v_or_b32_sdwa v129, v129, v135 dst_sel:DWORD dst_unused:UNUSED_PAD src0_sel:BYTE_0 src1_sel:DWORD
	v_and_b32_e32 v125, 0x3030303, v124
	v_bfe_u32 v124, v124, 24, 2
	v_and_b32_e32 v126, 0x4040404, v126
	v_or_b32_sdwa v123, v129, v123 dst_sel:DWORD dst_unused:UNUSED_PAD src0_sel:WORD_0 src1_sel:DWORD
	v_sub_u16_e32 v127, v125, v126
	v_sub_u16_sdwa v129, v125, v126 dst_sel:BYTE_1 dst_unused:UNUSED_PAD src0_sel:BYTE_1 src1_sel:BYTE_1
	v_sub_u16_sdwa v124, v124, v126 dst_sel:BYTE_1 dst_unused:UNUSED_PAD src0_sel:DWORD src1_sel:BYTE_3
	v_sub_u16_sdwa v125, v125, v126 dst_sel:DWORD dst_unused:UNUSED_PAD src0_sel:WORD_1 src1_sel:WORD_1
	v_or_b32_sdwa v127, v127, v129 dst_sel:DWORD dst_unused:UNUSED_PAD src0_sel:BYTE_0 src1_sel:DWORD
	v_or_b32_sdwa v124, v125, v124 dst_sel:WORD_1 dst_unused:UNUSED_PAD src0_sel:BYTE_0 src1_sel:DWORD
	v_or_b32_sdwa v124, v127, v124 dst_sel:DWORD dst_unused:UNUSED_PAD src0_sel:WORD_0 src1_sel:DWORD
	v_add_u32_e32 v125, s33, v100
	v_add_u32_e32 v126, s35, v86
	v_mov_b32_e32 v127, 0
	ds_read_b32 v126, v126
	v_dot4c_i32_i8_e32 v127, v128, v6
	ds_read_u16 v6, v125 offset:28402
	v_dot4c_i32_i8_e32 v127, v130, v7
	v_dot4c_i32_i8_e32 v127, v131, v8
	v_mov_b32_e32 v8, 0
	v_dot4c_i32_i8_e32 v8, v133, v2
	v_dot4c_i32_i8_e32 v8, v134, v3
	;; [unrolled: 1-line block ×3, first 2 shown]
	s_waitcnt lgkmcnt(0)
	v_lshrrev_b16_e32 v7, 8, v6
	v_bfe_i32 v6, v6, 0, 8
	v_dot4c_i32_i8_e32 v8, v123, v4
	v_mul_lo_u32 v6, v127, v6
	v_dot4c_i32_i8_e32 v8, v124, v5
	v_bfe_i32 v2, v7, 0, 8
	s_add_i32 s3, s3, 1
	s_cmp_lt_u32 s20, 30
	v_mad_u64_u32 v[2:3], s[34:35], v8, v2, v[6:7]
	v_cvt_f32_i32_e32 v2, v2
	v_mul_f32_e32 v3, v122, v126
	s_mov_b32 s33, s20
	v_fmac_f32_e32 v118, v3, v2
	s_cbranch_scc1 .LBB209_36
; %bb.37:                               ;   in Loop: Header=BB209_5 Depth=1
	s_barrier
	s_branch .LBB209_4
.LBB209_38:
	v_mov_b32_e32 v1, 0
	v_mov_b32_e32 v2, 0
	;; [unrolled: 1-line block ×3, first 2 shown]
	s_mul_i32 s0, s11, s8
	s_waitcnt vmcnt(0)
	v_cmp_gt_i32_e32 vcc, s0, v11
	s_and_saveexec_b64 s[0:1], vcc
	s_cbranch_execnz .LBB209_41
.LBB209_39:
	s_endpgm
.LBB209_40:
	v_cvt_f16_f32_e32 v5, v15
	v_cvt_f16_f32_e32 v2, v116
	;; [unrolled: 1-line block ×4, first 2 shown]
	s_mul_i32 s0, s11, s8
	v_cmp_gt_i32_e32 vcc, s0, v11
	s_and_saveexec_b64 s[0:1], vcc
	s_cbranch_execz .LBB209_39
.LBB209_41:
	v_and_b32_e32 v0, 0x3ff, v0
	v_add_u32_e32 v4, s22, v0
	v_mul_lo_u32 v0, v11, s10
	v_cmp_gt_u32_e32 vcc, s10, v4
	s_and_saveexec_b64 s[0:1], vcc
	s_cbranch_execz .LBB209_43
; %bb.42:
	v_add_u32_e32 v6, v0, v4
	v_mov_b32_e32 v7, 0
	v_lshlrev_b64 v[6:7], 1, v[6:7]
	v_mov_b32_e32 v8, s13
	v_add_co_u32_e32 v6, vcc, s12, v6
	v_addc_co_u32_e32 v7, vcc, v8, v7, vcc
	global_store_short v[6:7], v5, off
.LBB209_43:
	s_or_b64 exec, exec, s[0:1]
	v_add_u32_e32 v5, 32, v4
	v_cmp_gt_u32_e32 vcc, s10, v5
	s_and_saveexec_b64 s[0:1], vcc
	s_cbranch_execz .LBB209_45
; %bb.44:
	v_add_u32_e32 v6, v0, v5
	v_mov_b32_e32 v7, 0
	v_lshlrev_b64 v[6:7], 1, v[6:7]
	v_mov_b32_e32 v5, s13
	v_add_co_u32_e32 v6, vcc, s12, v6
	v_addc_co_u32_e32 v7, vcc, v5, v7, vcc
	global_store_short v[6:7], v2, off
.LBB209_45:
	s_or_b64 exec, exec, s[0:1]
	v_add_u32_e32 v2, 64, v4
	;; [unrolled: 14-line block ×3, first 2 shown]
	v_cmp_gt_u32_e32 vcc, s10, v1
	s_and_b64 exec, exec, vcc
	s_cbranch_execz .LBB209_39
; %bb.48:
	v_add_u32_e32 v0, v0, v1
	v_mov_b32_e32 v1, 0
	v_lshlrev_b64 v[0:1], 1, v[0:1]
	v_mov_b32_e32 v2, s13
	v_add_co_u32_e32 v0, vcc, s12, v0
	v_addc_co_u32_e32 v1, vcc, v2, v1, vcc
	global_store_short v[0:1], v3, off
	s_endpgm
	.section	.rodata,"a",@progbits
	.p2align	6, 0x0
	.amdhsa_kernel _ZL8moe_q3_KIN3c104HalfELb0EEvPKvS3_PT_PKiS7_S7_iiiiiii
		.amdhsa_group_segment_fixed_size 31776
		.amdhsa_private_segment_fixed_size 0
		.amdhsa_kernarg_size 76
		.amdhsa_user_sgpr_count 6
		.amdhsa_user_sgpr_private_segment_buffer 1
		.amdhsa_user_sgpr_dispatch_ptr 0
		.amdhsa_user_sgpr_queue_ptr 0
		.amdhsa_user_sgpr_kernarg_segment_ptr 1
		.amdhsa_user_sgpr_dispatch_id 0
		.amdhsa_user_sgpr_flat_scratch_init 0
		.amdhsa_user_sgpr_kernarg_preload_length 0
		.amdhsa_user_sgpr_kernarg_preload_offset 0
		.amdhsa_user_sgpr_private_segment_size 0
		.amdhsa_uses_dynamic_stack 0
		.amdhsa_system_sgpr_private_segment_wavefront_offset 0
		.amdhsa_system_sgpr_workgroup_id_x 1
		.amdhsa_system_sgpr_workgroup_id_y 1
		.amdhsa_system_sgpr_workgroup_id_z 0
		.amdhsa_system_sgpr_workgroup_info 0
		.amdhsa_system_vgpr_workitem_id 1
		.amdhsa_next_free_vgpr 150
		.amdhsa_next_free_sgpr 40
		.amdhsa_accum_offset 152
		.amdhsa_reserve_vcc 1
		.amdhsa_reserve_flat_scratch 0
		.amdhsa_float_round_mode_32 0
		.amdhsa_float_round_mode_16_64 0
		.amdhsa_float_denorm_mode_32 3
		.amdhsa_float_denorm_mode_16_64 3
		.amdhsa_dx10_clamp 1
		.amdhsa_ieee_mode 1
		.amdhsa_fp16_overflow 0
		.amdhsa_tg_split 0
		.amdhsa_exception_fp_ieee_invalid_op 0
		.amdhsa_exception_fp_denorm_src 0
		.amdhsa_exception_fp_ieee_div_zero 0
		.amdhsa_exception_fp_ieee_overflow 0
		.amdhsa_exception_fp_ieee_underflow 0
		.amdhsa_exception_fp_ieee_inexact 0
		.amdhsa_exception_int_div_zero 0
	.end_amdhsa_kernel
	.section	.text._ZL8moe_q3_KIN3c104HalfELb0EEvPKvS3_PT_PKiS7_S7_iiiiiii,"axG",@progbits,_ZL8moe_q3_KIN3c104HalfELb0EEvPKvS3_PT_PKiS7_S7_iiiiiii,comdat
.Lfunc_end209:
	.size	_ZL8moe_q3_KIN3c104HalfELb0EEvPKvS3_PT_PKiS7_S7_iiiiiii, .Lfunc_end209-_ZL8moe_q3_KIN3c104HalfELb0EEvPKvS3_PT_PKiS7_S7_iiiiiii
                                        ; -- End function
	.section	.AMDGPU.csdata,"",@progbits
; Kernel info:
; codeLenInByte = 20172
; NumSgprs: 44
; NumVgprs: 150
; NumAgprs: 0
; TotalNumVgprs: 150
; ScratchSize: 0
; MemoryBound: 0
; FloatMode: 240
; IeeeMode: 1
; LDSByteSize: 31776 bytes/workgroup (compile time only)
; SGPRBlocks: 5
; VGPRBlocks: 18
; NumSGPRsForWavesPerEU: 44
; NumVGPRsForWavesPerEU: 150
; AccumOffset: 152
; Occupancy: 2
; WaveLimiterHint : 1
; COMPUTE_PGM_RSRC2:SCRATCH_EN: 0
; COMPUTE_PGM_RSRC2:USER_SGPR: 6
; COMPUTE_PGM_RSRC2:TRAP_HANDLER: 0
; COMPUTE_PGM_RSRC2:TGID_X_EN: 1
; COMPUTE_PGM_RSRC2:TGID_Y_EN: 1
; COMPUTE_PGM_RSRC2:TGID_Z_EN: 0
; COMPUTE_PGM_RSRC2:TIDIG_COMP_CNT: 1
; COMPUTE_PGM_RSRC3_GFX90A:ACCUM_OFFSET: 37
; COMPUTE_PGM_RSRC3_GFX90A:TG_SPLIT: 0
	.section	.text._ZL8moe_q3_KIN3c104HalfELb1EEvPKvS3_PT_PKiS7_S7_iiiiiii,"axG",@progbits,_ZL8moe_q3_KIN3c104HalfELb1EEvPKvS3_PT_PKiS7_S7_iiiiiii,comdat
	.globl	_ZL8moe_q3_KIN3c104HalfELb1EEvPKvS3_PT_PKiS7_S7_iiiiiii ; -- Begin function _ZL8moe_q3_KIN3c104HalfELb1EEvPKvS3_PT_PKiS7_S7_iiiiiii
	.p2align	8
	.type	_ZL8moe_q3_KIN3c104HalfELb1EEvPKvS3_PT_PKiS7_S7_iiiiiii,@function
_ZL8moe_q3_KIN3c104HalfELb1EEvPKvS3_PT_PKiS7_S7_iiiiiii: ; @_ZL8moe_q3_KIN3c104HalfELb1EEvPKvS3_PT_PKiS7_S7_iiiiiii
; %bb.0:
	s_load_dwordx4 s[0:3], s[4:5], 0x18
	s_mov_b32 s8, s7
	s_mov_b32 s9, 0
	s_lshl_b64 s[10:11], s[8:9], 2
	s_waitcnt lgkmcnt(0)
	s_add_u32 s2, s2, s10
	s_addc_u32 s3, s3, s11
	s_load_dword s2, s[2:3], 0x0
	s_waitcnt lgkmcnt(0)
	s_cmpk_gt_u32 s2, 0xff
	s_cbranch_scc1 .LBB210_39
; %bb.1:
	s_load_dwordx2 s[10:11], s[4:5], 0x28
	s_lshl_b32 s3, s8, 3
	s_waitcnt lgkmcnt(0)
	s_load_dword s7, s[10:11], 0x0
	s_waitcnt lgkmcnt(0)
	s_cmp_gt_u32 s3, s7
	s_cbranch_scc1 .LBB210_39
; %bb.2:
	v_bfe_u32 v1, v0, 10, 10
	v_add_u32_e32 v2, s3, v1
	v_mov_b32_e32 v3, 0
	v_lshlrev_b64 v[4:5], 2, v[2:3]
	v_mov_b32_e32 v2, s1
	v_add_co_u32_e32 v4, vcc, s0, v4
	v_addc_co_u32_e32 v5, vcc, v2, v5, vcc
	global_load_dword v11, v[4:5], off
	s_load_dwordx8 s[8:15], s[4:5], 0x30
	s_load_dwordx2 s[16:17], s[4:5], 0x10
	s_waitcnt lgkmcnt(0)
	s_lshl_b32 s15, s6, 7
	s_mov_b32 s24, 0
	s_cmpk_lt_i32 s9, 0x100
	s_cbranch_scc1 .LBB210_38
; %bb.3:
	s_ashr_i32 s0, s9, 31
	s_lshr_b32 s0, s0, 24
	s_load_dwordx4 s[4:7], s[4:5], 0x0
	s_add_i32 s0, s9, s0
	s_ashr_i32 s25, s0, 8
	s_ashr_i32 s0, s12, 31
	s_lshr_b32 s0, s0, 27
	s_add_i32 s0, s12, s0
	s_mul_i32 s2, s2, s8
	s_ashr_i32 s12, s0, 5
	s_ashr_i32 s0, s2, 31
	s_waitcnt lgkmcnt(0)
	s_add_u32 s1, s4, s2
	s_mul_i32 s2, s25, s15
	s_addc_u32 s0, s5, s0
	s_mul_hi_i32 s3, s2, 0x6e
	s_mulk_i32 s2, 0x6e
	s_add_u32 s26, s1, s2
	s_addc_u32 s27, s0, s3
	s_not_b32 s1, s15
	s_add_i32 s1, s1, s10
	v_and_b32_e32 v13, 0x3ff, v0
	v_and_b32_e32 v3, 15, v13
	v_min_i32_e32 v4, s1, v1
	v_lshlrev_b32_e32 v2, 2, v13
	s_movk_i32 s0, 0x84
	v_mul_lo_u32 v14, v4, s25
	v_mad_u64_u32 v[16:17], s[2:3], v4, s0, v[2:3]
	v_add_u32_e32 v4, 8, v1
	v_min_i32_e32 v4, s1, v4
	v_mul_lo_u32 v18, v4, s25
	v_mad_u64_u32 v[20:21], s[2:3], v4, s0, v[2:3]
	v_add_u32_e32 v4, 16, v1
	v_min_i32_e32 v4, s1, v4
	;; [unrolled: 4-line block ×15, first 2 shown]
	v_mul_lo_u32 v74, v4, s25
	v_mad_u64_u32 v[76:77], s[2:3], v4, s0, v[2:3]
	v_lshlrev_b32_e32 v4, 4, v1
	v_lshrrev_b32_e32 v5, 1, v13
	v_add_u32_e32 v6, v5, v4
	v_and_b32_e32 v6, 0x7f, v6
	v_min_i32_e32 v6, s1, v6
	v_ashrrev_i32_e32 v7, 31, v6
	v_lshrrev_b32_e32 v7, 28, v7
	v_add_u32_e32 v7, v6, v7
	v_and_b32_e32 v78, 1, v13
	v_ashrrev_i32_e32 v7, 4, v7
	v_lshrrev_b32_e32 v10, 4, v13
	v_lshlrev_b32_e32 v7, 2, v7
	v_lshlrev_b32_e32 v8, 2, v78
	s_movk_i32 s2, 0x7380
	v_add3_u32 v7, v7, v8, s2
	v_lshl_add_u32 v8, v1, 1, v10
	v_min_i32_e32 v9, s1, v8
	v_lshrrev_b32_e32 v17, 31, v9
	v_add_lshl_u32 v17, v9, v17, 1
	v_lshlrev_b32_e32 v12, 2, v3
	v_and_b32_e32 v17, -4, v17
	s_movk_i32 s3, 0x4200
	v_add3_u32 v89, v17, v12, s3
	v_add_u32_e32 v17, 16, v8
	v_min_i32_e32 v17, s1, v17
	v_lshrrev_b32_e32 v19, 31, v17
	v_mul_lo_u32 v88, v17, s25
	v_add_lshl_u32 v19, v17, v19, 1
	v_lshlrev_b32_e32 v93, 6, v17
	v_add_u32_e32 v17, 32, v8
	v_and_b32_e32 v19, -4, v19
	v_min_i32_e32 v17, s1, v17
	v_add3_u32 v91, v19, v12, s3
	v_lshrrev_b32_e32 v19, 31, v17
	v_mul_lo_u32 v90, v17, s25
	v_add_lshl_u32 v19, v17, v19, 1
	v_lshlrev_b32_e32 v97, 6, v17
	v_add_u32_e32 v17, 48, v8
	v_and_b32_e32 v19, -4, v19
	v_min_i32_e32 v17, s1, v17
	v_add3_u32 v95, v19, v12, s3
	;; [unrolled: 8-line block ×4, first 2 shown]
	v_lshrrev_b32_e32 v19, 31, v17
	v_mul_lo_u32 v96, v17, s25
	v_add_lshl_u32 v19, v17, v19, 1
	v_lshlrev_b32_e32 v109, 6, v17
	v_add_u32_e32 v17, 0x60, v8
	v_and_b32_e32 v19, -4, v19
	v_min_i32_e32 v17, s1, v17
	v_add_u32_e32 v8, 0x70, v8
	v_add3_u32 v107, v19, v12, s3
	v_lshrrev_b32_e32 v19, 31, v17
	v_min_i32_e32 v8, s1, v8
	v_mul_lo_u32 v98, v17, s25
	v_add_lshl_u32 v19, v17, v19, 1
	v_lshlrev_b32_e32 v113, 6, v17
	v_lshrrev_b32_e32 v17, 31, v8
	v_cmp_lt_u32_e32 vcc, 7, v3
	v_and_b32_e32 v3, 7, v13
	v_add_lshl_u32 v17, v8, v17, 1
	v_cndmask_b32_e64 v82, 0, 1, vcc
	v_lshlrev_b32_e32 v84, 2, v3
	v_and_b32_e32 v19, -4, v19
	v_and_b32_e32 v17, -4, v17
	v_cmp_lt_u32_e32 vcc, 3, v3
	v_and_b32_e32 v3, 3, v13
	v_add3_u32 v111, v19, v12, s3
	v_add3_u32 v117, v17, v12, s3
	v_lshlrev_b32_e32 v25, 2, v1
	v_lshrrev_b32_e32 v17, 3, v13
	v_cndmask_b32_e64 v102, 0, 1, vcc
	v_add_u16_e32 v19, -2, v3
	v_cmp_gt_u32_e32 vcc, 2, v3
	v_add_u32_e32 v23, v17, v25
	v_cndmask_b32_e32 v21, v19, v3, vcc
	v_mov_b32_e32 v27, 2
	v_cmp_lt_u32_e32 vcc, 1, v3
	v_lshlrev_b32_sdwa v104, v27, v21 dst_sel:DWORD dst_unused:UNUSED_PAD src0_sel:DWORD src1_sel:BYTE_0
	v_lshlrev_b32_e32 v21, 1, v3
	v_min_i32_e32 v3, s1, v23
	v_ashrrev_i32_e32 v27, 31, v3
	v_lshrrev_b32_e32 v27, 30, v27
	v_add_u32_e32 v27, v3, v27
	v_and_b32_e32 v27, -4, v27
	s_movk_i32 s3, 0x6300
	v_add3_u32 v118, v27, v84, s3
	v_add_u32_e32 v27, 32, v23
	v_min_i32_e32 v27, s1, v27
	v_ashrrev_i32_e32 v29, 31, v27
	v_lshrrev_b32_e32 v29, 30, v29
	v_mul_lo_u32 v108, v27, s25
	v_add_u32_e32 v29, v27, v29
	v_lshlrev_b32_e32 v120, 5, v27
	v_add_u32_e32 v27, 64, v23
	v_and_b32_e32 v29, -4, v29
	v_min_i32_e32 v27, s1, v27
	v_add3_u32 v119, v29, v84, s3
	v_ashrrev_i32_e32 v29, 31, v27
	v_add_u32_e32 v23, 0x60, v23
	v_lshrrev_b32_e32 v29, 30, v29
	v_min_i32_e32 v23, s1, v23
	v_mul_lo_u32 v110, v27, s25
	v_add_u32_e32 v29, v27, v29
	v_lshlrev_b32_e32 v122, 5, v27
	v_ashrrev_i32_e32 v27, 31, v23
	v_lshrrev_b32_e32 v27, 30, v27
	v_and_b32_e32 v2, 28, v2
	v_cndmask_b32_e64 v19, 0, 1, vcc
	v_mul_lo_u32 v112, v23, s25
	v_add_u32_e32 v27, v23, v27
	v_lshlrev_b32_e32 v124, 5, v23
	v_and_b32_e32 v23, 31, v13
	v_add_co_u32_e32 v114, vcc, s6, v2
	v_lshlrev_b32_e32 v2, 7, v1
	v_lshl_or_b32 v1, v23, 2, v2
	v_add_u32_e32 v23, 0x77a0, v1
	v_or_b32_e32 v1, v25, v13
	v_mov_b32_e32 v25, 0x7ba0
	v_add_u32_e32 v63, 32, v13
	v_lshl_add_u32 v25, v1, 2, v25
	v_lshrrev_b32_e32 v1, 1, v63
	v_and_b32_e32 v29, -4, v29
	v_lshl_add_u32 v35, v63, 4, v1
	v_mov_b32_e32 v1, 0x1080
	v_add3_u32 v121, v29, v84, s3
	v_lshl_add_u32 v29, v13, 4, v5
	v_lshlrev_b32_e32 v5, 2, v10
	v_lshlrev_b32_e32 v33, 3, v13
	v_mad_u32_u24 v37, v13, s0, v1
	v_lshrrev_b32_e32 v1, 2, v63
	v_add3_u32 v33, v5, v33, s2
	v_and_b32_e32 v1, 0x7c, v1
	v_lshlrev_b32_e32 v5, 3, v63
	v_and_b32_e32 v27, -4, v27
	v_add_u32_e32 v61, 64, v13
	v_add3_u32 v39, v5, v1, s2
	v_mov_b32_e32 v1, 0x2100
	v_add3_u32 v123, v27, v84, s3
	v_mad_u32_u24 v43, v13, s0, v1
	v_lshrrev_b32_e32 v1, 2, v61
	s_abs_i32 s3, s14
	v_and_b32_e32 v1, 0x7c, v1
	v_lshlrev_b32_e32 v5, 3, v61
	v_cvt_f32_u32_e32 v57, s3
	v_add_u32_e32 v59, 0x60, v13
	v_add3_u32 v45, v5, v1, s2
	v_mov_b32_e32 v1, 0x3180
	v_mad_u32_u24 v49, v13, s0, v1
	v_lshrrev_b32_e32 v1, 2, v59
	v_and_b32_e32 v1, 0x7c, v1
	v_lshlrev_b32_e32 v5, 3, v59
	v_add3_u32 v51, v5, v1, s2
	v_rcp_iflag_f32_e32 v1, v57
	s_sub_i32 s0, 0, s3
	s_waitcnt vmcnt(0)
	v_sub_u32_e32 v65, 0, v11
	v_max_i32_e32 v65, v11, v65
	v_mul_f32_e32 v1, 0x4f7ffffe, v1
	v_cvt_u32_f32_e32 v1, v1
	v_xor_b32_e32 v5, s14, v11
	s_add_u32 s4, s6, 0x90
	v_ashrrev_i32_e32 v5, 31, v5
	v_mul_lo_u32 v67, s0, v1
	v_mul_hi_u32 v67, v1, v67
	v_add_u32_e32 v1, v1, v67
	v_mul_hi_u32 v1, v65, v1
	v_mul_lo_u32 v67, v1, s3
	v_sub_u32_e32 v65, v65, v67
	v_add_u32_e32 v67, 1, v1
	v_cmp_le_u32_e64 s[0:1], s3, v65
	v_cndmask_b32_e64 v1, v1, v67, s[0:1]
	v_subrev_u32_e32 v67, s3, v65
	v_cndmask_b32_e64 v65, v65, v67, s[0:1]
	v_add_u32_e32 v67, 1, v1
	v_cmp_le_u32_e64 s[0:1], s3, v65
	v_cndmask_b32_e64 v1, v1, v67, s[0:1]
	s_addc_u32 s5, s7, 0
	v_xor_b32_e32 v1, v1, v5
	s_add_u32 s18, s6, 0x120
	v_mov_b32_e32 v27, s7
	v_lshrrev_b32_e32 v41, 1, v61
	v_lshrrev_b32_e32 v47, 1, v59
	v_sub_u32_e32 v1, v1, v5
	s_addc_u32 s19, s7, 0
	v_mul_lo_u32 v80, v6, s25
	v_lshlrev_b32_e32 v6, 3, v6
	v_mul_lo_u32 v86, v9, s25
	v_lshlrev_b32_e32 v9, 6, v9
	;; [unrolled: 2-line block ×4, first 2 shown]
	v_addc_co_u32_e32 v115, vcc, 0, v27, vcc
	v_lshlrev_b32_e32 v27, 5, v13
	v_lshl_add_u32 v41, v61, 4, v41
	v_lshl_add_u32 v47, v59, 4, v47
	v_lshrrev_b32_e32 v53, 3, v63
	v_lshrrev_b32_e32 v55, 3, v61
	;; [unrolled: 1-line block ×3, first 2 shown]
	v_mul_lo_u32 v116, v1, s12
	s_add_u32 s20, s6, 0x1b0
	v_and_b32_e32 v59, 0x1fc, v59
	v_and_b32_e32 v61, 0x1fc, v61
	;; [unrolled: 1-line block ×4, first 2 shown]
	s_movk_i32 s8, 0x6e
	v_mov_b32_e32 v15, 0
	s_movk_i32 s10, 0x60
	v_lshlrev_b32_e32 v19, 2, v19
	v_cmp_gt_u32_e32 vcc, 4, v13
	v_mul_u32_u24_e32 v31, 0x84, v13
	v_cmp_gt_i32_e64 s[0:1], s11, v1
	v_ashrrev_i32_e32 v1, 31, v116
	s_addc_u32 s21, s7, 0
	v_add_u32_e32 v67, 0x77a0, v2
	v_add_u32_e32 v69, 0x7ba0, v4
	;; [unrolled: 1-line block ×19, first 2 shown]
	s_mov_b32 s28, 0x30303030
	s_movk_i32 s29, 0x3f00
	s_movk_i32 s30, 0xe000
	v_add_u32_e32 v105, v118, v3
	v_add_u32_e32 v107, v119, v120
	;; [unrolled: 1-line block ×4, first 2 shown]
	v_mov_b32_e32 v119, 8
	v_mov_b32_e32 v113, 0
	;; [unrolled: 1-line block ×4, first 2 shown]
	s_branch .LBB210_5
.LBB210_4:                              ;   in Loop: Header=BB210_5 Depth=1
	s_add_i32 s24, s24, 2
	s_cmp_ge_i32 s24, s25
	s_cbranch_scc1 .LBB210_40
.LBB210_5:                              ; =>This Loop Header: Depth=1
                                        ;     Child Loop BB210_12 Depth 2
                                        ;     Child Loop BB210_20 Depth 2
	;; [unrolled: 1-line block ×4, first 2 shown]
	s_mul_i32 s2, s24, 0x6e
	s_mul_hi_u32 s3, s24, 0x6e
	s_add_u32 s2, s26, s2
	s_addc_u32 s3, s27, s3
	v_pk_mov_b32 v[2:3], s[2:3], s[2:3] op_sel:[0,1]
	v_mad_u64_u32 v[4:5], s[2:3], v10, s8, v[2:3]
	v_add_co_u32_e64 v4, s[2:3], v4, v12
	v_addc_co_u32_e64 v5, s[2:3], 0, v5, s[2:3]
	v_add_co_u32_e64 v4, s[2:3], 32, v4
	v_addc_co_u32_e64 v5, s[2:3], 0, v5, s[2:3]
	v_mad_i64_i32 v[6:7], s[2:3], v14, s8, v[4:5]
	v_mad_i64_i32 v[8:9], s[2:3], v18, s8, v[4:5]
	;; [unrolled: 1-line block ×8, first 2 shown]
	global_load_dword v132, v[6:7], off
	global_load_dword v133, v[8:9], off
	;; [unrolled: 1-line block ×8, first 2 shown]
	v_mad_i64_i32 v[6:7], s[2:3], v46, s8, v[4:5]
	v_mad_i64_i32 v[8:9], s[2:3], v50, s8, v[4:5]
	;; [unrolled: 1-line block ×8, first 2 shown]
	global_load_dword v140, v[6:7], off
	global_load_dword v141, v[8:9], off
	;; [unrolled: 1-line block ×8, first 2 shown]
	v_mad_i64_i32 v[4:5], s[2:3], v80, s8, v[2:3]
	v_mad_u64_u32 v[4:5], s[2:3], v78, s8, v[4:5]
	v_mad_u64_u32 v[6:7], s[2:3], v82, s8, v[2:3]
	v_add_co_u32_e64 v6, s[2:3], v6, v84
	v_addc_co_u32_e64 v7, s[2:3], 0, v7, s[2:3]
	v_mad_i64_i32 v[120:121], s[2:3], v88, s8, v[6:7]
	v_mad_i64_i32 v[122:123], s[2:3], v90, s8, v[6:7]
	;; [unrolled: 1-line block ×7, first 2 shown]
	global_load_ushort v148, v[4:5], off offset:108
	global_load_dword v149, v[8:9], off
	s_nop 0
	global_load_dword v120, v[120:121], off
	s_nop 0
	;; [unrolled: 2-line block ×3, first 2 shown]
	global_load_dword v122, v[124:125], off
	global_load_dword v123, v[126:127], off
	s_nop 0
	global_load_dword v124, v[128:129], off
	global_load_dword v125, v[130:131], off
	v_mad_i64_i32 v[4:5], s[2:3], v100, s8, v[6:7]
	v_mad_u64_u32 v[2:3], s[2:3], v102, s8, v[2:3]
	v_add_co_u32_e64 v2, s[2:3], s10, v2
	v_addc_co_u32_e64 v3, s[2:3], 0, v3, s[2:3]
	global_load_dword v126, v[4:5], off
	v_mad_i64_i32 v[4:5], s[2:3], v106, s8, v[2:3]
	v_add_co_u32_e64 v6, s[2:3], v4, v104
	v_addc_co_u32_e64 v7, s[2:3], 0, v5, s[2:3]
	global_load_dword v127, v[6:7], off
	v_mad_i64_i32 v[6:7], s[2:3], v108, s8, v[2:3]
	v_mad_i64_i32 v[8:9], s[2:3], v110, s8, v[2:3]
	;; [unrolled: 1-line block ×3, first 2 shown]
	global_load_dword v128, v[2:3], off offset:8
	global_load_dword v129, v[8:9], off offset:8
	;; [unrolled: 1-line block ×4, first 2 shown]
	v_add_co_u32_e64 v4, s[2:3], v6, v104
	v_addc_co_u32_e64 v5, s[2:3], 0, v7, s[2:3]
	global_load_dword v6, v[4:5], off
	v_add_co_u32_e64 v4, s[2:3], v8, v104
	v_addc_co_u32_e64 v5, s[2:3], 0, v9, s[2:3]
	global_load_dword v4, v[4:5], off
	v_add_co_u32_e64 v2, s[2:3], v2, v104
	s_waitcnt vmcnt(31)
	ds_write_b32 v16, v132
	s_waitcnt vmcnt(30)
	ds_write_b32 v20, v133
	;; [unrolled: 2-line block ×6, first 2 shown]
	v_addc_co_u32_e64 v3, s[2:3], 0, v3, s[2:3]
	global_load_dword v2, v[2:3], off
	s_waitcnt vmcnt(26)
	ds_write_b32 v40, v138
	s_waitcnt vmcnt(25)
	ds_write_b32 v44, v139
	;; [unrolled: 2-line block ×7, first 2 shown]
	s_lshl_b32 s33, s24, 8
	s_cmp_lt_i32 s33, s9
	s_waitcnt vmcnt(16)
	v_cvt_f32_f16_e32 v3, v148
	ds_write_b32 v68, v145
	ds_write_b32 v72, v146
	;; [unrolled: 1-line block ×4, first 2 shown]
	s_waitcnt vmcnt(15)
	v_not_b32_e32 v3, v149
	ds_write_b32 v89, v3
	s_waitcnt vmcnt(14)
	v_not_b32_e32 v3, v120
	ds_write_b32 v91, v3
	;; [unrolled: 3-line block ×8, first 2 shown]
	s_waitcnt vmcnt(7)
	v_ashrrev_i32_e32 v3, v19, v127
	v_and_b32_e32 v3, 0xf0f0f0f, v3
	s_waitcnt vmcnt(3)
	v_ashrrev_i32_e32 v5, v21, v131
	v_lshlrev_b32_e32 v5, 4, v5
	v_and_or_b32 v3, v5, s28, v3
	v_lshlrev_b16_e32 v7, 8, v3
	v_and_b32_e32 v5, 0x3f00, v3
	v_add_u16_e32 v7, 0xe000, v7
	v_or_b32_sdwa v5, v5, v7 dst_sel:DWORD dst_unused:UNUSED_PAD src0_sel:DWORD src1_sel:BYTE_1
	v_and_b32_sdwa v7, v3, s29 dst_sel:DWORD dst_unused:UNUSED_PAD src0_sel:WORD_1 src1_sel:DWORD
	v_lshlrev_b16_sdwa v3, v119, v3 dst_sel:DWORD dst_unused:UNUSED_PAD src0_sel:DWORD src1_sel:WORD_1
	v_add_u16_e32 v3, 0xe000, v3
	v_or_b32_sdwa v3, v7, v3 dst_sel:DWORD dst_unused:UNUSED_PAD src0_sel:DWORD src1_sel:BYTE_1
	v_add_u16_e32 v5, 0xe000, v5
	v_add_u16_sdwa v3, v3, s30 dst_sel:WORD_1 dst_unused:UNUSED_PAD src0_sel:DWORD src1_sel:DWORD
	v_or_b32_e32 v3, v5, v3
	ds_write_b32 v105, v3
	s_waitcnt vmcnt(2)
	v_ashrrev_i32_e32 v3, v19, v6
	v_ashrrev_i32_e32 v5, v21, v130
	v_and_b32_e32 v3, 0xf0f0f0f, v3
	v_lshlrev_b32_e32 v5, 4, v5
	v_and_or_b32 v3, v5, s28, v3
	v_lshlrev_b16_e32 v6, 8, v3
	v_and_b32_e32 v5, 0x3f00, v3
	v_add_u16_e32 v6, 0xe000, v6
	v_or_b32_sdwa v5, v5, v6 dst_sel:DWORD dst_unused:UNUSED_PAD src0_sel:DWORD src1_sel:BYTE_1
	v_and_b32_sdwa v6, v3, s29 dst_sel:DWORD dst_unused:UNUSED_PAD src0_sel:WORD_1 src1_sel:DWORD
	v_lshlrev_b16_sdwa v3, v119, v3 dst_sel:DWORD dst_unused:UNUSED_PAD src0_sel:DWORD src1_sel:WORD_1
	v_add_u16_e32 v3, 0xe000, v3
	v_or_b32_sdwa v3, v6, v3 dst_sel:DWORD dst_unused:UNUSED_PAD src0_sel:DWORD src1_sel:BYTE_1
	v_add_u16_e32 v5, 0xe000, v5
	v_add_u16_sdwa v3, v3, s30 dst_sel:WORD_1 dst_unused:UNUSED_PAD src0_sel:DWORD src1_sel:DWORD
	v_or_b32_e32 v3, v5, v3
	ds_write_b32 v107, v3
	s_waitcnt vmcnt(1)
	v_ashrrev_i32_e32 v3, v19, v4
	v_ashrrev_i32_e32 v4, v21, v129
	v_and_b32_e32 v3, 0xf0f0f0f, v3
	;; [unrolled: 18-line block ×3, first 2 shown]
	v_lshlrev_b32_e32 v3, 4, v3
	v_and_or_b32 v2, v3, s28, v2
	v_lshlrev_b16_e32 v4, 8, v2
	v_and_b32_e32 v3, 0x3f00, v2
	v_add_u16_e32 v4, 0xe000, v4
	v_or_b32_sdwa v3, v3, v4 dst_sel:DWORD dst_unused:UNUSED_PAD src0_sel:DWORD src1_sel:BYTE_1
	v_and_b32_sdwa v4, v2, s29 dst_sel:DWORD dst_unused:UNUSED_PAD src0_sel:WORD_1 src1_sel:DWORD
	v_lshlrev_b16_sdwa v2, v119, v2 dst_sel:DWORD dst_unused:UNUSED_PAD src0_sel:DWORD src1_sel:WORD_1
	v_add_u16_e32 v2, 0xe000, v2
	v_or_b32_sdwa v2, v4, v2 dst_sel:DWORD dst_unused:UNUSED_PAD src0_sel:DWORD src1_sel:BYTE_1
	v_add_u16_e32 v3, 0xe000, v3
	v_add_u16_sdwa v2, v2, s30 dst_sel:WORD_1 dst_unused:UNUSED_PAD src0_sel:DWORD src1_sel:DWORD
	v_or_b32_e32 v2, v3, v2
	ds_write_b32 v111, v2
	s_cbranch_scc0 .LBB210_4
; %bb.6:                                ;   in Loop: Header=BB210_5 Depth=1
	s_lshl_b32 s31, s24, 3
	v_add_u32_e32 v2, s31, v17
	v_cmp_gt_i32_e64 s[2:3], s12, v2
	s_and_b64 s[22:23], s[0:1], s[2:3]
	s_and_saveexec_b64 s[2:3], s[22:23]
	s_cbranch_execz .LBB210_8
; %bb.7:                                ;   in Loop: Header=BB210_5 Depth=1
	v_add_u32_e32 v2, v116, v2
	v_mad_i64_i32 v[2:3], s[22:23], v2, 36, v[114:115]
	global_load_dword v2, v[2:3], off offset:4
	s_waitcnt vmcnt(0)
	ds_write_b32 v23, v2
.LBB210_8:                              ;   in Loop: Header=BB210_5 Depth=1
	s_or_b64 exec, exec, s[2:3]
	s_and_saveexec_b64 s[22:23], vcc
	s_cbranch_execz .LBB210_11
; %bb.9:                                ;   in Loop: Header=BB210_5 Depth=1
	v_or_b32_e32 v2, s31, v13
	v_cmp_gt_i32_e64 s[2:3], s12, v2
	s_and_b64 s[2:3], s[0:1], s[2:3]
	s_and_b64 exec, exec, s[2:3]
	s_cbranch_execz .LBB210_11
; %bb.10:                               ;   in Loop: Header=BB210_5 Depth=1
	v_add_u32_e32 v2, v116, v2
	v_mad_i64_i32 v[2:3], s[2:3], v2, 36, s[6:7]
	global_load_dword v2, v[2:3], off
	s_waitcnt vmcnt(0)
	v_cvt_f32_f16_e32 v2, v2
	ds_write_b32 v25, v2
.LBB210_11:                             ;   in Loop: Header=BB210_5 Depth=1
	s_or_b64 exec, exec, s[22:23]
	s_mov_b32 s22, -2
	s_mov_b32 s2, 0
	v_mov_b32_e32 v120, v69
	v_mov_b32_e32 v121, v67
	s_mov_b32 s3, 0
	s_waitcnt lgkmcnt(0)
	s_barrier
.LBB210_12:                             ;   Parent Loop BB210_5 Depth=1
                                        ; =>  This Inner Loop Header: Depth=2
	s_and_b32 s23, s3, -16
	v_add_u32_e32 v123, s23, v27
	s_add_i32 s23, s22, 2
	s_lshr_b32 s36, s23, 4
	s_and_b32 s35, s23, 0x3ffffff8
	s_lshl_b32 s34, s36, 3
	s_lshl_b32 s35, s35, 2
	v_add_lshl_u32 v130, v29, s34, 2
	v_add_u32_e32 v128, s35, v31
	v_add_u32_e32 v126, 0x4200, v130
	ds_read_b32 v122, v120
	ds_read_b128 v[6:9], v121
	ds_read_b128 v[2:5], v121 offset:16
	ds_read2_b32 v[124:125], v128 offset1:1
	ds_read2_b32 v[126:127], v126 offset1:1
	s_lshl_b32 s36, s36, 2
	s_add_i32 s3, s3, 2
	v_add_u32_e32 v121, 32, v121
	s_waitcnt lgkmcnt(1)
	v_ashrrev_i32_e32 v124, s23, v124
	s_waitcnt lgkmcnt(0)
	v_ashrrev_i32_e32 v126, s2, v126
	v_lshlrev_b32_e32 v126, 2, v126
	v_and_b32_e32 v129, 0x3030303, v124
	v_bfe_u32 v124, v124, 24, 2
	v_and_b32_e32 v126, 0x4040404, v126
	v_sub_u16_e32 v131, v129, v126
	v_sub_u16_sdwa v132, v129, v126 dst_sel:BYTE_1 dst_unused:UNUSED_PAD src0_sel:BYTE_1 src1_sel:BYTE_1
	v_sub_u16_sdwa v124, v124, v126 dst_sel:BYTE_1 dst_unused:UNUSED_PAD src0_sel:DWORD src1_sel:BYTE_3
	v_sub_u16_sdwa v126, v129, v126 dst_sel:DWORD dst_unused:UNUSED_PAD src0_sel:WORD_1 src1_sel:WORD_1
	v_or_b32_sdwa v131, v131, v132 dst_sel:DWORD dst_unused:UNUSED_PAD src0_sel:BYTE_0 src1_sel:DWORD
	v_or_b32_sdwa v124, v126, v124 dst_sel:WORD_1 dst_unused:UNUSED_PAD src0_sel:BYTE_0 src1_sel:DWORD
	v_ashrrev_i32_e32 v126, s2, v127
	v_or_b32_sdwa v129, v131, v124 dst_sel:DWORD dst_unused:UNUSED_PAD src0_sel:WORD_0 src1_sel:DWORD
	v_ashrrev_i32_e32 v124, s23, v125
	v_lshlrev_b32_e32 v126, 2, v126
	v_and_b32_e32 v125, 0x3030303, v124
	v_bfe_u32 v124, v124, 24, 2
	v_and_b32_e32 v126, 0x4040404, v126
	v_sub_u16_e32 v127, v125, v126
	v_sub_u16_sdwa v131, v125, v126 dst_sel:BYTE_1 dst_unused:UNUSED_PAD src0_sel:BYTE_1 src1_sel:BYTE_1
	v_sub_u16_sdwa v124, v124, v126 dst_sel:BYTE_1 dst_unused:UNUSED_PAD src0_sel:DWORD src1_sel:BYTE_3
	v_sub_u16_sdwa v125, v125, v126 dst_sel:DWORD dst_unused:UNUSED_PAD src0_sel:WORD_1 src1_sel:WORD_1
	v_or_b32_sdwa v127, v127, v131 dst_sel:DWORD dst_unused:UNUSED_PAD src0_sel:BYTE_0 src1_sel:DWORD
	v_or_b32_sdwa v124, v125, v124 dst_sel:WORD_1 dst_unused:UNUSED_PAD src0_sel:BYTE_0 src1_sel:DWORD
	v_add_u32_e32 v126, 0x4208, v130
	v_or_b32_sdwa v131, v127, v124 dst_sel:DWORD dst_unused:UNUSED_PAD src0_sel:WORD_0 src1_sel:DWORD
	ds_read2_b32 v[124:125], v128 offset0:2 offset1:3
	ds_read2_b32 v[126:127], v126 offset1:1
	v_add_u32_e32 v120, 4, v120
	s_waitcnt lgkmcnt(1)
	v_ashrrev_i32_e32 v124, s23, v124
	s_waitcnt lgkmcnt(0)
	v_ashrrev_i32_e32 v126, s2, v126
	v_lshlrev_b32_e32 v126, 2, v126
	v_and_b32_e32 v132, 0x3030303, v124
	v_bfe_u32 v124, v124, 24, 2
	v_and_b32_e32 v126, 0x4040404, v126
	v_sub_u16_e32 v133, v132, v126
	v_sub_u16_sdwa v134, v132, v126 dst_sel:BYTE_1 dst_unused:UNUSED_PAD src0_sel:BYTE_1 src1_sel:BYTE_1
	v_sub_u16_sdwa v124, v124, v126 dst_sel:BYTE_1 dst_unused:UNUSED_PAD src0_sel:DWORD src1_sel:BYTE_3
	v_sub_u16_sdwa v126, v132, v126 dst_sel:DWORD dst_unused:UNUSED_PAD src0_sel:WORD_1 src1_sel:WORD_1
	v_or_b32_sdwa v133, v133, v134 dst_sel:DWORD dst_unused:UNUSED_PAD src0_sel:BYTE_0 src1_sel:DWORD
	v_or_b32_sdwa v124, v126, v124 dst_sel:WORD_1 dst_unused:UNUSED_PAD src0_sel:BYTE_0 src1_sel:DWORD
	v_ashrrev_i32_e32 v126, s2, v127
	v_or_b32_sdwa v132, v133, v124 dst_sel:DWORD dst_unused:UNUSED_PAD src0_sel:WORD_0 src1_sel:DWORD
	v_ashrrev_i32_e32 v124, s23, v125
	v_lshlrev_b32_e32 v126, 2, v126
	v_and_b32_e32 v125, 0x3030303, v124
	v_bfe_u32 v124, v124, 24, 2
	v_and_b32_e32 v126, 0x4040404, v126
	v_sub_u16_e32 v127, v125, v126
	v_sub_u16_sdwa v133, v125, v126 dst_sel:BYTE_1 dst_unused:UNUSED_PAD src0_sel:BYTE_1 src1_sel:BYTE_1
	v_sub_u16_sdwa v124, v124, v126 dst_sel:BYTE_1 dst_unused:UNUSED_PAD src0_sel:DWORD src1_sel:BYTE_3
	v_sub_u16_sdwa v125, v125, v126 dst_sel:DWORD dst_unused:UNUSED_PAD src0_sel:WORD_1 src1_sel:WORD_1
	v_or_b32_sdwa v127, v127, v133 dst_sel:DWORD dst_unused:UNUSED_PAD src0_sel:BYTE_0 src1_sel:DWORD
	v_or_b32_sdwa v124, v125, v124 dst_sel:WORD_1 dst_unused:UNUSED_PAD src0_sel:BYTE_0 src1_sel:DWORD
	v_add_u32_e32 v126, 0x4210, v130
	v_or_b32_sdwa v133, v127, v124 dst_sel:DWORD dst_unused:UNUSED_PAD src0_sel:WORD_0 src1_sel:DWORD
	ds_read2_b32 v[124:125], v128 offset0:4 offset1:5
	ds_read2_b32 v[126:127], v126 offset1:1
	s_waitcnt lgkmcnt(1)
	v_ashrrev_i32_e32 v124, s23, v124
	s_waitcnt lgkmcnt(0)
	v_ashrrev_i32_e32 v126, s2, v126
	v_lshlrev_b32_e32 v126, 2, v126
	v_and_b32_e32 v134, 0x3030303, v124
	v_bfe_u32 v124, v124, 24, 2
	v_and_b32_e32 v126, 0x4040404, v126
	v_sub_u16_e32 v135, v134, v126
	v_sub_u16_sdwa v136, v134, v126 dst_sel:BYTE_1 dst_unused:UNUSED_PAD src0_sel:BYTE_1 src1_sel:BYTE_1
	v_sub_u16_sdwa v124, v124, v126 dst_sel:BYTE_1 dst_unused:UNUSED_PAD src0_sel:DWORD src1_sel:BYTE_3
	v_sub_u16_sdwa v126, v134, v126 dst_sel:DWORD dst_unused:UNUSED_PAD src0_sel:WORD_1 src1_sel:WORD_1
	v_or_b32_sdwa v135, v135, v136 dst_sel:DWORD dst_unused:UNUSED_PAD src0_sel:BYTE_0 src1_sel:DWORD
	v_or_b32_sdwa v124, v126, v124 dst_sel:WORD_1 dst_unused:UNUSED_PAD src0_sel:BYTE_0 src1_sel:DWORD
	v_ashrrev_i32_e32 v126, s2, v127
	v_or_b32_sdwa v134, v135, v124 dst_sel:DWORD dst_unused:UNUSED_PAD src0_sel:WORD_0 src1_sel:DWORD
	v_ashrrev_i32_e32 v124, s23, v125
	v_lshlrev_b32_e32 v126, 2, v126
	v_and_b32_e32 v125, 0x3030303, v124
	v_bfe_u32 v124, v124, 24, 2
	v_and_b32_e32 v126, 0x4040404, v126
	v_sub_u16_e32 v127, v125, v126
	v_sub_u16_sdwa v135, v125, v126 dst_sel:BYTE_1 dst_unused:UNUSED_PAD src0_sel:BYTE_1 src1_sel:BYTE_1
	v_sub_u16_sdwa v124, v124, v126 dst_sel:BYTE_1 dst_unused:UNUSED_PAD src0_sel:DWORD src1_sel:BYTE_3
	v_sub_u16_sdwa v125, v125, v126 dst_sel:DWORD dst_unused:UNUSED_PAD src0_sel:WORD_1 src1_sel:WORD_1
	v_or_b32_sdwa v127, v127, v135 dst_sel:DWORD dst_unused:UNUSED_PAD src0_sel:BYTE_0 src1_sel:DWORD
	v_or_b32_sdwa v124, v125, v124 dst_sel:WORD_1 dst_unused:UNUSED_PAD src0_sel:BYTE_0 src1_sel:DWORD
	v_add_u32_e32 v126, 0x4218, v130
	v_or_b32_sdwa v135, v127, v124 dst_sel:DWORD dst_unused:UNUSED_PAD src0_sel:WORD_0 src1_sel:DWORD
	ds_read2_b32 v[124:125], v128 offset0:6 offset1:7
	ds_read2_b32 v[126:127], v126 offset1:1
	s_waitcnt lgkmcnt(1)
	v_ashrrev_i32_e32 v124, s23, v124
	s_waitcnt lgkmcnt(0)
	v_ashrrev_i32_e32 v126, s2, v126
	v_lshlrev_b32_e32 v126, 2, v126
	v_and_b32_e32 v128, 0x3030303, v124
	v_bfe_u32 v124, v124, 24, 2
	v_and_b32_e32 v126, 0x4040404, v126
	v_sub_u16_e32 v130, v128, v126
	v_sub_u16_sdwa v136, v128, v126 dst_sel:BYTE_1 dst_unused:UNUSED_PAD src0_sel:BYTE_1 src1_sel:BYTE_1
	v_sub_u16_sdwa v124, v124, v126 dst_sel:BYTE_1 dst_unused:UNUSED_PAD src0_sel:DWORD src1_sel:BYTE_3
	v_sub_u16_sdwa v126, v128, v126 dst_sel:DWORD dst_unused:UNUSED_PAD src0_sel:WORD_1 src1_sel:WORD_1
	v_or_b32_sdwa v130, v130, v136 dst_sel:DWORD dst_unused:UNUSED_PAD src0_sel:BYTE_0 src1_sel:DWORD
	v_or_b32_sdwa v124, v126, v124 dst_sel:WORD_1 dst_unused:UNUSED_PAD src0_sel:BYTE_0 src1_sel:DWORD
	v_ashrrev_i32_e32 v127, s2, v127
	v_or_b32_sdwa v126, v130, v124 dst_sel:DWORD dst_unused:UNUSED_PAD src0_sel:WORD_0 src1_sel:DWORD
	v_ashrrev_i32_e32 v124, s23, v125
	v_lshlrev_b32_e32 v127, 2, v127
	v_and_b32_e32 v125, 0x3030303, v124
	v_bfe_u32 v124, v124, 24, 2
	v_and_b32_e32 v127, 0x4040404, v127
	v_sub_u16_e32 v128, v125, v127
	v_sub_u16_sdwa v130, v125, v127 dst_sel:BYTE_1 dst_unused:UNUSED_PAD src0_sel:BYTE_1 src1_sel:BYTE_1
	v_sub_u16_sdwa v124, v124, v127 dst_sel:BYTE_1 dst_unused:UNUSED_PAD src0_sel:DWORD src1_sel:BYTE_3
	v_sub_u16_sdwa v125, v125, v127 dst_sel:DWORD dst_unused:UNUSED_PAD src0_sel:WORD_1 src1_sel:WORD_1
	v_or_b32_sdwa v128, v128, v130 dst_sel:DWORD dst_unused:UNUSED_PAD src0_sel:BYTE_0 src1_sel:DWORD
	v_or_b32_sdwa v124, v125, v124 dst_sel:WORD_1 dst_unused:UNUSED_PAD src0_sel:BYTE_0 src1_sel:DWORD
	v_or_b32_sdwa v125, v128, v124 dst_sel:DWORD dst_unused:UNUSED_PAD src0_sel:WORD_0 src1_sel:DWORD
	v_add3_u32 v124, v65, s22, v123
	v_add_u32_e32 v127, s36, v33
	ds_read_b32 v127, v127
	ds_read_u16 v124, v124 offset:25346
	v_mov_b32_e32 v128, 0
	v_dot4c_i32_i8_e32 v128, v129, v6
	v_dot4c_i32_i8_e32 v128, v131, v7
	;; [unrolled: 1-line block ×4, first 2 shown]
	s_waitcnt lgkmcnt(0)
	v_lshrrev_b16_e32 v129, 8, v124
	v_bfe_i32 v124, v124, 0, 8
	v_add_lshl_u32 v130, v35, s34, 2
	v_mul_lo_u32 v124, v128, v124
	v_mov_b32_e32 v128, 0
	v_dot4c_i32_i8_e32 v128, v134, v2
	v_dot4c_i32_i8_e32 v128, v135, v3
	;; [unrolled: 1-line block ×4, first 2 shown]
	v_bfe_i32 v125, v129, 0, 8
	v_add_u32_e32 v126, 0x4200, v130
	s_nop 0
	v_mad_u64_u32 v[124:125], s[38:39], v128, v125, v[124:125]
	v_cvt_f32_i32_e32 v124, v124
	v_mul_f32_e32 v125, v122, v127
	v_add_u32_e32 v128, s35, v37
	ds_read2_b32 v[126:127], v126 offset1:1
	v_fmac_f32_e32 v15, v125, v124
	ds_read2_b32 v[124:125], v128 offset1:1
	s_waitcnt lgkmcnt(1)
	v_ashrrev_i32_e32 v126, s2, v126
	v_lshlrev_b32_e32 v126, 2, v126
	s_waitcnt lgkmcnt(0)
	v_ashrrev_i32_e32 v124, s23, v124
	v_and_b32_e32 v129, 0x3030303, v124
	v_bfe_u32 v124, v124, 24, 2
	v_and_b32_e32 v126, 0x4040404, v126
	v_sub_u16_e32 v131, v129, v126
	v_sub_u16_sdwa v132, v129, v126 dst_sel:BYTE_1 dst_unused:UNUSED_PAD src0_sel:BYTE_1 src1_sel:BYTE_1
	v_sub_u16_sdwa v124, v124, v126 dst_sel:BYTE_1 dst_unused:UNUSED_PAD src0_sel:DWORD src1_sel:BYTE_3
	v_sub_u16_sdwa v126, v129, v126 dst_sel:DWORD dst_unused:UNUSED_PAD src0_sel:WORD_1 src1_sel:WORD_1
	v_or_b32_sdwa v131, v131, v132 dst_sel:DWORD dst_unused:UNUSED_PAD src0_sel:BYTE_0 src1_sel:DWORD
	v_or_b32_sdwa v124, v126, v124 dst_sel:WORD_1 dst_unused:UNUSED_PAD src0_sel:BYTE_0 src1_sel:DWORD
	v_ashrrev_i32_e32 v126, s2, v127
	v_or_b32_sdwa v129, v131, v124 dst_sel:DWORD dst_unused:UNUSED_PAD src0_sel:WORD_0 src1_sel:DWORD
	v_ashrrev_i32_e32 v124, s23, v125
	v_lshlrev_b32_e32 v126, 2, v126
	v_and_b32_e32 v125, 0x3030303, v124
	v_bfe_u32 v124, v124, 24, 2
	v_and_b32_e32 v126, 0x4040404, v126
	v_sub_u16_e32 v127, v125, v126
	v_sub_u16_sdwa v131, v125, v126 dst_sel:BYTE_1 dst_unused:UNUSED_PAD src0_sel:BYTE_1 src1_sel:BYTE_1
	v_sub_u16_sdwa v124, v124, v126 dst_sel:BYTE_1 dst_unused:UNUSED_PAD src0_sel:DWORD src1_sel:BYTE_3
	v_sub_u16_sdwa v125, v125, v126 dst_sel:DWORD dst_unused:UNUSED_PAD src0_sel:WORD_1 src1_sel:WORD_1
	v_or_b32_sdwa v127, v127, v131 dst_sel:DWORD dst_unused:UNUSED_PAD src0_sel:BYTE_0 src1_sel:DWORD
	v_or_b32_sdwa v124, v125, v124 dst_sel:WORD_1 dst_unused:UNUSED_PAD src0_sel:BYTE_0 src1_sel:DWORD
	v_add_u32_e32 v126, 0x4208, v130
	v_or_b32_sdwa v131, v127, v124 dst_sel:DWORD dst_unused:UNUSED_PAD src0_sel:WORD_0 src1_sel:DWORD
	ds_read2_b32 v[124:125], v128 offset0:2 offset1:3
	ds_read2_b32 v[126:127], v126 offset1:1
	s_waitcnt lgkmcnt(1)
	v_ashrrev_i32_e32 v124, s23, v124
	s_waitcnt lgkmcnt(0)
	v_ashrrev_i32_e32 v126, s2, v126
	v_lshlrev_b32_e32 v126, 2, v126
	v_and_b32_e32 v132, 0x3030303, v124
	v_bfe_u32 v124, v124, 24, 2
	v_and_b32_e32 v126, 0x4040404, v126
	v_sub_u16_e32 v133, v132, v126
	v_sub_u16_sdwa v134, v132, v126 dst_sel:BYTE_1 dst_unused:UNUSED_PAD src0_sel:BYTE_1 src1_sel:BYTE_1
	v_sub_u16_sdwa v124, v124, v126 dst_sel:BYTE_1 dst_unused:UNUSED_PAD src0_sel:DWORD src1_sel:BYTE_3
	v_sub_u16_sdwa v126, v132, v126 dst_sel:DWORD dst_unused:UNUSED_PAD src0_sel:WORD_1 src1_sel:WORD_1
	v_or_b32_sdwa v133, v133, v134 dst_sel:DWORD dst_unused:UNUSED_PAD src0_sel:BYTE_0 src1_sel:DWORD
	v_or_b32_sdwa v124, v126, v124 dst_sel:WORD_1 dst_unused:UNUSED_PAD src0_sel:BYTE_0 src1_sel:DWORD
	v_ashrrev_i32_e32 v126, s2, v127
	v_or_b32_sdwa v132, v133, v124 dst_sel:DWORD dst_unused:UNUSED_PAD src0_sel:WORD_0 src1_sel:DWORD
	v_ashrrev_i32_e32 v124, s23, v125
	v_lshlrev_b32_e32 v126, 2, v126
	v_and_b32_e32 v125, 0x3030303, v124
	v_bfe_u32 v124, v124, 24, 2
	v_and_b32_e32 v126, 0x4040404, v126
	v_sub_u16_e32 v127, v125, v126
	v_sub_u16_sdwa v133, v125, v126 dst_sel:BYTE_1 dst_unused:UNUSED_PAD src0_sel:BYTE_1 src1_sel:BYTE_1
	v_sub_u16_sdwa v124, v124, v126 dst_sel:BYTE_1 dst_unused:UNUSED_PAD src0_sel:DWORD src1_sel:BYTE_3
	v_sub_u16_sdwa v125, v125, v126 dst_sel:DWORD dst_unused:UNUSED_PAD src0_sel:WORD_1 src1_sel:WORD_1
	v_or_b32_sdwa v127, v127, v133 dst_sel:DWORD dst_unused:UNUSED_PAD src0_sel:BYTE_0 src1_sel:DWORD
	v_or_b32_sdwa v124, v125, v124 dst_sel:WORD_1 dst_unused:UNUSED_PAD src0_sel:BYTE_0 src1_sel:DWORD
	v_add_u32_e32 v126, 0x4210, v130
	v_or_b32_sdwa v133, v127, v124 dst_sel:DWORD dst_unused:UNUSED_PAD src0_sel:WORD_0 src1_sel:DWORD
	ds_read2_b32 v[124:125], v128 offset0:4 offset1:5
	ds_read2_b32 v[126:127], v126 offset1:1
	s_waitcnt lgkmcnt(1)
	v_ashrrev_i32_e32 v124, s23, v124
	s_waitcnt lgkmcnt(0)
	v_ashrrev_i32_e32 v126, s2, v126
	v_lshlrev_b32_e32 v126, 2, v126
	;; [unrolled: 31-line block ×3, first 2 shown]
	v_and_b32_e32 v128, 0x3030303, v124
	v_bfe_u32 v124, v124, 24, 2
	v_and_b32_e32 v126, 0x4040404, v126
	v_sub_u16_e32 v130, v128, v126
	v_sub_u16_sdwa v136, v128, v126 dst_sel:BYTE_1 dst_unused:UNUSED_PAD src0_sel:BYTE_1 src1_sel:BYTE_1
	v_sub_u16_sdwa v124, v124, v126 dst_sel:BYTE_1 dst_unused:UNUSED_PAD src0_sel:DWORD src1_sel:BYTE_3
	v_sub_u16_sdwa v126, v128, v126 dst_sel:DWORD dst_unused:UNUSED_PAD src0_sel:WORD_1 src1_sel:WORD_1
	v_or_b32_sdwa v130, v130, v136 dst_sel:DWORD dst_unused:UNUSED_PAD src0_sel:BYTE_0 src1_sel:DWORD
	v_or_b32_sdwa v124, v126, v124 dst_sel:WORD_1 dst_unused:UNUSED_PAD src0_sel:BYTE_0 src1_sel:DWORD
	v_ashrrev_i32_e32 v127, s2, v127
	v_or_b32_sdwa v126, v130, v124 dst_sel:DWORD dst_unused:UNUSED_PAD src0_sel:WORD_0 src1_sel:DWORD
	v_ashrrev_i32_e32 v124, s23, v125
	v_lshlrev_b32_e32 v127, 2, v127
	v_and_b32_e32 v125, 0x3030303, v124
	v_bfe_u32 v124, v124, 24, 2
	v_and_b32_e32 v127, 0x4040404, v127
	v_sub_u16_e32 v128, v125, v127
	v_sub_u16_sdwa v130, v125, v127 dst_sel:BYTE_1 dst_unused:UNUSED_PAD src0_sel:BYTE_1 src1_sel:BYTE_1
	v_sub_u16_sdwa v124, v124, v127 dst_sel:BYTE_1 dst_unused:UNUSED_PAD src0_sel:DWORD src1_sel:BYTE_3
	v_sub_u16_sdwa v125, v125, v127 dst_sel:DWORD dst_unused:UNUSED_PAD src0_sel:WORD_1 src1_sel:WORD_1
	v_or_b32_sdwa v128, v128, v130 dst_sel:DWORD dst_unused:UNUSED_PAD src0_sel:BYTE_0 src1_sel:DWORD
	v_or_b32_sdwa v124, v125, v124 dst_sel:WORD_1 dst_unused:UNUSED_PAD src0_sel:BYTE_0 src1_sel:DWORD
	v_or_b32_sdwa v125, v128, v124 dst_sel:DWORD dst_unused:UNUSED_PAD src0_sel:WORD_0 src1_sel:DWORD
	v_add3_u32 v124, v63, s22, v123
	v_add_u32_e32 v127, s36, v39
	ds_read_b32 v127, v127
	ds_read_u16 v124, v124 offset:26370
	v_mov_b32_e32 v128, 0
	v_dot4c_i32_i8_e32 v128, v129, v6
	v_dot4c_i32_i8_e32 v128, v131, v7
	;; [unrolled: 1-line block ×4, first 2 shown]
	s_waitcnt lgkmcnt(0)
	v_lshrrev_b16_e32 v129, 8, v124
	v_bfe_i32 v124, v124, 0, 8
	v_add_lshl_u32 v130, v41, s34, 2
	v_mul_lo_u32 v124, v128, v124
	v_mov_b32_e32 v128, 0
	v_dot4c_i32_i8_e32 v128, v134, v2
	v_dot4c_i32_i8_e32 v128, v135, v3
	v_dot4c_i32_i8_e32 v128, v126, v4
	v_dot4c_i32_i8_e32 v128, v125, v5
	v_bfe_i32 v125, v129, 0, 8
	v_add_u32_e32 v126, 0x4200, v130
	s_nop 0
	v_mad_u64_u32 v[124:125], s[38:39], v128, v125, v[124:125]
	v_cvt_f32_i32_e32 v124, v124
	v_mul_f32_e32 v125, v122, v127
	v_add_u32_e32 v128, s35, v43
	ds_read2_b32 v[126:127], v126 offset1:1
	v_fmac_f32_e32 v113, v125, v124
	ds_read2_b32 v[124:125], v128 offset1:1
	s_waitcnt lgkmcnt(1)
	v_ashrrev_i32_e32 v126, s2, v126
	v_lshlrev_b32_e32 v126, 2, v126
	s_waitcnt lgkmcnt(0)
	v_ashrrev_i32_e32 v124, s23, v124
	v_and_b32_e32 v129, 0x3030303, v124
	v_bfe_u32 v124, v124, 24, 2
	v_and_b32_e32 v126, 0x4040404, v126
	v_sub_u16_e32 v131, v129, v126
	v_sub_u16_sdwa v132, v129, v126 dst_sel:BYTE_1 dst_unused:UNUSED_PAD src0_sel:BYTE_1 src1_sel:BYTE_1
	v_sub_u16_sdwa v124, v124, v126 dst_sel:BYTE_1 dst_unused:UNUSED_PAD src0_sel:DWORD src1_sel:BYTE_3
	v_sub_u16_sdwa v126, v129, v126 dst_sel:DWORD dst_unused:UNUSED_PAD src0_sel:WORD_1 src1_sel:WORD_1
	v_or_b32_sdwa v131, v131, v132 dst_sel:DWORD dst_unused:UNUSED_PAD src0_sel:BYTE_0 src1_sel:DWORD
	v_or_b32_sdwa v124, v126, v124 dst_sel:WORD_1 dst_unused:UNUSED_PAD src0_sel:BYTE_0 src1_sel:DWORD
	v_ashrrev_i32_e32 v126, s2, v127
	v_or_b32_sdwa v129, v131, v124 dst_sel:DWORD dst_unused:UNUSED_PAD src0_sel:WORD_0 src1_sel:DWORD
	v_ashrrev_i32_e32 v124, s23, v125
	v_lshlrev_b32_e32 v126, 2, v126
	v_and_b32_e32 v125, 0x3030303, v124
	v_bfe_u32 v124, v124, 24, 2
	v_and_b32_e32 v126, 0x4040404, v126
	v_sub_u16_e32 v127, v125, v126
	v_sub_u16_sdwa v131, v125, v126 dst_sel:BYTE_1 dst_unused:UNUSED_PAD src0_sel:BYTE_1 src1_sel:BYTE_1
	v_sub_u16_sdwa v124, v124, v126 dst_sel:BYTE_1 dst_unused:UNUSED_PAD src0_sel:DWORD src1_sel:BYTE_3
	v_sub_u16_sdwa v125, v125, v126 dst_sel:DWORD dst_unused:UNUSED_PAD src0_sel:WORD_1 src1_sel:WORD_1
	v_or_b32_sdwa v127, v127, v131 dst_sel:DWORD dst_unused:UNUSED_PAD src0_sel:BYTE_0 src1_sel:DWORD
	v_or_b32_sdwa v124, v125, v124 dst_sel:WORD_1 dst_unused:UNUSED_PAD src0_sel:BYTE_0 src1_sel:DWORD
	v_add_u32_e32 v126, 0x4208, v130
	v_or_b32_sdwa v131, v127, v124 dst_sel:DWORD dst_unused:UNUSED_PAD src0_sel:WORD_0 src1_sel:DWORD
	ds_read2_b32 v[124:125], v128 offset0:2 offset1:3
	ds_read2_b32 v[126:127], v126 offset1:1
	s_waitcnt lgkmcnt(1)
	v_ashrrev_i32_e32 v124, s23, v124
	s_waitcnt lgkmcnt(0)
	v_ashrrev_i32_e32 v126, s2, v126
	v_lshlrev_b32_e32 v126, 2, v126
	v_and_b32_e32 v132, 0x3030303, v124
	v_bfe_u32 v124, v124, 24, 2
	v_and_b32_e32 v126, 0x4040404, v126
	v_sub_u16_e32 v133, v132, v126
	v_sub_u16_sdwa v134, v132, v126 dst_sel:BYTE_1 dst_unused:UNUSED_PAD src0_sel:BYTE_1 src1_sel:BYTE_1
	v_sub_u16_sdwa v124, v124, v126 dst_sel:BYTE_1 dst_unused:UNUSED_PAD src0_sel:DWORD src1_sel:BYTE_3
	v_sub_u16_sdwa v126, v132, v126 dst_sel:DWORD dst_unused:UNUSED_PAD src0_sel:WORD_1 src1_sel:WORD_1
	v_or_b32_sdwa v133, v133, v134 dst_sel:DWORD dst_unused:UNUSED_PAD src0_sel:BYTE_0 src1_sel:DWORD
	v_or_b32_sdwa v124, v126, v124 dst_sel:WORD_1 dst_unused:UNUSED_PAD src0_sel:BYTE_0 src1_sel:DWORD
	v_ashrrev_i32_e32 v126, s2, v127
	v_or_b32_sdwa v132, v133, v124 dst_sel:DWORD dst_unused:UNUSED_PAD src0_sel:WORD_0 src1_sel:DWORD
	v_ashrrev_i32_e32 v124, s23, v125
	v_lshlrev_b32_e32 v126, 2, v126
	v_and_b32_e32 v125, 0x3030303, v124
	v_bfe_u32 v124, v124, 24, 2
	v_and_b32_e32 v126, 0x4040404, v126
	v_sub_u16_e32 v127, v125, v126
	v_sub_u16_sdwa v133, v125, v126 dst_sel:BYTE_1 dst_unused:UNUSED_PAD src0_sel:BYTE_1 src1_sel:BYTE_1
	v_sub_u16_sdwa v124, v124, v126 dst_sel:BYTE_1 dst_unused:UNUSED_PAD src0_sel:DWORD src1_sel:BYTE_3
	v_sub_u16_sdwa v125, v125, v126 dst_sel:DWORD dst_unused:UNUSED_PAD src0_sel:WORD_1 src1_sel:WORD_1
	v_or_b32_sdwa v127, v127, v133 dst_sel:DWORD dst_unused:UNUSED_PAD src0_sel:BYTE_0 src1_sel:DWORD
	v_or_b32_sdwa v124, v125, v124 dst_sel:WORD_1 dst_unused:UNUSED_PAD src0_sel:BYTE_0 src1_sel:DWORD
	v_add_u32_e32 v126, 0x4210, v130
	v_or_b32_sdwa v133, v127, v124 dst_sel:DWORD dst_unused:UNUSED_PAD src0_sel:WORD_0 src1_sel:DWORD
	ds_read2_b32 v[124:125], v128 offset0:4 offset1:5
	ds_read2_b32 v[126:127], v126 offset1:1
	s_waitcnt lgkmcnt(1)
	v_ashrrev_i32_e32 v124, s23, v124
	s_waitcnt lgkmcnt(0)
	v_ashrrev_i32_e32 v126, s2, v126
	v_lshlrev_b32_e32 v126, 2, v126
	v_and_b32_e32 v134, 0x3030303, v124
	v_bfe_u32 v124, v124, 24, 2
	v_and_b32_e32 v126, 0x4040404, v126
	v_sub_u16_e32 v135, v134, v126
	v_sub_u16_sdwa v136, v134, v126 dst_sel:BYTE_1 dst_unused:UNUSED_PAD src0_sel:BYTE_1 src1_sel:BYTE_1
	v_sub_u16_sdwa v124, v124, v126 dst_sel:BYTE_1 dst_unused:UNUSED_PAD src0_sel:DWORD src1_sel:BYTE_3
	v_sub_u16_sdwa v126, v134, v126 dst_sel:DWORD dst_unused:UNUSED_PAD src0_sel:WORD_1 src1_sel:WORD_1
	v_or_b32_sdwa v135, v135, v136 dst_sel:DWORD dst_unused:UNUSED_PAD src0_sel:BYTE_0 src1_sel:DWORD
	v_or_b32_sdwa v124, v126, v124 dst_sel:WORD_1 dst_unused:UNUSED_PAD src0_sel:BYTE_0 src1_sel:DWORD
	v_ashrrev_i32_e32 v126, s2, v127
	v_or_b32_sdwa v134, v135, v124 dst_sel:DWORD dst_unused:UNUSED_PAD src0_sel:WORD_0 src1_sel:DWORD
	v_ashrrev_i32_e32 v124, s23, v125
	v_lshlrev_b32_e32 v126, 2, v126
	v_and_b32_e32 v125, 0x3030303, v124
	v_bfe_u32 v124, v124, 24, 2
	v_and_b32_e32 v126, 0x4040404, v126
	v_sub_u16_e32 v127, v125, v126
	v_sub_u16_sdwa v135, v125, v126 dst_sel:BYTE_1 dst_unused:UNUSED_PAD src0_sel:BYTE_1 src1_sel:BYTE_1
	v_sub_u16_sdwa v124, v124, v126 dst_sel:BYTE_1 dst_unused:UNUSED_PAD src0_sel:DWORD src1_sel:BYTE_3
	v_sub_u16_sdwa v125, v125, v126 dst_sel:DWORD dst_unused:UNUSED_PAD src0_sel:WORD_1 src1_sel:WORD_1
	v_or_b32_sdwa v127, v127, v135 dst_sel:DWORD dst_unused:UNUSED_PAD src0_sel:BYTE_0 src1_sel:DWORD
	v_or_b32_sdwa v124, v125, v124 dst_sel:WORD_1 dst_unused:UNUSED_PAD src0_sel:BYTE_0 src1_sel:DWORD
	v_add_u32_e32 v126, 0x4218, v130
	v_or_b32_sdwa v135, v127, v124 dst_sel:DWORD dst_unused:UNUSED_PAD src0_sel:WORD_0 src1_sel:DWORD
	ds_read2_b32 v[124:125], v128 offset0:6 offset1:7
	ds_read2_b32 v[126:127], v126 offset1:1
	s_waitcnt lgkmcnt(1)
	v_ashrrev_i32_e32 v124, s23, v124
	s_waitcnt lgkmcnt(0)
	v_ashrrev_i32_e32 v126, s2, v126
	v_lshlrev_b32_e32 v126, 2, v126
	v_and_b32_e32 v128, 0x3030303, v124
	v_bfe_u32 v124, v124, 24, 2
	v_and_b32_e32 v126, 0x4040404, v126
	v_sub_u16_e32 v130, v128, v126
	v_sub_u16_sdwa v136, v128, v126 dst_sel:BYTE_1 dst_unused:UNUSED_PAD src0_sel:BYTE_1 src1_sel:BYTE_1
	v_sub_u16_sdwa v124, v124, v126 dst_sel:BYTE_1 dst_unused:UNUSED_PAD src0_sel:DWORD src1_sel:BYTE_3
	v_sub_u16_sdwa v126, v128, v126 dst_sel:DWORD dst_unused:UNUSED_PAD src0_sel:WORD_1 src1_sel:WORD_1
	v_or_b32_sdwa v130, v130, v136 dst_sel:DWORD dst_unused:UNUSED_PAD src0_sel:BYTE_0 src1_sel:DWORD
	v_or_b32_sdwa v124, v126, v124 dst_sel:WORD_1 dst_unused:UNUSED_PAD src0_sel:BYTE_0 src1_sel:DWORD
	v_ashrrev_i32_e32 v127, s2, v127
	v_or_b32_sdwa v126, v130, v124 dst_sel:DWORD dst_unused:UNUSED_PAD src0_sel:WORD_0 src1_sel:DWORD
	v_ashrrev_i32_e32 v124, s23, v125
	v_lshlrev_b32_e32 v127, 2, v127
	v_and_b32_e32 v125, 0x3030303, v124
	v_bfe_u32 v124, v124, 24, 2
	v_and_b32_e32 v127, 0x4040404, v127
	v_sub_u16_e32 v128, v125, v127
	v_sub_u16_sdwa v130, v125, v127 dst_sel:BYTE_1 dst_unused:UNUSED_PAD src0_sel:BYTE_1 src1_sel:BYTE_1
	v_sub_u16_sdwa v124, v124, v127 dst_sel:BYTE_1 dst_unused:UNUSED_PAD src0_sel:DWORD src1_sel:BYTE_3
	v_sub_u16_sdwa v125, v125, v127 dst_sel:DWORD dst_unused:UNUSED_PAD src0_sel:WORD_1 src1_sel:WORD_1
	v_or_b32_sdwa v128, v128, v130 dst_sel:DWORD dst_unused:UNUSED_PAD src0_sel:BYTE_0 src1_sel:DWORD
	v_or_b32_sdwa v124, v125, v124 dst_sel:WORD_1 dst_unused:UNUSED_PAD src0_sel:BYTE_0 src1_sel:DWORD
	v_or_b32_sdwa v125, v128, v124 dst_sel:DWORD dst_unused:UNUSED_PAD src0_sel:WORD_0 src1_sel:DWORD
	v_add3_u32 v124, v61, s22, v123
	v_add_u32_e32 v127, s36, v45
	ds_read_b32 v127, v127
	ds_read_u16 v124, v124 offset:27394
	v_mov_b32_e32 v128, 0
	v_dot4c_i32_i8_e32 v128, v129, v6
	v_dot4c_i32_i8_e32 v128, v131, v7
	;; [unrolled: 1-line block ×4, first 2 shown]
	s_waitcnt lgkmcnt(0)
	v_lshrrev_b16_e32 v129, 8, v124
	v_bfe_i32 v124, v124, 0, 8
	v_add_lshl_u32 v130, v47, s34, 2
	v_mul_lo_u32 v124, v128, v124
	v_mov_b32_e32 v128, 0
	v_dot4c_i32_i8_e32 v128, v134, v2
	v_dot4c_i32_i8_e32 v128, v135, v3
	;; [unrolled: 1-line block ×4, first 2 shown]
	v_bfe_i32 v125, v129, 0, 8
	v_add_u32_e32 v126, 0x4200, v130
	v_add3_u32 v123, v59, s22, v123
	v_mad_u64_u32 v[124:125], s[38:39], v128, v125, v[124:125]
	v_cvt_f32_i32_e32 v124, v124
	v_mul_f32_e32 v125, v122, v127
	v_add_u32_e32 v128, s35, v49
	ds_read2_b32 v[126:127], v126 offset1:1
	v_fmac_f32_e32 v117, v125, v124
	ds_read2_b32 v[124:125], v128 offset1:1
	s_mov_b32 s22, s23
	s_waitcnt lgkmcnt(1)
	v_ashrrev_i32_e32 v126, s2, v126
	v_lshlrev_b32_e32 v126, 2, v126
	s_waitcnt lgkmcnt(0)
	v_ashrrev_i32_e32 v124, s23, v124
	v_and_b32_e32 v129, 0x3030303, v124
	v_bfe_u32 v124, v124, 24, 2
	v_and_b32_e32 v126, 0x4040404, v126
	v_sub_u16_e32 v131, v129, v126
	v_sub_u16_sdwa v132, v129, v126 dst_sel:BYTE_1 dst_unused:UNUSED_PAD src0_sel:BYTE_1 src1_sel:BYTE_1
	v_sub_u16_sdwa v124, v124, v126 dst_sel:BYTE_1 dst_unused:UNUSED_PAD src0_sel:DWORD src1_sel:BYTE_3
	v_sub_u16_sdwa v126, v129, v126 dst_sel:DWORD dst_unused:UNUSED_PAD src0_sel:WORD_1 src1_sel:WORD_1
	v_or_b32_sdwa v131, v131, v132 dst_sel:DWORD dst_unused:UNUSED_PAD src0_sel:BYTE_0 src1_sel:DWORD
	v_or_b32_sdwa v124, v126, v124 dst_sel:WORD_1 dst_unused:UNUSED_PAD src0_sel:BYTE_0 src1_sel:DWORD
	v_ashrrev_i32_e32 v126, s2, v127
	v_or_b32_sdwa v129, v131, v124 dst_sel:DWORD dst_unused:UNUSED_PAD src0_sel:WORD_0 src1_sel:DWORD
	v_ashrrev_i32_e32 v124, s23, v125
	v_lshlrev_b32_e32 v126, 2, v126
	v_and_b32_e32 v125, 0x3030303, v124
	v_bfe_u32 v124, v124, 24, 2
	v_and_b32_e32 v126, 0x4040404, v126
	v_sub_u16_e32 v127, v125, v126
	v_sub_u16_sdwa v131, v125, v126 dst_sel:BYTE_1 dst_unused:UNUSED_PAD src0_sel:BYTE_1 src1_sel:BYTE_1
	v_sub_u16_sdwa v124, v124, v126 dst_sel:BYTE_1 dst_unused:UNUSED_PAD src0_sel:DWORD src1_sel:BYTE_3
	v_sub_u16_sdwa v125, v125, v126 dst_sel:DWORD dst_unused:UNUSED_PAD src0_sel:WORD_1 src1_sel:WORD_1
	v_or_b32_sdwa v127, v127, v131 dst_sel:DWORD dst_unused:UNUSED_PAD src0_sel:BYTE_0 src1_sel:DWORD
	v_or_b32_sdwa v124, v125, v124 dst_sel:WORD_1 dst_unused:UNUSED_PAD src0_sel:BYTE_0 src1_sel:DWORD
	v_add_u32_e32 v126, 0x4208, v130
	v_or_b32_sdwa v131, v127, v124 dst_sel:DWORD dst_unused:UNUSED_PAD src0_sel:WORD_0 src1_sel:DWORD
	ds_read2_b32 v[124:125], v128 offset0:2 offset1:3
	ds_read2_b32 v[126:127], v126 offset1:1
	s_waitcnt lgkmcnt(1)
	v_ashrrev_i32_e32 v124, s23, v124
	s_waitcnt lgkmcnt(0)
	v_ashrrev_i32_e32 v126, s2, v126
	v_lshlrev_b32_e32 v126, 2, v126
	v_and_b32_e32 v132, 0x3030303, v124
	v_bfe_u32 v124, v124, 24, 2
	v_and_b32_e32 v126, 0x4040404, v126
	v_sub_u16_e32 v133, v132, v126
	v_sub_u16_sdwa v134, v132, v126 dst_sel:BYTE_1 dst_unused:UNUSED_PAD src0_sel:BYTE_1 src1_sel:BYTE_1
	v_sub_u16_sdwa v124, v124, v126 dst_sel:BYTE_1 dst_unused:UNUSED_PAD src0_sel:DWORD src1_sel:BYTE_3
	v_sub_u16_sdwa v126, v132, v126 dst_sel:DWORD dst_unused:UNUSED_PAD src0_sel:WORD_1 src1_sel:WORD_1
	v_or_b32_sdwa v133, v133, v134 dst_sel:DWORD dst_unused:UNUSED_PAD src0_sel:BYTE_0 src1_sel:DWORD
	v_or_b32_sdwa v124, v126, v124 dst_sel:WORD_1 dst_unused:UNUSED_PAD src0_sel:BYTE_0 src1_sel:DWORD
	v_ashrrev_i32_e32 v126, s2, v127
	v_or_b32_sdwa v132, v133, v124 dst_sel:DWORD dst_unused:UNUSED_PAD src0_sel:WORD_0 src1_sel:DWORD
	v_ashrrev_i32_e32 v124, s23, v125
	v_lshlrev_b32_e32 v126, 2, v126
	v_and_b32_e32 v125, 0x3030303, v124
	v_bfe_u32 v124, v124, 24, 2
	v_and_b32_e32 v126, 0x4040404, v126
	v_sub_u16_e32 v127, v125, v126
	v_sub_u16_sdwa v133, v125, v126 dst_sel:BYTE_1 dst_unused:UNUSED_PAD src0_sel:BYTE_1 src1_sel:BYTE_1
	v_sub_u16_sdwa v124, v124, v126 dst_sel:BYTE_1 dst_unused:UNUSED_PAD src0_sel:DWORD src1_sel:BYTE_3
	v_sub_u16_sdwa v125, v125, v126 dst_sel:DWORD dst_unused:UNUSED_PAD src0_sel:WORD_1 src1_sel:WORD_1
	v_or_b32_sdwa v127, v127, v133 dst_sel:DWORD dst_unused:UNUSED_PAD src0_sel:BYTE_0 src1_sel:DWORD
	v_or_b32_sdwa v124, v125, v124 dst_sel:WORD_1 dst_unused:UNUSED_PAD src0_sel:BYTE_0 src1_sel:DWORD
	v_add_u32_e32 v126, 0x4210, v130
	v_or_b32_sdwa v133, v127, v124 dst_sel:DWORD dst_unused:UNUSED_PAD src0_sel:WORD_0 src1_sel:DWORD
	ds_read2_b32 v[124:125], v128 offset0:4 offset1:5
	ds_read2_b32 v[126:127], v126 offset1:1
	s_waitcnt lgkmcnt(1)
	v_ashrrev_i32_e32 v124, s23, v124
	s_waitcnt lgkmcnt(0)
	v_ashrrev_i32_e32 v126, s2, v126
	v_lshlrev_b32_e32 v126, 2, v126
	;; [unrolled: 31-line block ×3, first 2 shown]
	v_and_b32_e32 v128, 0x3030303, v124
	v_bfe_u32 v124, v124, 24, 2
	v_and_b32_e32 v126, 0x4040404, v126
	v_ashrrev_i32_e32 v127, s2, v127
	v_sub_u16_e32 v130, v128, v126
	v_sub_u16_sdwa v136, v128, v126 dst_sel:BYTE_1 dst_unused:UNUSED_PAD src0_sel:BYTE_1 src1_sel:BYTE_1
	v_sub_u16_sdwa v124, v124, v126 dst_sel:BYTE_1 dst_unused:UNUSED_PAD src0_sel:DWORD src1_sel:BYTE_3
	v_sub_u16_sdwa v126, v128, v126 dst_sel:DWORD dst_unused:UNUSED_PAD src0_sel:WORD_1 src1_sel:WORD_1
	v_ashrrev_i32_e32 v125, s23, v125
	v_lshlrev_b32_e32 v127, 2, v127
	v_or_b32_sdwa v130, v130, v136 dst_sel:DWORD dst_unused:UNUSED_PAD src0_sel:BYTE_0 src1_sel:DWORD
	v_or_b32_sdwa v124, v126, v124 dst_sel:WORD_1 dst_unused:UNUSED_PAD src0_sel:BYTE_0 src1_sel:DWORD
	v_and_b32_e32 v126, 0x3030303, v125
	v_bfe_u32 v125, v125, 24, 2
	v_and_b32_e32 v127, 0x4040404, v127
	v_or_b32_sdwa v124, v130, v124 dst_sel:DWORD dst_unused:UNUSED_PAD src0_sel:WORD_0 src1_sel:DWORD
	v_sub_u16_e32 v128, v126, v127
	v_sub_u16_sdwa v130, v126, v127 dst_sel:BYTE_1 dst_unused:UNUSED_PAD src0_sel:BYTE_1 src1_sel:BYTE_1
	v_sub_u16_sdwa v125, v125, v127 dst_sel:BYTE_1 dst_unused:UNUSED_PAD src0_sel:DWORD src1_sel:BYTE_3
	v_sub_u16_sdwa v126, v126, v127 dst_sel:DWORD dst_unused:UNUSED_PAD src0_sel:WORD_1 src1_sel:WORD_1
	v_or_b32_sdwa v125, v126, v125 dst_sel:WORD_1 dst_unused:UNUSED_PAD src0_sel:BYTE_0 src1_sel:DWORD
	v_add_u32_e32 v126, s36, v51
	v_mov_b32_e32 v127, 0
	ds_read_b32 v126, v126
	v_dot4c_i32_i8_e32 v127, v129, v6
	ds_read_u16 v6, v123 offset:28418
	v_dot4c_i32_i8_e32 v127, v131, v7
	v_dot4c_i32_i8_e32 v127, v132, v8
	v_mov_b32_e32 v8, 0
	v_dot4c_i32_i8_e32 v8, v134, v2
	v_or_b32_sdwa v128, v128, v130 dst_sel:DWORD dst_unused:UNUSED_PAD src0_sel:BYTE_0 src1_sel:DWORD
	v_dot4c_i32_i8_e32 v8, v135, v3
	v_or_b32_sdwa v125, v128, v125 dst_sel:DWORD dst_unused:UNUSED_PAD src0_sel:WORD_0 src1_sel:DWORD
	v_dot4c_i32_i8_e32 v127, v133, v9
	s_waitcnt lgkmcnt(0)
	v_lshrrev_b16_e32 v7, 8, v6
	v_bfe_i32 v6, v6, 0, 8
	v_dot4c_i32_i8_e32 v8, v124, v4
	v_mul_lo_u32 v6, v127, v6
	v_dot4c_i32_i8_e32 v8, v125, v5
	v_bfe_i32 v2, v7, 0, 8
	s_add_i32 s2, s2, 1
	s_cmp_lt_u32 s23, 6
	v_mad_u64_u32 v[2:3], s[34:35], v8, v2, v[6:7]
	v_cvt_f32_i32_e32 v2, v2
	v_mul_f32_e32 v3, v122, v126
	v_fmac_f32_e32 v118, v3, v2
	s_cbranch_scc1 .LBB210_12
; %bb.13:                               ;   in Loop: Header=BB210_5 Depth=1
	s_or_b32 s2, s33, 0x80
	s_cmp_ge_i32 s2, s9
	s_barrier
	s_cbranch_scc1 .LBB210_4
; %bb.14:                               ;   in Loop: Header=BB210_5 Depth=1
	v_add_u32_e32 v2, s31, v53
	v_cmp_gt_i32_e64 s[2:3], s12, v2
	s_and_b64 s[22:23], s[0:1], s[2:3]
	s_and_saveexec_b64 s[2:3], s[22:23]
	s_cbranch_execz .LBB210_16
; %bb.15:                               ;   in Loop: Header=BB210_5 Depth=1
	v_add_u32_e32 v2, v116, v2
	v_mad_i64_i32 v[2:3], s[22:23], v2, 36, v[114:115]
	global_load_dword v2, v[2:3], off offset:4
	s_waitcnt vmcnt(0)
	ds_write_b32 v23, v2
.LBB210_16:                             ;   in Loop: Header=BB210_5 Depth=1
	s_or_b64 exec, exec, s[2:3]
	s_and_saveexec_b64 s[22:23], vcc
	s_cbranch_execz .LBB210_19
; %bb.17:                               ;   in Loop: Header=BB210_5 Depth=1
	v_or_b32_e32 v2, s31, v13
	v_or_b32_e32 v3, 4, v2
	v_cmp_gt_i32_e64 s[2:3], s12, v3
	s_and_b64 s[2:3], s[0:1], s[2:3]
	s_and_b64 exec, exec, s[2:3]
	s_cbranch_execz .LBB210_19
; %bb.18:                               ;   in Loop: Header=BB210_5 Depth=1
	v_ashrrev_i32_e32 v3, 31, v2
	v_add_co_u32_e64 v2, s[2:3], v116, v2
	v_addc_co_u32_e64 v4, s[2:3], v1, v3, s[2:3]
	v_mad_u64_u32 v[2:3], s[2:3], v2, 36, s[4:5]
	v_mad_i32_i24 v3, v4, 36, v3
	global_load_dword v2, v[2:3], off
	s_waitcnt vmcnt(0)
	v_cvt_f32_f16_e32 v2, v2
	ds_write_b32 v25, v2
.LBB210_19:                             ;   in Loop: Header=BB210_5 Depth=1
	s_or_b64 exec, exec, s[22:23]
	s_mov_b32 s2, 8
	s_mov_b32 s3, 0
	;; [unrolled: 1-line block ×3, first 2 shown]
	v_mov_b32_e32 v120, v67
	v_mov_b32_e32 v121, v69
	s_waitcnt lgkmcnt(0)
	s_barrier
.LBB210_20:                             ;   Parent Loop BB210_5 Depth=1
                                        ; =>  This Inner Loop Header: Depth=2
	s_add_i32 s23, s3, 8
	s_lshr_b32 s37, s23, 4
	s_and_b32 s36, s23, 0x3ffffff8
	s_lshl_b32 s35, s37, 3
	s_lshl_b32 s36, s36, 2
	v_add_lshl_u32 v129, v29, s35, 2
	v_add_u32_e32 v123, s36, v31
	v_add_u32_e32 v126, 0x4200, v129
	ds_read_b32 v122, v121
	ds_read_b128 v[6:9], v120
	ds_read_b128 v[2:5], v120 offset:16
	ds_read2_b32 v[124:125], v123 offset1:1
	ds_read2_b32 v[126:127], v126 offset1:1
	s_and_b32 s34, s2, -16
	s_lshl_b32 s37, s37, 2
	s_add_i32 s2, s2, 2
	s_waitcnt lgkmcnt(1)
	v_ashrrev_i32_e32 v124, s3, v124
	s_waitcnt lgkmcnt(0)
	v_ashrrev_i32_e32 v126, s22, v126
	v_lshlrev_b32_e32 v126, 2, v126
	v_and_b32_e32 v128, 0x3030303, v124
	v_bfe_u32 v124, v124, 24, 2
	v_and_b32_e32 v126, 0x4040404, v126
	v_sub_u16_e32 v130, v128, v126
	v_sub_u16_sdwa v131, v128, v126 dst_sel:BYTE_1 dst_unused:UNUSED_PAD src0_sel:BYTE_1 src1_sel:BYTE_1
	v_sub_u16_sdwa v124, v124, v126 dst_sel:BYTE_1 dst_unused:UNUSED_PAD src0_sel:DWORD src1_sel:BYTE_3
	v_sub_u16_sdwa v126, v128, v126 dst_sel:DWORD dst_unused:UNUSED_PAD src0_sel:WORD_1 src1_sel:WORD_1
	v_or_b32_sdwa v130, v130, v131 dst_sel:DWORD dst_unused:UNUSED_PAD src0_sel:BYTE_0 src1_sel:DWORD
	v_or_b32_sdwa v124, v126, v124 dst_sel:WORD_1 dst_unused:UNUSED_PAD src0_sel:BYTE_0 src1_sel:DWORD
	v_ashrrev_i32_e32 v126, s22, v127
	v_or_b32_sdwa v128, v130, v124 dst_sel:DWORD dst_unused:UNUSED_PAD src0_sel:WORD_0 src1_sel:DWORD
	v_ashrrev_i32_e32 v124, s3, v125
	v_lshlrev_b32_e32 v126, 2, v126
	v_and_b32_e32 v125, 0x3030303, v124
	v_bfe_u32 v124, v124, 24, 2
	v_and_b32_e32 v126, 0x4040404, v126
	v_sub_u16_e32 v127, v125, v126
	v_sub_u16_sdwa v130, v125, v126 dst_sel:BYTE_1 dst_unused:UNUSED_PAD src0_sel:BYTE_1 src1_sel:BYTE_1
	v_sub_u16_sdwa v124, v124, v126 dst_sel:BYTE_1 dst_unused:UNUSED_PAD src0_sel:DWORD src1_sel:BYTE_3
	v_sub_u16_sdwa v125, v125, v126 dst_sel:DWORD dst_unused:UNUSED_PAD src0_sel:WORD_1 src1_sel:WORD_1
	v_or_b32_sdwa v127, v127, v130 dst_sel:DWORD dst_unused:UNUSED_PAD src0_sel:BYTE_0 src1_sel:DWORD
	v_or_b32_sdwa v124, v125, v124 dst_sel:WORD_1 dst_unused:UNUSED_PAD src0_sel:BYTE_0 src1_sel:DWORD
	v_add_u32_e32 v126, 0x4208, v129
	v_or_b32_sdwa v130, v127, v124 dst_sel:DWORD dst_unused:UNUSED_PAD src0_sel:WORD_0 src1_sel:DWORD
	ds_read2_b32 v[124:125], v123 offset0:2 offset1:3
	ds_read2_b32 v[126:127], v126 offset1:1
	v_add_u32_e32 v121, 4, v121
	v_add_u32_e32 v120, 32, v120
	s_waitcnt lgkmcnt(1)
	v_ashrrev_i32_e32 v124, s3, v124
	s_waitcnt lgkmcnt(0)
	v_ashrrev_i32_e32 v126, s22, v126
	v_lshlrev_b32_e32 v126, 2, v126
	v_and_b32_e32 v131, 0x3030303, v124
	v_bfe_u32 v124, v124, 24, 2
	v_and_b32_e32 v126, 0x4040404, v126
	v_sub_u16_e32 v132, v131, v126
	v_sub_u16_sdwa v133, v131, v126 dst_sel:BYTE_1 dst_unused:UNUSED_PAD src0_sel:BYTE_1 src1_sel:BYTE_1
	v_sub_u16_sdwa v124, v124, v126 dst_sel:BYTE_1 dst_unused:UNUSED_PAD src0_sel:DWORD src1_sel:BYTE_3
	v_sub_u16_sdwa v126, v131, v126 dst_sel:DWORD dst_unused:UNUSED_PAD src0_sel:WORD_1 src1_sel:WORD_1
	v_or_b32_sdwa v132, v132, v133 dst_sel:DWORD dst_unused:UNUSED_PAD src0_sel:BYTE_0 src1_sel:DWORD
	v_or_b32_sdwa v124, v126, v124 dst_sel:WORD_1 dst_unused:UNUSED_PAD src0_sel:BYTE_0 src1_sel:DWORD
	v_ashrrev_i32_e32 v126, s22, v127
	v_or_b32_sdwa v131, v132, v124 dst_sel:DWORD dst_unused:UNUSED_PAD src0_sel:WORD_0 src1_sel:DWORD
	v_ashrrev_i32_e32 v124, s3, v125
	v_lshlrev_b32_e32 v126, 2, v126
	v_and_b32_e32 v125, 0x3030303, v124
	v_bfe_u32 v124, v124, 24, 2
	v_and_b32_e32 v126, 0x4040404, v126
	v_sub_u16_e32 v127, v125, v126
	v_sub_u16_sdwa v132, v125, v126 dst_sel:BYTE_1 dst_unused:UNUSED_PAD src0_sel:BYTE_1 src1_sel:BYTE_1
	v_sub_u16_sdwa v124, v124, v126 dst_sel:BYTE_1 dst_unused:UNUSED_PAD src0_sel:DWORD src1_sel:BYTE_3
	v_sub_u16_sdwa v125, v125, v126 dst_sel:DWORD dst_unused:UNUSED_PAD src0_sel:WORD_1 src1_sel:WORD_1
	v_or_b32_sdwa v127, v127, v132 dst_sel:DWORD dst_unused:UNUSED_PAD src0_sel:BYTE_0 src1_sel:DWORD
	v_or_b32_sdwa v124, v125, v124 dst_sel:WORD_1 dst_unused:UNUSED_PAD src0_sel:BYTE_0 src1_sel:DWORD
	v_add_u32_e32 v126, 0x4210, v129
	v_or_b32_sdwa v132, v127, v124 dst_sel:DWORD dst_unused:UNUSED_PAD src0_sel:WORD_0 src1_sel:DWORD
	ds_read2_b32 v[124:125], v123 offset0:4 offset1:5
	ds_read2_b32 v[126:127], v126 offset1:1
	s_waitcnt lgkmcnt(1)
	v_ashrrev_i32_e32 v124, s3, v124
	s_waitcnt lgkmcnt(0)
	v_ashrrev_i32_e32 v126, s22, v126
	v_lshlrev_b32_e32 v126, 2, v126
	v_and_b32_e32 v133, 0x3030303, v124
	v_bfe_u32 v124, v124, 24, 2
	v_and_b32_e32 v126, 0x4040404, v126
	v_sub_u16_e32 v134, v133, v126
	v_sub_u16_sdwa v135, v133, v126 dst_sel:BYTE_1 dst_unused:UNUSED_PAD src0_sel:BYTE_1 src1_sel:BYTE_1
	v_sub_u16_sdwa v124, v124, v126 dst_sel:BYTE_1 dst_unused:UNUSED_PAD src0_sel:DWORD src1_sel:BYTE_3
	v_sub_u16_sdwa v126, v133, v126 dst_sel:DWORD dst_unused:UNUSED_PAD src0_sel:WORD_1 src1_sel:WORD_1
	v_or_b32_sdwa v134, v134, v135 dst_sel:DWORD dst_unused:UNUSED_PAD src0_sel:BYTE_0 src1_sel:DWORD
	v_or_b32_sdwa v124, v126, v124 dst_sel:WORD_1 dst_unused:UNUSED_PAD src0_sel:BYTE_0 src1_sel:DWORD
	v_ashrrev_i32_e32 v126, s22, v127
	v_or_b32_sdwa v133, v134, v124 dst_sel:DWORD dst_unused:UNUSED_PAD src0_sel:WORD_0 src1_sel:DWORD
	v_ashrrev_i32_e32 v124, s3, v125
	v_lshlrev_b32_e32 v126, 2, v126
	v_and_b32_e32 v125, 0x3030303, v124
	v_bfe_u32 v124, v124, 24, 2
	v_and_b32_e32 v126, 0x4040404, v126
	v_sub_u16_e32 v127, v125, v126
	v_sub_u16_sdwa v134, v125, v126 dst_sel:BYTE_1 dst_unused:UNUSED_PAD src0_sel:BYTE_1 src1_sel:BYTE_1
	v_sub_u16_sdwa v124, v124, v126 dst_sel:BYTE_1 dst_unused:UNUSED_PAD src0_sel:DWORD src1_sel:BYTE_3
	v_sub_u16_sdwa v125, v125, v126 dst_sel:DWORD dst_unused:UNUSED_PAD src0_sel:WORD_1 src1_sel:WORD_1
	v_or_b32_sdwa v127, v127, v134 dst_sel:DWORD dst_unused:UNUSED_PAD src0_sel:BYTE_0 src1_sel:DWORD
	v_or_b32_sdwa v124, v125, v124 dst_sel:WORD_1 dst_unused:UNUSED_PAD src0_sel:BYTE_0 src1_sel:DWORD
	v_add_u32_e32 v126, 0x4218, v129
	v_or_b32_sdwa v134, v127, v124 dst_sel:DWORD dst_unused:UNUSED_PAD src0_sel:WORD_0 src1_sel:DWORD
	ds_read2_b32 v[124:125], v123 offset0:6 offset1:7
	ds_read2_b32 v[126:127], v126 offset1:1
	s_waitcnt lgkmcnt(1)
	v_ashrrev_i32_e32 v123, s3, v124
	s_waitcnt lgkmcnt(0)
	v_ashrrev_i32_e32 v126, s22, v126
	v_lshlrev_b32_e32 v126, 2, v126
	v_and_b32_e32 v124, 0x3030303, v123
	v_bfe_u32 v123, v123, 24, 2
	v_and_b32_e32 v126, 0x4040404, v126
	v_sub_u16_e32 v129, v124, v126
	v_sub_u16_sdwa v135, v124, v126 dst_sel:BYTE_1 dst_unused:UNUSED_PAD src0_sel:BYTE_1 src1_sel:BYTE_1
	v_sub_u16_sdwa v123, v123, v126 dst_sel:BYTE_1 dst_unused:UNUSED_PAD src0_sel:DWORD src1_sel:BYTE_3
	v_sub_u16_sdwa v124, v124, v126 dst_sel:DWORD dst_unused:UNUSED_PAD src0_sel:WORD_1 src1_sel:WORD_1
	v_or_b32_sdwa v129, v129, v135 dst_sel:DWORD dst_unused:UNUSED_PAD src0_sel:BYTE_0 src1_sel:DWORD
	v_or_b32_sdwa v123, v124, v123 dst_sel:WORD_1 dst_unused:UNUSED_PAD src0_sel:BYTE_0 src1_sel:DWORD
	v_or_b32_sdwa v126, v129, v123 dst_sel:DWORD dst_unused:UNUSED_PAD src0_sel:WORD_0 src1_sel:DWORD
	v_ashrrev_i32_e32 v123, s3, v125
	v_ashrrev_i32_e32 v125, s22, v127
	v_lshlrev_b32_e32 v125, 2, v125
	v_and_b32_e32 v124, 0x3030303, v123
	v_bfe_u32 v123, v123, 24, 2
	v_and_b32_e32 v125, 0x4040404, v125
	v_sub_u16_e32 v127, v124, v125
	v_sub_u16_sdwa v129, v124, v125 dst_sel:BYTE_1 dst_unused:UNUSED_PAD src0_sel:BYTE_1 src1_sel:BYTE_1
	v_sub_u16_sdwa v123, v123, v125 dst_sel:BYTE_1 dst_unused:UNUSED_PAD src0_sel:DWORD src1_sel:BYTE_3
	v_sub_u16_sdwa v124, v124, v125 dst_sel:DWORD dst_unused:UNUSED_PAD src0_sel:WORD_1 src1_sel:WORD_1
	v_or_b32_sdwa v127, v127, v129 dst_sel:DWORD dst_unused:UNUSED_PAD src0_sel:BYTE_0 src1_sel:DWORD
	v_or_b32_sdwa v123, v124, v123 dst_sel:WORD_1 dst_unused:UNUSED_PAD src0_sel:BYTE_0 src1_sel:DWORD
	v_or_b32_sdwa v125, v127, v123 dst_sel:DWORD dst_unused:UNUSED_PAD src0_sel:WORD_0 src1_sel:DWORD
	v_add_u32_e32 v123, s3, v27
	v_add3_u32 v124, v77, s34, v123
	v_add_u32_e32 v127, s37, v33
	ds_read_b32 v127, v127
	ds_read_u16 v124, v124
	v_mov_b32_e32 v129, 0
	v_dot4c_i32_i8_e32 v129, v128, v6
	v_dot4c_i32_i8_e32 v129, v130, v7
	;; [unrolled: 1-line block ×4, first 2 shown]
	s_waitcnt lgkmcnt(0)
	v_lshrrev_b16_e32 v128, 8, v124
	v_bfe_i32 v124, v124, 0, 8
	v_add_lshl_u32 v130, v35, s35, 2
	v_mul_lo_u32 v124, v129, v124
	v_mov_b32_e32 v129, 0
	v_dot4c_i32_i8_e32 v129, v133, v2
	v_dot4c_i32_i8_e32 v129, v134, v3
	;; [unrolled: 1-line block ×4, first 2 shown]
	v_bfe_i32 v125, v128, 0, 8
	v_add_u32_e32 v128, s36, v37
	v_add_u32_e32 v126, 0x4200, v130
	v_mad_u64_u32 v[124:125], s[38:39], v129, v125, v[124:125]
	v_cvt_f32_i32_e32 v124, v124
	v_mul_f32_e32 v125, v122, v127
	ds_read2_b32 v[126:127], v126 offset1:1
	v_fmac_f32_e32 v15, v125, v124
	ds_read2_b32 v[124:125], v128 offset1:1
	s_waitcnt lgkmcnt(1)
	v_ashrrev_i32_e32 v126, s22, v126
	v_lshlrev_b32_e32 v126, 2, v126
	v_and_b32_e32 v126, 0x4040404, v126
	s_waitcnt lgkmcnt(0)
	v_ashrrev_i32_e32 v124, s3, v124
	v_and_b32_e32 v129, 0x3030303, v124
	v_bfe_u32 v124, v124, 24, 2
	v_sub_u16_e32 v131, v129, v126
	v_sub_u16_sdwa v132, v129, v126 dst_sel:BYTE_1 dst_unused:UNUSED_PAD src0_sel:BYTE_1 src1_sel:BYTE_1
	v_sub_u16_sdwa v124, v124, v126 dst_sel:BYTE_1 dst_unused:UNUSED_PAD src0_sel:DWORD src1_sel:BYTE_3
	v_sub_u16_sdwa v126, v129, v126 dst_sel:DWORD dst_unused:UNUSED_PAD src0_sel:WORD_1 src1_sel:WORD_1
	v_or_b32_sdwa v131, v131, v132 dst_sel:DWORD dst_unused:UNUSED_PAD src0_sel:BYTE_0 src1_sel:DWORD
	v_or_b32_sdwa v124, v126, v124 dst_sel:WORD_1 dst_unused:UNUSED_PAD src0_sel:BYTE_0 src1_sel:DWORD
	v_ashrrev_i32_e32 v126, s22, v127
	v_or_b32_sdwa v129, v131, v124 dst_sel:DWORD dst_unused:UNUSED_PAD src0_sel:WORD_0 src1_sel:DWORD
	v_ashrrev_i32_e32 v124, s3, v125
	v_lshlrev_b32_e32 v126, 2, v126
	v_and_b32_e32 v125, 0x3030303, v124
	v_bfe_u32 v124, v124, 24, 2
	v_and_b32_e32 v126, 0x4040404, v126
	v_sub_u16_e32 v127, v125, v126
	v_sub_u16_sdwa v131, v125, v126 dst_sel:BYTE_1 dst_unused:UNUSED_PAD src0_sel:BYTE_1 src1_sel:BYTE_1
	v_sub_u16_sdwa v124, v124, v126 dst_sel:BYTE_1 dst_unused:UNUSED_PAD src0_sel:DWORD src1_sel:BYTE_3
	v_sub_u16_sdwa v125, v125, v126 dst_sel:DWORD dst_unused:UNUSED_PAD src0_sel:WORD_1 src1_sel:WORD_1
	v_or_b32_sdwa v127, v127, v131 dst_sel:DWORD dst_unused:UNUSED_PAD src0_sel:BYTE_0 src1_sel:DWORD
	v_or_b32_sdwa v124, v125, v124 dst_sel:WORD_1 dst_unused:UNUSED_PAD src0_sel:BYTE_0 src1_sel:DWORD
	v_add_u32_e32 v126, 0x4208, v130
	v_or_b32_sdwa v131, v127, v124 dst_sel:DWORD dst_unused:UNUSED_PAD src0_sel:WORD_0 src1_sel:DWORD
	ds_read2_b32 v[124:125], v128 offset0:2 offset1:3
	ds_read2_b32 v[126:127], v126 offset1:1
	s_waitcnt lgkmcnt(1)
	v_ashrrev_i32_e32 v124, s3, v124
	s_waitcnt lgkmcnt(0)
	v_ashrrev_i32_e32 v126, s22, v126
	v_lshlrev_b32_e32 v126, 2, v126
	v_and_b32_e32 v132, 0x3030303, v124
	v_bfe_u32 v124, v124, 24, 2
	v_and_b32_e32 v126, 0x4040404, v126
	v_sub_u16_e32 v133, v132, v126
	v_sub_u16_sdwa v134, v132, v126 dst_sel:BYTE_1 dst_unused:UNUSED_PAD src0_sel:BYTE_1 src1_sel:BYTE_1
	v_sub_u16_sdwa v124, v124, v126 dst_sel:BYTE_1 dst_unused:UNUSED_PAD src0_sel:DWORD src1_sel:BYTE_3
	v_sub_u16_sdwa v126, v132, v126 dst_sel:DWORD dst_unused:UNUSED_PAD src0_sel:WORD_1 src1_sel:WORD_1
	v_or_b32_sdwa v133, v133, v134 dst_sel:DWORD dst_unused:UNUSED_PAD src0_sel:BYTE_0 src1_sel:DWORD
	v_or_b32_sdwa v124, v126, v124 dst_sel:WORD_1 dst_unused:UNUSED_PAD src0_sel:BYTE_0 src1_sel:DWORD
	v_ashrrev_i32_e32 v126, s22, v127
	v_or_b32_sdwa v132, v133, v124 dst_sel:DWORD dst_unused:UNUSED_PAD src0_sel:WORD_0 src1_sel:DWORD
	v_ashrrev_i32_e32 v124, s3, v125
	v_lshlrev_b32_e32 v126, 2, v126
	v_and_b32_e32 v125, 0x3030303, v124
	v_bfe_u32 v124, v124, 24, 2
	v_and_b32_e32 v126, 0x4040404, v126
	v_sub_u16_e32 v127, v125, v126
	v_sub_u16_sdwa v133, v125, v126 dst_sel:BYTE_1 dst_unused:UNUSED_PAD src0_sel:BYTE_1 src1_sel:BYTE_1
	v_sub_u16_sdwa v124, v124, v126 dst_sel:BYTE_1 dst_unused:UNUSED_PAD src0_sel:DWORD src1_sel:BYTE_3
	v_sub_u16_sdwa v125, v125, v126 dst_sel:DWORD dst_unused:UNUSED_PAD src0_sel:WORD_1 src1_sel:WORD_1
	v_or_b32_sdwa v127, v127, v133 dst_sel:DWORD dst_unused:UNUSED_PAD src0_sel:BYTE_0 src1_sel:DWORD
	v_or_b32_sdwa v124, v125, v124 dst_sel:WORD_1 dst_unused:UNUSED_PAD src0_sel:BYTE_0 src1_sel:DWORD
	v_add_u32_e32 v126, 0x4210, v130
	v_or_b32_sdwa v133, v127, v124 dst_sel:DWORD dst_unused:UNUSED_PAD src0_sel:WORD_0 src1_sel:DWORD
	ds_read2_b32 v[124:125], v128 offset0:4 offset1:5
	ds_read2_b32 v[126:127], v126 offset1:1
	s_waitcnt lgkmcnt(1)
	v_ashrrev_i32_e32 v124, s3, v124
	s_waitcnt lgkmcnt(0)
	v_ashrrev_i32_e32 v126, s22, v126
	v_lshlrev_b32_e32 v126, 2, v126
	v_and_b32_e32 v134, 0x3030303, v124
	v_bfe_u32 v124, v124, 24, 2
	v_and_b32_e32 v126, 0x4040404, v126
	;; [unrolled: 31-line block ×3, first 2 shown]
	v_sub_u16_e32 v130, v128, v126
	v_sub_u16_sdwa v136, v128, v126 dst_sel:BYTE_1 dst_unused:UNUSED_PAD src0_sel:BYTE_1 src1_sel:BYTE_1
	v_sub_u16_sdwa v124, v124, v126 dst_sel:BYTE_1 dst_unused:UNUSED_PAD src0_sel:DWORD src1_sel:BYTE_3
	v_sub_u16_sdwa v126, v128, v126 dst_sel:DWORD dst_unused:UNUSED_PAD src0_sel:WORD_1 src1_sel:WORD_1
	v_or_b32_sdwa v130, v130, v136 dst_sel:DWORD dst_unused:UNUSED_PAD src0_sel:BYTE_0 src1_sel:DWORD
	v_or_b32_sdwa v124, v126, v124 dst_sel:WORD_1 dst_unused:UNUSED_PAD src0_sel:BYTE_0 src1_sel:DWORD
	v_ashrrev_i32_e32 v127, s22, v127
	v_or_b32_sdwa v126, v130, v124 dst_sel:DWORD dst_unused:UNUSED_PAD src0_sel:WORD_0 src1_sel:DWORD
	v_ashrrev_i32_e32 v124, s3, v125
	v_lshlrev_b32_e32 v127, 2, v127
	v_and_b32_e32 v125, 0x3030303, v124
	v_bfe_u32 v124, v124, 24, 2
	v_and_b32_e32 v127, 0x4040404, v127
	v_sub_u16_e32 v128, v125, v127
	v_sub_u16_sdwa v130, v125, v127 dst_sel:BYTE_1 dst_unused:UNUSED_PAD src0_sel:BYTE_1 src1_sel:BYTE_1
	v_sub_u16_sdwa v124, v124, v127 dst_sel:BYTE_1 dst_unused:UNUSED_PAD src0_sel:DWORD src1_sel:BYTE_3
	v_sub_u16_sdwa v125, v125, v127 dst_sel:DWORD dst_unused:UNUSED_PAD src0_sel:WORD_1 src1_sel:WORD_1
	v_or_b32_sdwa v128, v128, v130 dst_sel:DWORD dst_unused:UNUSED_PAD src0_sel:BYTE_0 src1_sel:DWORD
	v_or_b32_sdwa v124, v125, v124 dst_sel:WORD_1 dst_unused:UNUSED_PAD src0_sel:BYTE_0 src1_sel:DWORD
	v_or_b32_sdwa v125, v128, v124 dst_sel:DWORD dst_unused:UNUSED_PAD src0_sel:WORD_0 src1_sel:DWORD
	v_add3_u32 v124, v75, s34, v123
	v_add_u32_e32 v127, s37, v39
	ds_read_b32 v127, v127
	ds_read_u16 v124, v124
	v_mov_b32_e32 v128, 0
	v_dot4c_i32_i8_e32 v128, v129, v6
	v_dot4c_i32_i8_e32 v128, v131, v7
	;; [unrolled: 1-line block ×4, first 2 shown]
	s_waitcnt lgkmcnt(0)
	v_lshrrev_b16_e32 v129, 8, v124
	v_bfe_i32 v124, v124, 0, 8
	v_add_lshl_u32 v130, v41, s35, 2
	v_mul_lo_u32 v124, v128, v124
	v_mov_b32_e32 v128, 0
	v_dot4c_i32_i8_e32 v128, v134, v2
	v_dot4c_i32_i8_e32 v128, v135, v3
	;; [unrolled: 1-line block ×4, first 2 shown]
	v_bfe_i32 v125, v129, 0, 8
	v_add_u32_e32 v126, 0x4200, v130
	s_nop 0
	v_mad_u64_u32 v[124:125], s[38:39], v128, v125, v[124:125]
	v_cvt_f32_i32_e32 v124, v124
	v_mul_f32_e32 v125, v122, v127
	v_add_u32_e32 v128, s36, v43
	ds_read2_b32 v[126:127], v126 offset1:1
	v_fmac_f32_e32 v113, v125, v124
	ds_read2_b32 v[124:125], v128 offset1:1
	s_waitcnt lgkmcnt(1)
	v_ashrrev_i32_e32 v126, s22, v126
	v_lshlrev_b32_e32 v126, 2, v126
	s_waitcnt lgkmcnt(0)
	v_ashrrev_i32_e32 v124, s3, v124
	v_and_b32_e32 v129, 0x3030303, v124
	v_bfe_u32 v124, v124, 24, 2
	v_and_b32_e32 v126, 0x4040404, v126
	v_sub_u16_e32 v131, v129, v126
	v_sub_u16_sdwa v132, v129, v126 dst_sel:BYTE_1 dst_unused:UNUSED_PAD src0_sel:BYTE_1 src1_sel:BYTE_1
	v_sub_u16_sdwa v124, v124, v126 dst_sel:BYTE_1 dst_unused:UNUSED_PAD src0_sel:DWORD src1_sel:BYTE_3
	v_sub_u16_sdwa v126, v129, v126 dst_sel:DWORD dst_unused:UNUSED_PAD src0_sel:WORD_1 src1_sel:WORD_1
	v_or_b32_sdwa v131, v131, v132 dst_sel:DWORD dst_unused:UNUSED_PAD src0_sel:BYTE_0 src1_sel:DWORD
	v_or_b32_sdwa v124, v126, v124 dst_sel:WORD_1 dst_unused:UNUSED_PAD src0_sel:BYTE_0 src1_sel:DWORD
	v_ashrrev_i32_e32 v126, s22, v127
	v_or_b32_sdwa v129, v131, v124 dst_sel:DWORD dst_unused:UNUSED_PAD src0_sel:WORD_0 src1_sel:DWORD
	v_ashrrev_i32_e32 v124, s3, v125
	v_lshlrev_b32_e32 v126, 2, v126
	v_and_b32_e32 v125, 0x3030303, v124
	v_bfe_u32 v124, v124, 24, 2
	v_and_b32_e32 v126, 0x4040404, v126
	v_sub_u16_e32 v127, v125, v126
	v_sub_u16_sdwa v131, v125, v126 dst_sel:BYTE_1 dst_unused:UNUSED_PAD src0_sel:BYTE_1 src1_sel:BYTE_1
	v_sub_u16_sdwa v124, v124, v126 dst_sel:BYTE_1 dst_unused:UNUSED_PAD src0_sel:DWORD src1_sel:BYTE_3
	v_sub_u16_sdwa v125, v125, v126 dst_sel:DWORD dst_unused:UNUSED_PAD src0_sel:WORD_1 src1_sel:WORD_1
	v_or_b32_sdwa v127, v127, v131 dst_sel:DWORD dst_unused:UNUSED_PAD src0_sel:BYTE_0 src1_sel:DWORD
	v_or_b32_sdwa v124, v125, v124 dst_sel:WORD_1 dst_unused:UNUSED_PAD src0_sel:BYTE_0 src1_sel:DWORD
	v_add_u32_e32 v126, 0x4208, v130
	v_or_b32_sdwa v131, v127, v124 dst_sel:DWORD dst_unused:UNUSED_PAD src0_sel:WORD_0 src1_sel:DWORD
	ds_read2_b32 v[124:125], v128 offset0:2 offset1:3
	ds_read2_b32 v[126:127], v126 offset1:1
	s_waitcnt lgkmcnt(1)
	v_ashrrev_i32_e32 v124, s3, v124
	s_waitcnt lgkmcnt(0)
	v_ashrrev_i32_e32 v126, s22, v126
	v_lshlrev_b32_e32 v126, 2, v126
	v_and_b32_e32 v132, 0x3030303, v124
	v_bfe_u32 v124, v124, 24, 2
	v_and_b32_e32 v126, 0x4040404, v126
	v_sub_u16_e32 v133, v132, v126
	v_sub_u16_sdwa v134, v132, v126 dst_sel:BYTE_1 dst_unused:UNUSED_PAD src0_sel:BYTE_1 src1_sel:BYTE_1
	v_sub_u16_sdwa v124, v124, v126 dst_sel:BYTE_1 dst_unused:UNUSED_PAD src0_sel:DWORD src1_sel:BYTE_3
	v_sub_u16_sdwa v126, v132, v126 dst_sel:DWORD dst_unused:UNUSED_PAD src0_sel:WORD_1 src1_sel:WORD_1
	v_or_b32_sdwa v133, v133, v134 dst_sel:DWORD dst_unused:UNUSED_PAD src0_sel:BYTE_0 src1_sel:DWORD
	v_or_b32_sdwa v124, v126, v124 dst_sel:WORD_1 dst_unused:UNUSED_PAD src0_sel:BYTE_0 src1_sel:DWORD
	v_ashrrev_i32_e32 v126, s22, v127
	v_or_b32_sdwa v132, v133, v124 dst_sel:DWORD dst_unused:UNUSED_PAD src0_sel:WORD_0 src1_sel:DWORD
	v_ashrrev_i32_e32 v124, s3, v125
	v_lshlrev_b32_e32 v126, 2, v126
	v_and_b32_e32 v125, 0x3030303, v124
	v_bfe_u32 v124, v124, 24, 2
	v_and_b32_e32 v126, 0x4040404, v126
	v_sub_u16_e32 v127, v125, v126
	v_sub_u16_sdwa v133, v125, v126 dst_sel:BYTE_1 dst_unused:UNUSED_PAD src0_sel:BYTE_1 src1_sel:BYTE_1
	v_sub_u16_sdwa v124, v124, v126 dst_sel:BYTE_1 dst_unused:UNUSED_PAD src0_sel:DWORD src1_sel:BYTE_3
	v_sub_u16_sdwa v125, v125, v126 dst_sel:DWORD dst_unused:UNUSED_PAD src0_sel:WORD_1 src1_sel:WORD_1
	v_or_b32_sdwa v127, v127, v133 dst_sel:DWORD dst_unused:UNUSED_PAD src0_sel:BYTE_0 src1_sel:DWORD
	v_or_b32_sdwa v124, v125, v124 dst_sel:WORD_1 dst_unused:UNUSED_PAD src0_sel:BYTE_0 src1_sel:DWORD
	v_add_u32_e32 v126, 0x4210, v130
	v_or_b32_sdwa v133, v127, v124 dst_sel:DWORD dst_unused:UNUSED_PAD src0_sel:WORD_0 src1_sel:DWORD
	ds_read2_b32 v[124:125], v128 offset0:4 offset1:5
	ds_read2_b32 v[126:127], v126 offset1:1
	s_waitcnt lgkmcnt(1)
	v_ashrrev_i32_e32 v124, s3, v124
	s_waitcnt lgkmcnt(0)
	v_ashrrev_i32_e32 v126, s22, v126
	v_lshlrev_b32_e32 v126, 2, v126
	;; [unrolled: 31-line block ×3, first 2 shown]
	v_and_b32_e32 v128, 0x3030303, v124
	v_bfe_u32 v124, v124, 24, 2
	v_and_b32_e32 v126, 0x4040404, v126
	v_sub_u16_e32 v130, v128, v126
	v_sub_u16_sdwa v136, v128, v126 dst_sel:BYTE_1 dst_unused:UNUSED_PAD src0_sel:BYTE_1 src1_sel:BYTE_1
	v_sub_u16_sdwa v124, v124, v126 dst_sel:BYTE_1 dst_unused:UNUSED_PAD src0_sel:DWORD src1_sel:BYTE_3
	v_sub_u16_sdwa v126, v128, v126 dst_sel:DWORD dst_unused:UNUSED_PAD src0_sel:WORD_1 src1_sel:WORD_1
	v_or_b32_sdwa v130, v130, v136 dst_sel:DWORD dst_unused:UNUSED_PAD src0_sel:BYTE_0 src1_sel:DWORD
	v_or_b32_sdwa v124, v126, v124 dst_sel:WORD_1 dst_unused:UNUSED_PAD src0_sel:BYTE_0 src1_sel:DWORD
	v_ashrrev_i32_e32 v127, s22, v127
	v_or_b32_sdwa v126, v130, v124 dst_sel:DWORD dst_unused:UNUSED_PAD src0_sel:WORD_0 src1_sel:DWORD
	v_ashrrev_i32_e32 v124, s3, v125
	v_lshlrev_b32_e32 v127, 2, v127
	v_and_b32_e32 v125, 0x3030303, v124
	v_bfe_u32 v124, v124, 24, 2
	v_and_b32_e32 v127, 0x4040404, v127
	v_sub_u16_e32 v128, v125, v127
	v_sub_u16_sdwa v130, v125, v127 dst_sel:BYTE_1 dst_unused:UNUSED_PAD src0_sel:BYTE_1 src1_sel:BYTE_1
	v_sub_u16_sdwa v124, v124, v127 dst_sel:BYTE_1 dst_unused:UNUSED_PAD src0_sel:DWORD src1_sel:BYTE_3
	v_sub_u16_sdwa v125, v125, v127 dst_sel:DWORD dst_unused:UNUSED_PAD src0_sel:WORD_1 src1_sel:WORD_1
	v_or_b32_sdwa v128, v128, v130 dst_sel:DWORD dst_unused:UNUSED_PAD src0_sel:BYTE_0 src1_sel:DWORD
	v_or_b32_sdwa v124, v125, v124 dst_sel:WORD_1 dst_unused:UNUSED_PAD src0_sel:BYTE_0 src1_sel:DWORD
	v_or_b32_sdwa v125, v128, v124 dst_sel:DWORD dst_unused:UNUSED_PAD src0_sel:WORD_0 src1_sel:DWORD
	v_add3_u32 v124, v73, s34, v123
	v_add_u32_e32 v127, s37, v45
	ds_read_b32 v127, v127
	ds_read_u16 v124, v124
	v_mov_b32_e32 v128, 0
	v_dot4c_i32_i8_e32 v128, v129, v6
	v_dot4c_i32_i8_e32 v128, v131, v7
	;; [unrolled: 1-line block ×4, first 2 shown]
	s_waitcnt lgkmcnt(0)
	v_lshrrev_b16_e32 v129, 8, v124
	v_bfe_i32 v124, v124, 0, 8
	v_add_lshl_u32 v130, v47, s35, 2
	v_mul_lo_u32 v124, v128, v124
	v_mov_b32_e32 v128, 0
	v_dot4c_i32_i8_e32 v128, v134, v2
	v_dot4c_i32_i8_e32 v128, v135, v3
	;; [unrolled: 1-line block ×4, first 2 shown]
	v_bfe_i32 v125, v129, 0, 8
	v_add_u32_e32 v126, 0x4200, v130
	v_add3_u32 v123, v71, s34, v123
	v_mad_u64_u32 v[124:125], s[38:39], v128, v125, v[124:125]
	v_cvt_f32_i32_e32 v124, v124
	v_mul_f32_e32 v125, v122, v127
	v_add_u32_e32 v128, s36, v49
	ds_read2_b32 v[126:127], v126 offset1:1
	v_fmac_f32_e32 v117, v125, v124
	ds_read2_b32 v[124:125], v128 offset1:1
	s_waitcnt lgkmcnt(1)
	v_ashrrev_i32_e32 v126, s22, v126
	v_lshlrev_b32_e32 v126, 2, v126
	s_waitcnt lgkmcnt(0)
	v_ashrrev_i32_e32 v124, s3, v124
	v_and_b32_e32 v129, 0x3030303, v124
	v_bfe_u32 v124, v124, 24, 2
	v_and_b32_e32 v126, 0x4040404, v126
	v_sub_u16_e32 v131, v129, v126
	v_sub_u16_sdwa v132, v129, v126 dst_sel:BYTE_1 dst_unused:UNUSED_PAD src0_sel:BYTE_1 src1_sel:BYTE_1
	v_sub_u16_sdwa v124, v124, v126 dst_sel:BYTE_1 dst_unused:UNUSED_PAD src0_sel:DWORD src1_sel:BYTE_3
	v_sub_u16_sdwa v126, v129, v126 dst_sel:DWORD dst_unused:UNUSED_PAD src0_sel:WORD_1 src1_sel:WORD_1
	v_or_b32_sdwa v131, v131, v132 dst_sel:DWORD dst_unused:UNUSED_PAD src0_sel:BYTE_0 src1_sel:DWORD
	v_or_b32_sdwa v124, v126, v124 dst_sel:WORD_1 dst_unused:UNUSED_PAD src0_sel:BYTE_0 src1_sel:DWORD
	v_ashrrev_i32_e32 v126, s22, v127
	v_or_b32_sdwa v129, v131, v124 dst_sel:DWORD dst_unused:UNUSED_PAD src0_sel:WORD_0 src1_sel:DWORD
	v_ashrrev_i32_e32 v124, s3, v125
	v_lshlrev_b32_e32 v126, 2, v126
	v_and_b32_e32 v125, 0x3030303, v124
	v_bfe_u32 v124, v124, 24, 2
	v_and_b32_e32 v126, 0x4040404, v126
	v_sub_u16_e32 v127, v125, v126
	v_sub_u16_sdwa v131, v125, v126 dst_sel:BYTE_1 dst_unused:UNUSED_PAD src0_sel:BYTE_1 src1_sel:BYTE_1
	v_sub_u16_sdwa v124, v124, v126 dst_sel:BYTE_1 dst_unused:UNUSED_PAD src0_sel:DWORD src1_sel:BYTE_3
	v_sub_u16_sdwa v125, v125, v126 dst_sel:DWORD dst_unused:UNUSED_PAD src0_sel:WORD_1 src1_sel:WORD_1
	v_or_b32_sdwa v127, v127, v131 dst_sel:DWORD dst_unused:UNUSED_PAD src0_sel:BYTE_0 src1_sel:DWORD
	v_or_b32_sdwa v124, v125, v124 dst_sel:WORD_1 dst_unused:UNUSED_PAD src0_sel:BYTE_0 src1_sel:DWORD
	v_add_u32_e32 v126, 0x4208, v130
	v_or_b32_sdwa v131, v127, v124 dst_sel:DWORD dst_unused:UNUSED_PAD src0_sel:WORD_0 src1_sel:DWORD
	ds_read2_b32 v[124:125], v128 offset0:2 offset1:3
	ds_read2_b32 v[126:127], v126 offset1:1
	s_waitcnt lgkmcnt(1)
	v_ashrrev_i32_e32 v124, s3, v124
	s_waitcnt lgkmcnt(0)
	v_ashrrev_i32_e32 v126, s22, v126
	v_lshlrev_b32_e32 v126, 2, v126
	v_and_b32_e32 v132, 0x3030303, v124
	v_bfe_u32 v124, v124, 24, 2
	v_and_b32_e32 v126, 0x4040404, v126
	v_sub_u16_e32 v133, v132, v126
	v_sub_u16_sdwa v134, v132, v126 dst_sel:BYTE_1 dst_unused:UNUSED_PAD src0_sel:BYTE_1 src1_sel:BYTE_1
	v_sub_u16_sdwa v124, v124, v126 dst_sel:BYTE_1 dst_unused:UNUSED_PAD src0_sel:DWORD src1_sel:BYTE_3
	v_sub_u16_sdwa v126, v132, v126 dst_sel:DWORD dst_unused:UNUSED_PAD src0_sel:WORD_1 src1_sel:WORD_1
	v_or_b32_sdwa v133, v133, v134 dst_sel:DWORD dst_unused:UNUSED_PAD src0_sel:BYTE_0 src1_sel:DWORD
	v_or_b32_sdwa v124, v126, v124 dst_sel:WORD_1 dst_unused:UNUSED_PAD src0_sel:BYTE_0 src1_sel:DWORD
	v_ashrrev_i32_e32 v126, s22, v127
	v_or_b32_sdwa v132, v133, v124 dst_sel:DWORD dst_unused:UNUSED_PAD src0_sel:WORD_0 src1_sel:DWORD
	v_ashrrev_i32_e32 v124, s3, v125
	v_lshlrev_b32_e32 v126, 2, v126
	v_and_b32_e32 v125, 0x3030303, v124
	v_bfe_u32 v124, v124, 24, 2
	v_and_b32_e32 v126, 0x4040404, v126
	v_sub_u16_e32 v127, v125, v126
	v_sub_u16_sdwa v133, v125, v126 dst_sel:BYTE_1 dst_unused:UNUSED_PAD src0_sel:BYTE_1 src1_sel:BYTE_1
	v_sub_u16_sdwa v124, v124, v126 dst_sel:BYTE_1 dst_unused:UNUSED_PAD src0_sel:DWORD src1_sel:BYTE_3
	v_sub_u16_sdwa v125, v125, v126 dst_sel:DWORD dst_unused:UNUSED_PAD src0_sel:WORD_1 src1_sel:WORD_1
	v_or_b32_sdwa v127, v127, v133 dst_sel:DWORD dst_unused:UNUSED_PAD src0_sel:BYTE_0 src1_sel:DWORD
	v_or_b32_sdwa v124, v125, v124 dst_sel:WORD_1 dst_unused:UNUSED_PAD src0_sel:BYTE_0 src1_sel:DWORD
	v_add_u32_e32 v126, 0x4210, v130
	v_or_b32_sdwa v133, v127, v124 dst_sel:DWORD dst_unused:UNUSED_PAD src0_sel:WORD_0 src1_sel:DWORD
	ds_read2_b32 v[124:125], v128 offset0:4 offset1:5
	ds_read2_b32 v[126:127], v126 offset1:1
	s_waitcnt lgkmcnt(1)
	v_ashrrev_i32_e32 v124, s3, v124
	s_waitcnt lgkmcnt(0)
	v_ashrrev_i32_e32 v126, s22, v126
	v_lshlrev_b32_e32 v126, 2, v126
	;; [unrolled: 31-line block ×3, first 2 shown]
	v_and_b32_e32 v128, 0x3030303, v124
	v_bfe_u32 v124, v124, 24, 2
	v_and_b32_e32 v126, 0x4040404, v126
	v_ashrrev_i32_e32 v127, s22, v127
	v_sub_u16_e32 v130, v128, v126
	v_sub_u16_sdwa v136, v128, v126 dst_sel:BYTE_1 dst_unused:UNUSED_PAD src0_sel:BYTE_1 src1_sel:BYTE_1
	v_sub_u16_sdwa v124, v124, v126 dst_sel:BYTE_1 dst_unused:UNUSED_PAD src0_sel:DWORD src1_sel:BYTE_3
	v_sub_u16_sdwa v126, v128, v126 dst_sel:DWORD dst_unused:UNUSED_PAD src0_sel:WORD_1 src1_sel:WORD_1
	v_ashrrev_i32_e32 v125, s3, v125
	v_lshlrev_b32_e32 v127, 2, v127
	v_or_b32_sdwa v130, v130, v136 dst_sel:DWORD dst_unused:UNUSED_PAD src0_sel:BYTE_0 src1_sel:DWORD
	v_or_b32_sdwa v124, v126, v124 dst_sel:WORD_1 dst_unused:UNUSED_PAD src0_sel:BYTE_0 src1_sel:DWORD
	v_and_b32_e32 v126, 0x3030303, v125
	v_bfe_u32 v125, v125, 24, 2
	v_and_b32_e32 v127, 0x4040404, v127
	v_or_b32_sdwa v124, v130, v124 dst_sel:DWORD dst_unused:UNUSED_PAD src0_sel:WORD_0 src1_sel:DWORD
	v_sub_u16_e32 v128, v126, v127
	v_sub_u16_sdwa v130, v126, v127 dst_sel:BYTE_1 dst_unused:UNUSED_PAD src0_sel:BYTE_1 src1_sel:BYTE_1
	v_sub_u16_sdwa v125, v125, v127 dst_sel:BYTE_1 dst_unused:UNUSED_PAD src0_sel:DWORD src1_sel:BYTE_3
	v_sub_u16_sdwa v126, v126, v127 dst_sel:DWORD dst_unused:UNUSED_PAD src0_sel:WORD_1 src1_sel:WORD_1
	v_or_b32_sdwa v125, v126, v125 dst_sel:WORD_1 dst_unused:UNUSED_PAD src0_sel:BYTE_0 src1_sel:DWORD
	v_add_u32_e32 v126, s37, v51
	v_mov_b32_e32 v127, 0
	ds_read_b32 v126, v126
	v_dot4c_i32_i8_e32 v127, v129, v6
	ds_read_u16 v6, v123
	v_dot4c_i32_i8_e32 v127, v131, v7
	v_dot4c_i32_i8_e32 v127, v132, v8
	v_mov_b32_e32 v8, 0
	v_dot4c_i32_i8_e32 v8, v134, v2
	v_or_b32_sdwa v128, v128, v130 dst_sel:DWORD dst_unused:UNUSED_PAD src0_sel:BYTE_0 src1_sel:DWORD
	v_dot4c_i32_i8_e32 v8, v135, v3
	v_or_b32_sdwa v125, v128, v125 dst_sel:DWORD dst_unused:UNUSED_PAD src0_sel:WORD_0 src1_sel:DWORD
	v_dot4c_i32_i8_e32 v127, v133, v9
	s_waitcnt lgkmcnt(0)
	v_lshrrev_b16_e32 v7, 8, v6
	v_bfe_i32 v6, v6, 0, 8
	v_dot4c_i32_i8_e32 v8, v124, v4
	v_mul_lo_u32 v6, v127, v6
	v_dot4c_i32_i8_e32 v8, v125, v5
	v_bfe_i32 v2, v7, 0, 8
	s_add_i32 s3, s3, 2
	s_add_i32 s22, s22, 1
	v_mad_u64_u32 v[2:3], s[34:35], v8, v2, v[6:7]
	v_cvt_f32_i32_e32 v2, v2
	v_mul_f32_e32 v3, v122, v126
	s_cmp_lt_u32 s23, 14
	v_fmac_f32_e32 v118, v3, v2
	s_cbranch_scc1 .LBB210_20
; %bb.21:                               ;   in Loop: Header=BB210_5 Depth=1
	s_or_b32 s2, s33, 0x100
	s_cmp_ge_i32 s2, s9
	s_barrier
	s_cbranch_scc1 .LBB210_4
; %bb.22:                               ;   in Loop: Header=BB210_5 Depth=1
	v_add_u32_e32 v2, s31, v55
	v_cmp_gt_i32_e64 s[2:3], s12, v2
	s_and_b64 s[22:23], s[0:1], s[2:3]
	s_and_saveexec_b64 s[2:3], s[22:23]
	s_cbranch_execz .LBB210_24
; %bb.23:                               ;   in Loop: Header=BB210_5 Depth=1
	v_add_u32_e32 v2, v116, v2
	v_mad_i64_i32 v[2:3], s[22:23], v2, 36, v[114:115]
	global_load_dword v2, v[2:3], off offset:4
	s_waitcnt vmcnt(0)
	ds_write_b32 v23, v2
.LBB210_24:                             ;   in Loop: Header=BB210_5 Depth=1
	s_or_b64 exec, exec, s[2:3]
	s_and_saveexec_b64 s[22:23], vcc
	s_cbranch_execz .LBB210_27
; %bb.25:                               ;   in Loop: Header=BB210_5 Depth=1
	v_or_b32_e32 v2, s31, v13
	v_or_b32_e32 v3, 8, v2
	v_cmp_gt_i32_e64 s[2:3], s12, v3
	s_and_b64 s[2:3], s[0:1], s[2:3]
	s_and_b64 exec, exec, s[2:3]
	s_cbranch_execz .LBB210_27
; %bb.26:                               ;   in Loop: Header=BB210_5 Depth=1
	v_ashrrev_i32_e32 v3, 31, v2
	v_add_co_u32_e64 v2, s[2:3], v116, v2
	v_addc_co_u32_e64 v4, s[2:3], v1, v3, s[2:3]
	v_mad_u64_u32 v[2:3], s[2:3], v2, 36, s[18:19]
	v_mad_i32_i24 v3, v4, 36, v3
	global_load_dword v2, v[2:3], off
	s_waitcnt vmcnt(0)
	v_cvt_f32_f16_e32 v2, v2
	ds_write_b32 v25, v2
.LBB210_27:                             ;   in Loop: Header=BB210_5 Depth=1
	s_or_b64 exec, exec, s[22:23]
	s_mov_b32 s2, 16
	s_mov_b32 s35, 14
	;; [unrolled: 1-line block ×3, first 2 shown]
	v_mov_b32_e32 v120, v67
	v_mov_b32_e32 v121, v69
	s_waitcnt lgkmcnt(0)
	s_barrier
.LBB210_28:                             ;   Parent Loop BB210_5 Depth=1
                                        ; =>  This Inner Loop Header: Depth=2
	s_add_i32 s22, s35, 2
	s_lshr_b32 s38, s22, 4
	s_and_b32 s36, s22, 0x3ffffff8
	s_lshl_b32 s34, s38, 3
	s_lshl_b32 s36, s36, 2
	v_add_lshl_u32 v129, v29, s34, 2
	v_add_u32_e32 v123, s36, v31
	v_add_u32_e32 v126, 0x4200, v129
	ds_read_b32 v122, v121
	ds_read_b128 v[6:9], v120
	ds_read_b128 v[2:5], v120 offset:16
	ds_read2_b32 v[124:125], v123 offset1:1
	ds_read2_b32 v[126:127], v126 offset1:1
	s_add_i32 s23, s35, -14
	s_and_b32 s37, s2, -16
	s_add_i32 s35, s35, s37
	s_waitcnt lgkmcnt(1)
	v_ashrrev_i32_e32 v124, s23, v124
	s_waitcnt lgkmcnt(0)
	v_ashrrev_i32_e32 v126, s3, v126
	v_lshlrev_b32_e32 v126, 2, v126
	v_and_b32_e32 v128, 0x3030303, v124
	v_bfe_u32 v124, v124, 24, 2
	v_and_b32_e32 v126, 0x4040404, v126
	v_sub_u16_e32 v130, v128, v126
	v_sub_u16_sdwa v131, v128, v126 dst_sel:BYTE_1 dst_unused:UNUSED_PAD src0_sel:BYTE_1 src1_sel:BYTE_1
	v_sub_u16_sdwa v124, v124, v126 dst_sel:BYTE_1 dst_unused:UNUSED_PAD src0_sel:DWORD src1_sel:BYTE_3
	v_sub_u16_sdwa v126, v128, v126 dst_sel:DWORD dst_unused:UNUSED_PAD src0_sel:WORD_1 src1_sel:WORD_1
	v_or_b32_sdwa v130, v130, v131 dst_sel:DWORD dst_unused:UNUSED_PAD src0_sel:BYTE_0 src1_sel:DWORD
	v_or_b32_sdwa v124, v126, v124 dst_sel:WORD_1 dst_unused:UNUSED_PAD src0_sel:BYTE_0 src1_sel:DWORD
	v_ashrrev_i32_e32 v126, s3, v127
	v_or_b32_sdwa v128, v130, v124 dst_sel:DWORD dst_unused:UNUSED_PAD src0_sel:WORD_0 src1_sel:DWORD
	v_ashrrev_i32_e32 v124, s23, v125
	v_lshlrev_b32_e32 v126, 2, v126
	v_and_b32_e32 v125, 0x3030303, v124
	v_bfe_u32 v124, v124, 24, 2
	v_and_b32_e32 v126, 0x4040404, v126
	v_sub_u16_e32 v127, v125, v126
	v_sub_u16_sdwa v130, v125, v126 dst_sel:BYTE_1 dst_unused:UNUSED_PAD src0_sel:BYTE_1 src1_sel:BYTE_1
	v_sub_u16_sdwa v124, v124, v126 dst_sel:BYTE_1 dst_unused:UNUSED_PAD src0_sel:DWORD src1_sel:BYTE_3
	v_sub_u16_sdwa v125, v125, v126 dst_sel:DWORD dst_unused:UNUSED_PAD src0_sel:WORD_1 src1_sel:WORD_1
	v_or_b32_sdwa v127, v127, v130 dst_sel:DWORD dst_unused:UNUSED_PAD src0_sel:BYTE_0 src1_sel:DWORD
	v_or_b32_sdwa v124, v125, v124 dst_sel:WORD_1 dst_unused:UNUSED_PAD src0_sel:BYTE_0 src1_sel:DWORD
	v_add_u32_e32 v126, 0x4208, v129
	v_or_b32_sdwa v130, v127, v124 dst_sel:DWORD dst_unused:UNUSED_PAD src0_sel:WORD_0 src1_sel:DWORD
	ds_read2_b32 v[124:125], v123 offset0:2 offset1:3
	ds_read2_b32 v[126:127], v126 offset1:1
	s_lshl_b32 s37, s38, 2
	s_add_i32 s2, s2, 2
	v_add_u32_e32 v121, 4, v121
	s_waitcnt lgkmcnt(1)
	v_ashrrev_i32_e32 v124, s23, v124
	s_waitcnt lgkmcnt(0)
	v_ashrrev_i32_e32 v126, s3, v126
	v_lshlrev_b32_e32 v126, 2, v126
	v_and_b32_e32 v131, 0x3030303, v124
	v_bfe_u32 v124, v124, 24, 2
	v_and_b32_e32 v126, 0x4040404, v126
	v_sub_u16_e32 v132, v131, v126
	v_sub_u16_sdwa v133, v131, v126 dst_sel:BYTE_1 dst_unused:UNUSED_PAD src0_sel:BYTE_1 src1_sel:BYTE_1
	v_sub_u16_sdwa v124, v124, v126 dst_sel:BYTE_1 dst_unused:UNUSED_PAD src0_sel:DWORD src1_sel:BYTE_3
	v_sub_u16_sdwa v126, v131, v126 dst_sel:DWORD dst_unused:UNUSED_PAD src0_sel:WORD_1 src1_sel:WORD_1
	v_or_b32_sdwa v132, v132, v133 dst_sel:DWORD dst_unused:UNUSED_PAD src0_sel:BYTE_0 src1_sel:DWORD
	v_or_b32_sdwa v124, v126, v124 dst_sel:WORD_1 dst_unused:UNUSED_PAD src0_sel:BYTE_0 src1_sel:DWORD
	v_ashrrev_i32_e32 v126, s3, v127
	v_or_b32_sdwa v131, v132, v124 dst_sel:DWORD dst_unused:UNUSED_PAD src0_sel:WORD_0 src1_sel:DWORD
	v_ashrrev_i32_e32 v124, s23, v125
	v_lshlrev_b32_e32 v126, 2, v126
	v_and_b32_e32 v125, 0x3030303, v124
	v_bfe_u32 v124, v124, 24, 2
	v_and_b32_e32 v126, 0x4040404, v126
	v_sub_u16_e32 v127, v125, v126
	v_sub_u16_sdwa v132, v125, v126 dst_sel:BYTE_1 dst_unused:UNUSED_PAD src0_sel:BYTE_1 src1_sel:BYTE_1
	v_sub_u16_sdwa v124, v124, v126 dst_sel:BYTE_1 dst_unused:UNUSED_PAD src0_sel:DWORD src1_sel:BYTE_3
	v_sub_u16_sdwa v125, v125, v126 dst_sel:DWORD dst_unused:UNUSED_PAD src0_sel:WORD_1 src1_sel:WORD_1
	v_or_b32_sdwa v127, v127, v132 dst_sel:DWORD dst_unused:UNUSED_PAD src0_sel:BYTE_0 src1_sel:DWORD
	v_or_b32_sdwa v124, v125, v124 dst_sel:WORD_1 dst_unused:UNUSED_PAD src0_sel:BYTE_0 src1_sel:DWORD
	v_add_u32_e32 v126, 0x4210, v129
	v_or_b32_sdwa v132, v127, v124 dst_sel:DWORD dst_unused:UNUSED_PAD src0_sel:WORD_0 src1_sel:DWORD
	ds_read2_b32 v[124:125], v123 offset0:4 offset1:5
	ds_read2_b32 v[126:127], v126 offset1:1
	v_add_u32_e32 v120, 32, v120
	s_waitcnt lgkmcnt(1)
	v_ashrrev_i32_e32 v124, s23, v124
	s_waitcnt lgkmcnt(0)
	v_ashrrev_i32_e32 v126, s3, v126
	v_lshlrev_b32_e32 v126, 2, v126
	v_and_b32_e32 v133, 0x3030303, v124
	v_bfe_u32 v124, v124, 24, 2
	v_and_b32_e32 v126, 0x4040404, v126
	v_sub_u16_e32 v134, v133, v126
	v_sub_u16_sdwa v135, v133, v126 dst_sel:BYTE_1 dst_unused:UNUSED_PAD src0_sel:BYTE_1 src1_sel:BYTE_1
	v_sub_u16_sdwa v124, v124, v126 dst_sel:BYTE_1 dst_unused:UNUSED_PAD src0_sel:DWORD src1_sel:BYTE_3
	v_sub_u16_sdwa v126, v133, v126 dst_sel:DWORD dst_unused:UNUSED_PAD src0_sel:WORD_1 src1_sel:WORD_1
	v_or_b32_sdwa v134, v134, v135 dst_sel:DWORD dst_unused:UNUSED_PAD src0_sel:BYTE_0 src1_sel:DWORD
	v_or_b32_sdwa v124, v126, v124 dst_sel:WORD_1 dst_unused:UNUSED_PAD src0_sel:BYTE_0 src1_sel:DWORD
	v_ashrrev_i32_e32 v126, s3, v127
	v_or_b32_sdwa v133, v134, v124 dst_sel:DWORD dst_unused:UNUSED_PAD src0_sel:WORD_0 src1_sel:DWORD
	v_ashrrev_i32_e32 v124, s23, v125
	v_lshlrev_b32_e32 v126, 2, v126
	v_and_b32_e32 v125, 0x3030303, v124
	v_bfe_u32 v124, v124, 24, 2
	v_and_b32_e32 v126, 0x4040404, v126
	v_sub_u16_e32 v127, v125, v126
	v_sub_u16_sdwa v134, v125, v126 dst_sel:BYTE_1 dst_unused:UNUSED_PAD src0_sel:BYTE_1 src1_sel:BYTE_1
	v_sub_u16_sdwa v124, v124, v126 dst_sel:BYTE_1 dst_unused:UNUSED_PAD src0_sel:DWORD src1_sel:BYTE_3
	v_sub_u16_sdwa v125, v125, v126 dst_sel:DWORD dst_unused:UNUSED_PAD src0_sel:WORD_1 src1_sel:WORD_1
	v_or_b32_sdwa v127, v127, v134 dst_sel:DWORD dst_unused:UNUSED_PAD src0_sel:BYTE_0 src1_sel:DWORD
	v_or_b32_sdwa v124, v125, v124 dst_sel:WORD_1 dst_unused:UNUSED_PAD src0_sel:BYTE_0 src1_sel:DWORD
	v_add_u32_e32 v126, 0x4218, v129
	v_or_b32_sdwa v134, v127, v124 dst_sel:DWORD dst_unused:UNUSED_PAD src0_sel:WORD_0 src1_sel:DWORD
	ds_read2_b32 v[124:125], v123 offset0:6 offset1:7
	ds_read2_b32 v[126:127], v126 offset1:1
	s_waitcnt lgkmcnt(1)
	v_ashrrev_i32_e32 v123, s23, v124
	s_waitcnt lgkmcnt(0)
	v_ashrrev_i32_e32 v126, s3, v126
	v_lshlrev_b32_e32 v126, 2, v126
	v_and_b32_e32 v124, 0x3030303, v123
	v_bfe_u32 v123, v123, 24, 2
	v_and_b32_e32 v126, 0x4040404, v126
	v_sub_u16_e32 v129, v124, v126
	v_sub_u16_sdwa v135, v124, v126 dst_sel:BYTE_1 dst_unused:UNUSED_PAD src0_sel:BYTE_1 src1_sel:BYTE_1
	v_sub_u16_sdwa v123, v123, v126 dst_sel:BYTE_1 dst_unused:UNUSED_PAD src0_sel:DWORD src1_sel:BYTE_3
	v_sub_u16_sdwa v124, v124, v126 dst_sel:DWORD dst_unused:UNUSED_PAD src0_sel:WORD_1 src1_sel:WORD_1
	v_ashrrev_i32_e32 v126, s3, v127
	v_or_b32_sdwa v123, v124, v123 dst_sel:WORD_1 dst_unused:UNUSED_PAD src0_sel:BYTE_0 src1_sel:DWORD
	v_ashrrev_i32_e32 v124, s23, v125
	v_lshlrev_b32_e32 v126, 2, v126
	v_or_b32_sdwa v129, v129, v135 dst_sel:DWORD dst_unused:UNUSED_PAD src0_sel:BYTE_0 src1_sel:DWORD
	v_and_b32_e32 v125, 0x3030303, v124
	v_bfe_u32 v124, v124, 24, 2
	v_and_b32_e32 v126, 0x4040404, v126
	v_or_b32_sdwa v123, v129, v123 dst_sel:DWORD dst_unused:UNUSED_PAD src0_sel:WORD_0 src1_sel:DWORD
	v_sub_u16_e32 v127, v125, v126
	v_sub_u16_sdwa v129, v125, v126 dst_sel:BYTE_1 dst_unused:UNUSED_PAD src0_sel:BYTE_1 src1_sel:BYTE_1
	v_sub_u16_sdwa v124, v124, v126 dst_sel:BYTE_1 dst_unused:UNUSED_PAD src0_sel:DWORD src1_sel:BYTE_3
	v_sub_u16_sdwa v125, v125, v126 dst_sel:DWORD dst_unused:UNUSED_PAD src0_sel:WORD_1 src1_sel:WORD_1
	v_or_b32_sdwa v127, v127, v129 dst_sel:DWORD dst_unused:UNUSED_PAD src0_sel:BYTE_0 src1_sel:DWORD
	v_or_b32_sdwa v124, v125, v124 dst_sel:WORD_1 dst_unused:UNUSED_PAD src0_sel:BYTE_0 src1_sel:DWORD
	v_or_b32_sdwa v125, v127, v124 dst_sel:DWORD dst_unused:UNUSED_PAD src0_sel:WORD_0 src1_sel:DWORD
	v_add_u32_e32 v124, s35, v85
	v_add_u32_e32 v126, s37, v33
	ds_read_b32 v126, v126
	ds_read_u16 v124, v124 offset:25330
	v_mov_b32_e32 v127, 0
	v_dot4c_i32_i8_e32 v127, v128, v6
	v_dot4c_i32_i8_e32 v127, v130, v7
	;; [unrolled: 1-line block ×4, first 2 shown]
	s_waitcnt lgkmcnt(0)
	v_lshrrev_b16_e32 v128, 8, v124
	v_bfe_i32 v124, v124, 0, 8
	v_add_lshl_u32 v129, v35, s34, 2
	v_mul_lo_u32 v124, v127, v124
	v_mov_b32_e32 v127, 0
	v_dot4c_i32_i8_e32 v127, v133, v2
	v_dot4c_i32_i8_e32 v127, v134, v3
	;; [unrolled: 1-line block ×4, first 2 shown]
	v_bfe_i32 v123, v128, 0, 8
                                        ; kill: def $vgpr125 killed $sgpr0 killed $exec
	s_nop 1
	v_mad_u64_u32 v[124:125], s[38:39], v127, v123, v[124:125]
	v_cvt_f32_i32_e32 v124, v124
	v_mul_f32_e32 v123, v122, v126
	v_add_u32_e32 v126, 0x4200, v129
	ds_read2_b32 v[126:127], v126 offset1:1
	v_fmac_f32_e32 v15, v123, v124
	v_add_u32_e32 v123, s36, v37
	ds_read2_b32 v[124:125], v123 offset1:1
	s_waitcnt lgkmcnt(1)
	v_ashrrev_i32_e32 v126, s3, v126
	v_lshlrev_b32_e32 v126, 2, v126
	v_and_b32_e32 v126, 0x4040404, v126
	s_waitcnt lgkmcnt(0)
	v_ashrrev_i32_e32 v124, s23, v124
	v_and_b32_e32 v128, 0x3030303, v124
	v_bfe_u32 v124, v124, 24, 2
	v_sub_u16_e32 v130, v128, v126
	v_sub_u16_sdwa v131, v128, v126 dst_sel:BYTE_1 dst_unused:UNUSED_PAD src0_sel:BYTE_1 src1_sel:BYTE_1
	v_sub_u16_sdwa v124, v124, v126 dst_sel:BYTE_1 dst_unused:UNUSED_PAD src0_sel:DWORD src1_sel:BYTE_3
	v_sub_u16_sdwa v126, v128, v126 dst_sel:DWORD dst_unused:UNUSED_PAD src0_sel:WORD_1 src1_sel:WORD_1
	v_or_b32_sdwa v130, v130, v131 dst_sel:DWORD dst_unused:UNUSED_PAD src0_sel:BYTE_0 src1_sel:DWORD
	v_or_b32_sdwa v124, v126, v124 dst_sel:WORD_1 dst_unused:UNUSED_PAD src0_sel:BYTE_0 src1_sel:DWORD
	v_ashrrev_i32_e32 v126, s3, v127
	v_or_b32_sdwa v128, v130, v124 dst_sel:DWORD dst_unused:UNUSED_PAD src0_sel:WORD_0 src1_sel:DWORD
	v_ashrrev_i32_e32 v124, s23, v125
	v_lshlrev_b32_e32 v126, 2, v126
	v_and_b32_e32 v125, 0x3030303, v124
	v_bfe_u32 v124, v124, 24, 2
	v_and_b32_e32 v126, 0x4040404, v126
	v_sub_u16_e32 v127, v125, v126
	v_sub_u16_sdwa v130, v125, v126 dst_sel:BYTE_1 dst_unused:UNUSED_PAD src0_sel:BYTE_1 src1_sel:BYTE_1
	v_sub_u16_sdwa v124, v124, v126 dst_sel:BYTE_1 dst_unused:UNUSED_PAD src0_sel:DWORD src1_sel:BYTE_3
	v_sub_u16_sdwa v125, v125, v126 dst_sel:DWORD dst_unused:UNUSED_PAD src0_sel:WORD_1 src1_sel:WORD_1
	v_or_b32_sdwa v127, v127, v130 dst_sel:DWORD dst_unused:UNUSED_PAD src0_sel:BYTE_0 src1_sel:DWORD
	v_or_b32_sdwa v124, v125, v124 dst_sel:WORD_1 dst_unused:UNUSED_PAD src0_sel:BYTE_0 src1_sel:DWORD
	v_add_u32_e32 v126, 0x4208, v129
	v_or_b32_sdwa v130, v127, v124 dst_sel:DWORD dst_unused:UNUSED_PAD src0_sel:WORD_0 src1_sel:DWORD
	ds_read2_b32 v[124:125], v123 offset0:2 offset1:3
	ds_read2_b32 v[126:127], v126 offset1:1
	s_waitcnt lgkmcnt(1)
	v_ashrrev_i32_e32 v124, s23, v124
	s_waitcnt lgkmcnt(0)
	v_ashrrev_i32_e32 v126, s3, v126
	v_lshlrev_b32_e32 v126, 2, v126
	v_and_b32_e32 v131, 0x3030303, v124
	v_bfe_u32 v124, v124, 24, 2
	v_and_b32_e32 v126, 0x4040404, v126
	v_sub_u16_e32 v132, v131, v126
	v_sub_u16_sdwa v133, v131, v126 dst_sel:BYTE_1 dst_unused:UNUSED_PAD src0_sel:BYTE_1 src1_sel:BYTE_1
	v_sub_u16_sdwa v124, v124, v126 dst_sel:BYTE_1 dst_unused:UNUSED_PAD src0_sel:DWORD src1_sel:BYTE_3
	v_sub_u16_sdwa v126, v131, v126 dst_sel:DWORD dst_unused:UNUSED_PAD src0_sel:WORD_1 src1_sel:WORD_1
	v_or_b32_sdwa v132, v132, v133 dst_sel:DWORD dst_unused:UNUSED_PAD src0_sel:BYTE_0 src1_sel:DWORD
	v_or_b32_sdwa v124, v126, v124 dst_sel:WORD_1 dst_unused:UNUSED_PAD src0_sel:BYTE_0 src1_sel:DWORD
	v_ashrrev_i32_e32 v126, s3, v127
	v_or_b32_sdwa v131, v132, v124 dst_sel:DWORD dst_unused:UNUSED_PAD src0_sel:WORD_0 src1_sel:DWORD
	v_ashrrev_i32_e32 v124, s23, v125
	v_lshlrev_b32_e32 v126, 2, v126
	v_and_b32_e32 v125, 0x3030303, v124
	v_bfe_u32 v124, v124, 24, 2
	v_and_b32_e32 v126, 0x4040404, v126
	v_sub_u16_e32 v127, v125, v126
	v_sub_u16_sdwa v132, v125, v126 dst_sel:BYTE_1 dst_unused:UNUSED_PAD src0_sel:BYTE_1 src1_sel:BYTE_1
	v_sub_u16_sdwa v124, v124, v126 dst_sel:BYTE_1 dst_unused:UNUSED_PAD src0_sel:DWORD src1_sel:BYTE_3
	v_sub_u16_sdwa v125, v125, v126 dst_sel:DWORD dst_unused:UNUSED_PAD src0_sel:WORD_1 src1_sel:WORD_1
	v_or_b32_sdwa v127, v127, v132 dst_sel:DWORD dst_unused:UNUSED_PAD src0_sel:BYTE_0 src1_sel:DWORD
	v_or_b32_sdwa v124, v125, v124 dst_sel:WORD_1 dst_unused:UNUSED_PAD src0_sel:BYTE_0 src1_sel:DWORD
	v_add_u32_e32 v126, 0x4210, v129
	v_or_b32_sdwa v132, v127, v124 dst_sel:DWORD dst_unused:UNUSED_PAD src0_sel:WORD_0 src1_sel:DWORD
	ds_read2_b32 v[124:125], v123 offset0:4 offset1:5
	ds_read2_b32 v[126:127], v126 offset1:1
	s_waitcnt lgkmcnt(1)
	v_ashrrev_i32_e32 v124, s23, v124
	s_waitcnt lgkmcnt(0)
	v_ashrrev_i32_e32 v126, s3, v126
	v_lshlrev_b32_e32 v126, 2, v126
	v_and_b32_e32 v133, 0x3030303, v124
	v_bfe_u32 v124, v124, 24, 2
	v_and_b32_e32 v126, 0x4040404, v126
	v_sub_u16_e32 v134, v133, v126
	v_sub_u16_sdwa v135, v133, v126 dst_sel:BYTE_1 dst_unused:UNUSED_PAD src0_sel:BYTE_1 src1_sel:BYTE_1
	v_sub_u16_sdwa v124, v124, v126 dst_sel:BYTE_1 dst_unused:UNUSED_PAD src0_sel:DWORD src1_sel:BYTE_3
	v_sub_u16_sdwa v126, v133, v126 dst_sel:DWORD dst_unused:UNUSED_PAD src0_sel:WORD_1 src1_sel:WORD_1
	v_or_b32_sdwa v134, v134, v135 dst_sel:DWORD dst_unused:UNUSED_PAD src0_sel:BYTE_0 src1_sel:DWORD
	v_or_b32_sdwa v124, v126, v124 dst_sel:WORD_1 dst_unused:UNUSED_PAD src0_sel:BYTE_0 src1_sel:DWORD
	v_ashrrev_i32_e32 v126, s3, v127
	v_or_b32_sdwa v133, v134, v124 dst_sel:DWORD dst_unused:UNUSED_PAD src0_sel:WORD_0 src1_sel:DWORD
	v_ashrrev_i32_e32 v124, s23, v125
	v_lshlrev_b32_e32 v126, 2, v126
	v_and_b32_e32 v125, 0x3030303, v124
	v_bfe_u32 v124, v124, 24, 2
	v_and_b32_e32 v126, 0x4040404, v126
	v_sub_u16_e32 v127, v125, v126
	v_sub_u16_sdwa v134, v125, v126 dst_sel:BYTE_1 dst_unused:UNUSED_PAD src0_sel:BYTE_1 src1_sel:BYTE_1
	v_sub_u16_sdwa v124, v124, v126 dst_sel:BYTE_1 dst_unused:UNUSED_PAD src0_sel:DWORD src1_sel:BYTE_3
	v_sub_u16_sdwa v125, v125, v126 dst_sel:DWORD dst_unused:UNUSED_PAD src0_sel:WORD_1 src1_sel:WORD_1
	v_or_b32_sdwa v127, v127, v134 dst_sel:DWORD dst_unused:UNUSED_PAD src0_sel:BYTE_0 src1_sel:DWORD
	v_or_b32_sdwa v124, v125, v124 dst_sel:WORD_1 dst_unused:UNUSED_PAD src0_sel:BYTE_0 src1_sel:DWORD
	v_add_u32_e32 v126, 0x4218, v129
	v_or_b32_sdwa v134, v127, v124 dst_sel:DWORD dst_unused:UNUSED_PAD src0_sel:WORD_0 src1_sel:DWORD
	ds_read2_b32 v[124:125], v123 offset0:6 offset1:7
	ds_read2_b32 v[126:127], v126 offset1:1
	s_waitcnt lgkmcnt(1)
	v_ashrrev_i32_e32 v123, s23, v124
	s_waitcnt lgkmcnt(0)
	v_ashrrev_i32_e32 v126, s3, v126
	v_lshlrev_b32_e32 v126, 2, v126
	v_and_b32_e32 v124, 0x3030303, v123
	v_bfe_u32 v123, v123, 24, 2
	v_and_b32_e32 v126, 0x4040404, v126
	v_sub_u16_e32 v129, v124, v126
	v_sub_u16_sdwa v135, v124, v126 dst_sel:BYTE_1 dst_unused:UNUSED_PAD src0_sel:BYTE_1 src1_sel:BYTE_1
	v_sub_u16_sdwa v123, v123, v126 dst_sel:BYTE_1 dst_unused:UNUSED_PAD src0_sel:DWORD src1_sel:BYTE_3
	v_sub_u16_sdwa v124, v124, v126 dst_sel:DWORD dst_unused:UNUSED_PAD src0_sel:WORD_1 src1_sel:WORD_1
	v_ashrrev_i32_e32 v126, s3, v127
	v_or_b32_sdwa v123, v124, v123 dst_sel:WORD_1 dst_unused:UNUSED_PAD src0_sel:BYTE_0 src1_sel:DWORD
	v_ashrrev_i32_e32 v124, s23, v125
	v_lshlrev_b32_e32 v126, 2, v126
	v_or_b32_sdwa v129, v129, v135 dst_sel:DWORD dst_unused:UNUSED_PAD src0_sel:BYTE_0 src1_sel:DWORD
	v_and_b32_e32 v125, 0x3030303, v124
	v_bfe_u32 v124, v124, 24, 2
	v_and_b32_e32 v126, 0x4040404, v126
	v_or_b32_sdwa v123, v129, v123 dst_sel:DWORD dst_unused:UNUSED_PAD src0_sel:WORD_0 src1_sel:DWORD
	v_sub_u16_e32 v127, v125, v126
	v_sub_u16_sdwa v129, v125, v126 dst_sel:BYTE_1 dst_unused:UNUSED_PAD src0_sel:BYTE_1 src1_sel:BYTE_1
	v_sub_u16_sdwa v124, v124, v126 dst_sel:BYTE_1 dst_unused:UNUSED_PAD src0_sel:DWORD src1_sel:BYTE_3
	v_sub_u16_sdwa v125, v125, v126 dst_sel:DWORD dst_unused:UNUSED_PAD src0_sel:WORD_1 src1_sel:WORD_1
	v_or_b32_sdwa v127, v127, v129 dst_sel:DWORD dst_unused:UNUSED_PAD src0_sel:BYTE_0 src1_sel:DWORD
	v_or_b32_sdwa v124, v125, v124 dst_sel:WORD_1 dst_unused:UNUSED_PAD src0_sel:BYTE_0 src1_sel:DWORD
	v_or_b32_sdwa v125, v127, v124 dst_sel:DWORD dst_unused:UNUSED_PAD src0_sel:WORD_0 src1_sel:DWORD
	v_add_u32_e32 v124, s35, v83
	v_add_u32_e32 v126, s37, v39
	ds_read_b32 v126, v126
	ds_read_u16 v124, v124 offset:26354
	v_mov_b32_e32 v127, 0
	v_dot4c_i32_i8_e32 v127, v128, v6
	v_dot4c_i32_i8_e32 v127, v130, v7
	;; [unrolled: 1-line block ×4, first 2 shown]
	s_waitcnt lgkmcnt(0)
	v_lshrrev_b16_e32 v128, 8, v124
	v_bfe_i32 v124, v124, 0, 8
	v_add_lshl_u32 v129, v41, s34, 2
	v_mul_lo_u32 v124, v127, v124
	v_mov_b32_e32 v127, 0
	v_dot4c_i32_i8_e32 v127, v133, v2
	v_dot4c_i32_i8_e32 v127, v134, v3
	;; [unrolled: 1-line block ×4, first 2 shown]
	v_bfe_i32 v123, v128, 0, 8
                                        ; kill: def $vgpr125 killed $sgpr0 killed $exec
	s_nop 1
	v_mad_u64_u32 v[124:125], s[38:39], v127, v123, v[124:125]
	v_cvt_f32_i32_e32 v124, v124
	v_mul_f32_e32 v123, v122, v126
	v_add_u32_e32 v126, 0x4200, v129
	ds_read2_b32 v[126:127], v126 offset1:1
	v_fmac_f32_e32 v113, v123, v124
	v_add_u32_e32 v123, s36, v43
	ds_read2_b32 v[124:125], v123 offset1:1
	s_waitcnt lgkmcnt(1)
	v_ashrrev_i32_e32 v126, s3, v126
	v_lshlrev_b32_e32 v126, 2, v126
	v_and_b32_e32 v126, 0x4040404, v126
	s_waitcnt lgkmcnt(0)
	v_ashrrev_i32_e32 v124, s23, v124
	v_and_b32_e32 v128, 0x3030303, v124
	v_bfe_u32 v124, v124, 24, 2
	v_sub_u16_e32 v130, v128, v126
	v_sub_u16_sdwa v131, v128, v126 dst_sel:BYTE_1 dst_unused:UNUSED_PAD src0_sel:BYTE_1 src1_sel:BYTE_1
	v_sub_u16_sdwa v124, v124, v126 dst_sel:BYTE_1 dst_unused:UNUSED_PAD src0_sel:DWORD src1_sel:BYTE_3
	v_sub_u16_sdwa v126, v128, v126 dst_sel:DWORD dst_unused:UNUSED_PAD src0_sel:WORD_1 src1_sel:WORD_1
	v_or_b32_sdwa v130, v130, v131 dst_sel:DWORD dst_unused:UNUSED_PAD src0_sel:BYTE_0 src1_sel:DWORD
	v_or_b32_sdwa v124, v126, v124 dst_sel:WORD_1 dst_unused:UNUSED_PAD src0_sel:BYTE_0 src1_sel:DWORD
	v_ashrrev_i32_e32 v126, s3, v127
	v_or_b32_sdwa v128, v130, v124 dst_sel:DWORD dst_unused:UNUSED_PAD src0_sel:WORD_0 src1_sel:DWORD
	v_ashrrev_i32_e32 v124, s23, v125
	v_lshlrev_b32_e32 v126, 2, v126
	v_and_b32_e32 v125, 0x3030303, v124
	v_bfe_u32 v124, v124, 24, 2
	v_and_b32_e32 v126, 0x4040404, v126
	v_sub_u16_e32 v127, v125, v126
	v_sub_u16_sdwa v130, v125, v126 dst_sel:BYTE_1 dst_unused:UNUSED_PAD src0_sel:BYTE_1 src1_sel:BYTE_1
	v_sub_u16_sdwa v124, v124, v126 dst_sel:BYTE_1 dst_unused:UNUSED_PAD src0_sel:DWORD src1_sel:BYTE_3
	v_sub_u16_sdwa v125, v125, v126 dst_sel:DWORD dst_unused:UNUSED_PAD src0_sel:WORD_1 src1_sel:WORD_1
	v_or_b32_sdwa v127, v127, v130 dst_sel:DWORD dst_unused:UNUSED_PAD src0_sel:BYTE_0 src1_sel:DWORD
	v_or_b32_sdwa v124, v125, v124 dst_sel:WORD_1 dst_unused:UNUSED_PAD src0_sel:BYTE_0 src1_sel:DWORD
	v_add_u32_e32 v126, 0x4208, v129
	v_or_b32_sdwa v130, v127, v124 dst_sel:DWORD dst_unused:UNUSED_PAD src0_sel:WORD_0 src1_sel:DWORD
	ds_read2_b32 v[124:125], v123 offset0:2 offset1:3
	ds_read2_b32 v[126:127], v126 offset1:1
	s_waitcnt lgkmcnt(1)
	v_ashrrev_i32_e32 v124, s23, v124
	s_waitcnt lgkmcnt(0)
	v_ashrrev_i32_e32 v126, s3, v126
	v_lshlrev_b32_e32 v126, 2, v126
	v_and_b32_e32 v131, 0x3030303, v124
	v_bfe_u32 v124, v124, 24, 2
	v_and_b32_e32 v126, 0x4040404, v126
	v_sub_u16_e32 v132, v131, v126
	v_sub_u16_sdwa v133, v131, v126 dst_sel:BYTE_1 dst_unused:UNUSED_PAD src0_sel:BYTE_1 src1_sel:BYTE_1
	v_sub_u16_sdwa v124, v124, v126 dst_sel:BYTE_1 dst_unused:UNUSED_PAD src0_sel:DWORD src1_sel:BYTE_3
	v_sub_u16_sdwa v126, v131, v126 dst_sel:DWORD dst_unused:UNUSED_PAD src0_sel:WORD_1 src1_sel:WORD_1
	v_or_b32_sdwa v132, v132, v133 dst_sel:DWORD dst_unused:UNUSED_PAD src0_sel:BYTE_0 src1_sel:DWORD
	v_or_b32_sdwa v124, v126, v124 dst_sel:WORD_1 dst_unused:UNUSED_PAD src0_sel:BYTE_0 src1_sel:DWORD
	v_ashrrev_i32_e32 v126, s3, v127
	v_or_b32_sdwa v131, v132, v124 dst_sel:DWORD dst_unused:UNUSED_PAD src0_sel:WORD_0 src1_sel:DWORD
	v_ashrrev_i32_e32 v124, s23, v125
	v_lshlrev_b32_e32 v126, 2, v126
	v_and_b32_e32 v125, 0x3030303, v124
	v_bfe_u32 v124, v124, 24, 2
	v_and_b32_e32 v126, 0x4040404, v126
	v_sub_u16_e32 v127, v125, v126
	v_sub_u16_sdwa v132, v125, v126 dst_sel:BYTE_1 dst_unused:UNUSED_PAD src0_sel:BYTE_1 src1_sel:BYTE_1
	v_sub_u16_sdwa v124, v124, v126 dst_sel:BYTE_1 dst_unused:UNUSED_PAD src0_sel:DWORD src1_sel:BYTE_3
	v_sub_u16_sdwa v125, v125, v126 dst_sel:DWORD dst_unused:UNUSED_PAD src0_sel:WORD_1 src1_sel:WORD_1
	v_or_b32_sdwa v127, v127, v132 dst_sel:DWORD dst_unused:UNUSED_PAD src0_sel:BYTE_0 src1_sel:DWORD
	v_or_b32_sdwa v124, v125, v124 dst_sel:WORD_1 dst_unused:UNUSED_PAD src0_sel:BYTE_0 src1_sel:DWORD
	v_add_u32_e32 v126, 0x4210, v129
	v_or_b32_sdwa v132, v127, v124 dst_sel:DWORD dst_unused:UNUSED_PAD src0_sel:WORD_0 src1_sel:DWORD
	ds_read2_b32 v[124:125], v123 offset0:4 offset1:5
	ds_read2_b32 v[126:127], v126 offset1:1
	s_waitcnt lgkmcnt(1)
	v_ashrrev_i32_e32 v124, s23, v124
	s_waitcnt lgkmcnt(0)
	v_ashrrev_i32_e32 v126, s3, v126
	v_lshlrev_b32_e32 v126, 2, v126
	v_and_b32_e32 v133, 0x3030303, v124
	v_bfe_u32 v124, v124, 24, 2
	v_and_b32_e32 v126, 0x4040404, v126
	v_sub_u16_e32 v134, v133, v126
	v_sub_u16_sdwa v135, v133, v126 dst_sel:BYTE_1 dst_unused:UNUSED_PAD src0_sel:BYTE_1 src1_sel:BYTE_1
	v_sub_u16_sdwa v124, v124, v126 dst_sel:BYTE_1 dst_unused:UNUSED_PAD src0_sel:DWORD src1_sel:BYTE_3
	v_sub_u16_sdwa v126, v133, v126 dst_sel:DWORD dst_unused:UNUSED_PAD src0_sel:WORD_1 src1_sel:WORD_1
	v_or_b32_sdwa v134, v134, v135 dst_sel:DWORD dst_unused:UNUSED_PAD src0_sel:BYTE_0 src1_sel:DWORD
	v_or_b32_sdwa v124, v126, v124 dst_sel:WORD_1 dst_unused:UNUSED_PAD src0_sel:BYTE_0 src1_sel:DWORD
	v_ashrrev_i32_e32 v126, s3, v127
	v_or_b32_sdwa v133, v134, v124 dst_sel:DWORD dst_unused:UNUSED_PAD src0_sel:WORD_0 src1_sel:DWORD
	v_ashrrev_i32_e32 v124, s23, v125
	v_lshlrev_b32_e32 v126, 2, v126
	v_and_b32_e32 v125, 0x3030303, v124
	v_bfe_u32 v124, v124, 24, 2
	v_and_b32_e32 v126, 0x4040404, v126
	v_sub_u16_e32 v127, v125, v126
	v_sub_u16_sdwa v134, v125, v126 dst_sel:BYTE_1 dst_unused:UNUSED_PAD src0_sel:BYTE_1 src1_sel:BYTE_1
	v_sub_u16_sdwa v124, v124, v126 dst_sel:BYTE_1 dst_unused:UNUSED_PAD src0_sel:DWORD src1_sel:BYTE_3
	v_sub_u16_sdwa v125, v125, v126 dst_sel:DWORD dst_unused:UNUSED_PAD src0_sel:WORD_1 src1_sel:WORD_1
	v_or_b32_sdwa v127, v127, v134 dst_sel:DWORD dst_unused:UNUSED_PAD src0_sel:BYTE_0 src1_sel:DWORD
	v_or_b32_sdwa v124, v125, v124 dst_sel:WORD_1 dst_unused:UNUSED_PAD src0_sel:BYTE_0 src1_sel:DWORD
	v_add_u32_e32 v126, 0x4218, v129
	v_or_b32_sdwa v134, v127, v124 dst_sel:DWORD dst_unused:UNUSED_PAD src0_sel:WORD_0 src1_sel:DWORD
	ds_read2_b32 v[124:125], v123 offset0:6 offset1:7
	ds_read2_b32 v[126:127], v126 offset1:1
	s_waitcnt lgkmcnt(1)
	v_ashrrev_i32_e32 v123, s23, v124
	s_waitcnt lgkmcnt(0)
	v_ashrrev_i32_e32 v126, s3, v126
	v_lshlrev_b32_e32 v126, 2, v126
	v_and_b32_e32 v124, 0x3030303, v123
	v_bfe_u32 v123, v123, 24, 2
	v_and_b32_e32 v126, 0x4040404, v126
	v_sub_u16_e32 v129, v124, v126
	v_sub_u16_sdwa v135, v124, v126 dst_sel:BYTE_1 dst_unused:UNUSED_PAD src0_sel:BYTE_1 src1_sel:BYTE_1
	v_sub_u16_sdwa v123, v123, v126 dst_sel:BYTE_1 dst_unused:UNUSED_PAD src0_sel:DWORD src1_sel:BYTE_3
	v_sub_u16_sdwa v124, v124, v126 dst_sel:DWORD dst_unused:UNUSED_PAD src0_sel:WORD_1 src1_sel:WORD_1
	v_ashrrev_i32_e32 v126, s3, v127
	v_or_b32_sdwa v123, v124, v123 dst_sel:WORD_1 dst_unused:UNUSED_PAD src0_sel:BYTE_0 src1_sel:DWORD
	v_ashrrev_i32_e32 v124, s23, v125
	v_lshlrev_b32_e32 v126, 2, v126
	v_or_b32_sdwa v129, v129, v135 dst_sel:DWORD dst_unused:UNUSED_PAD src0_sel:BYTE_0 src1_sel:DWORD
	v_and_b32_e32 v125, 0x3030303, v124
	v_bfe_u32 v124, v124, 24, 2
	v_and_b32_e32 v126, 0x4040404, v126
	v_or_b32_sdwa v123, v129, v123 dst_sel:DWORD dst_unused:UNUSED_PAD src0_sel:WORD_0 src1_sel:DWORD
	v_sub_u16_e32 v127, v125, v126
	v_sub_u16_sdwa v129, v125, v126 dst_sel:BYTE_1 dst_unused:UNUSED_PAD src0_sel:BYTE_1 src1_sel:BYTE_1
	v_sub_u16_sdwa v124, v124, v126 dst_sel:BYTE_1 dst_unused:UNUSED_PAD src0_sel:DWORD src1_sel:BYTE_3
	v_sub_u16_sdwa v125, v125, v126 dst_sel:DWORD dst_unused:UNUSED_PAD src0_sel:WORD_1 src1_sel:WORD_1
	v_or_b32_sdwa v127, v127, v129 dst_sel:DWORD dst_unused:UNUSED_PAD src0_sel:BYTE_0 src1_sel:DWORD
	v_or_b32_sdwa v124, v125, v124 dst_sel:WORD_1 dst_unused:UNUSED_PAD src0_sel:BYTE_0 src1_sel:DWORD
	v_or_b32_sdwa v125, v127, v124 dst_sel:DWORD dst_unused:UNUSED_PAD src0_sel:WORD_0 src1_sel:DWORD
	v_add_u32_e32 v124, s35, v81
	v_add_u32_e32 v126, s37, v45
	ds_read_b32 v126, v126
	ds_read_u16 v124, v124 offset:27378
	v_mov_b32_e32 v127, 0
	v_dot4c_i32_i8_e32 v127, v128, v6
	v_dot4c_i32_i8_e32 v127, v130, v7
	v_dot4c_i32_i8_e32 v127, v131, v8
	v_dot4c_i32_i8_e32 v127, v132, v9
	s_waitcnt lgkmcnt(0)
	v_lshrrev_b16_e32 v128, 8, v124
	v_bfe_i32 v124, v124, 0, 8
	v_add_lshl_u32 v129, v47, s34, 2
	v_mul_lo_u32 v124, v127, v124
	v_mov_b32_e32 v127, 0
	v_dot4c_i32_i8_e32 v127, v133, v2
	v_dot4c_i32_i8_e32 v127, v134, v3
	;; [unrolled: 1-line block ×4, first 2 shown]
	v_bfe_i32 v123, v128, 0, 8
                                        ; kill: def $vgpr125 killed $sgpr0 killed $exec
	s_nop 1
	v_mad_u64_u32 v[124:125], s[38:39], v127, v123, v[124:125]
	v_cvt_f32_i32_e32 v124, v124
	v_mul_f32_e32 v123, v122, v126
	v_add_u32_e32 v126, 0x4200, v129
	ds_read2_b32 v[126:127], v126 offset1:1
	v_fmac_f32_e32 v117, v123, v124
	v_add_u32_e32 v123, s36, v49
	ds_read2_b32 v[124:125], v123 offset1:1
	s_waitcnt lgkmcnt(1)
	v_ashrrev_i32_e32 v126, s3, v126
	v_lshlrev_b32_e32 v126, 2, v126
	v_and_b32_e32 v126, 0x4040404, v126
	s_waitcnt lgkmcnt(0)
	v_ashrrev_i32_e32 v124, s23, v124
	v_and_b32_e32 v128, 0x3030303, v124
	v_bfe_u32 v124, v124, 24, 2
	v_sub_u16_e32 v130, v128, v126
	v_sub_u16_sdwa v131, v128, v126 dst_sel:BYTE_1 dst_unused:UNUSED_PAD src0_sel:BYTE_1 src1_sel:BYTE_1
	v_sub_u16_sdwa v124, v124, v126 dst_sel:BYTE_1 dst_unused:UNUSED_PAD src0_sel:DWORD src1_sel:BYTE_3
	v_sub_u16_sdwa v126, v128, v126 dst_sel:DWORD dst_unused:UNUSED_PAD src0_sel:WORD_1 src1_sel:WORD_1
	v_or_b32_sdwa v130, v130, v131 dst_sel:DWORD dst_unused:UNUSED_PAD src0_sel:BYTE_0 src1_sel:DWORD
	v_or_b32_sdwa v124, v126, v124 dst_sel:WORD_1 dst_unused:UNUSED_PAD src0_sel:BYTE_0 src1_sel:DWORD
	v_ashrrev_i32_e32 v126, s3, v127
	v_or_b32_sdwa v128, v130, v124 dst_sel:DWORD dst_unused:UNUSED_PAD src0_sel:WORD_0 src1_sel:DWORD
	v_ashrrev_i32_e32 v124, s23, v125
	v_lshlrev_b32_e32 v126, 2, v126
	v_and_b32_e32 v125, 0x3030303, v124
	v_bfe_u32 v124, v124, 24, 2
	v_and_b32_e32 v126, 0x4040404, v126
	v_sub_u16_e32 v127, v125, v126
	v_sub_u16_sdwa v130, v125, v126 dst_sel:BYTE_1 dst_unused:UNUSED_PAD src0_sel:BYTE_1 src1_sel:BYTE_1
	v_sub_u16_sdwa v124, v124, v126 dst_sel:BYTE_1 dst_unused:UNUSED_PAD src0_sel:DWORD src1_sel:BYTE_3
	v_sub_u16_sdwa v125, v125, v126 dst_sel:DWORD dst_unused:UNUSED_PAD src0_sel:WORD_1 src1_sel:WORD_1
	v_or_b32_sdwa v127, v127, v130 dst_sel:DWORD dst_unused:UNUSED_PAD src0_sel:BYTE_0 src1_sel:DWORD
	v_or_b32_sdwa v124, v125, v124 dst_sel:WORD_1 dst_unused:UNUSED_PAD src0_sel:BYTE_0 src1_sel:DWORD
	v_add_u32_e32 v126, 0x4208, v129
	v_or_b32_sdwa v130, v127, v124 dst_sel:DWORD dst_unused:UNUSED_PAD src0_sel:WORD_0 src1_sel:DWORD
	ds_read2_b32 v[124:125], v123 offset0:2 offset1:3
	ds_read2_b32 v[126:127], v126 offset1:1
	s_waitcnt lgkmcnt(1)
	v_ashrrev_i32_e32 v124, s23, v124
	s_waitcnt lgkmcnt(0)
	v_ashrrev_i32_e32 v126, s3, v126
	v_lshlrev_b32_e32 v126, 2, v126
	v_and_b32_e32 v131, 0x3030303, v124
	v_bfe_u32 v124, v124, 24, 2
	v_and_b32_e32 v126, 0x4040404, v126
	v_sub_u16_e32 v132, v131, v126
	v_sub_u16_sdwa v133, v131, v126 dst_sel:BYTE_1 dst_unused:UNUSED_PAD src0_sel:BYTE_1 src1_sel:BYTE_1
	v_sub_u16_sdwa v124, v124, v126 dst_sel:BYTE_1 dst_unused:UNUSED_PAD src0_sel:DWORD src1_sel:BYTE_3
	v_sub_u16_sdwa v126, v131, v126 dst_sel:DWORD dst_unused:UNUSED_PAD src0_sel:WORD_1 src1_sel:WORD_1
	v_or_b32_sdwa v132, v132, v133 dst_sel:DWORD dst_unused:UNUSED_PAD src0_sel:BYTE_0 src1_sel:DWORD
	v_or_b32_sdwa v124, v126, v124 dst_sel:WORD_1 dst_unused:UNUSED_PAD src0_sel:BYTE_0 src1_sel:DWORD
	v_ashrrev_i32_e32 v126, s3, v127
	v_or_b32_sdwa v131, v132, v124 dst_sel:DWORD dst_unused:UNUSED_PAD src0_sel:WORD_0 src1_sel:DWORD
	v_ashrrev_i32_e32 v124, s23, v125
	v_lshlrev_b32_e32 v126, 2, v126
	v_and_b32_e32 v125, 0x3030303, v124
	v_bfe_u32 v124, v124, 24, 2
	v_and_b32_e32 v126, 0x4040404, v126
	v_sub_u16_e32 v127, v125, v126
	v_sub_u16_sdwa v132, v125, v126 dst_sel:BYTE_1 dst_unused:UNUSED_PAD src0_sel:BYTE_1 src1_sel:BYTE_1
	v_sub_u16_sdwa v124, v124, v126 dst_sel:BYTE_1 dst_unused:UNUSED_PAD src0_sel:DWORD src1_sel:BYTE_3
	v_sub_u16_sdwa v125, v125, v126 dst_sel:DWORD dst_unused:UNUSED_PAD src0_sel:WORD_1 src1_sel:WORD_1
	v_or_b32_sdwa v127, v127, v132 dst_sel:DWORD dst_unused:UNUSED_PAD src0_sel:BYTE_0 src1_sel:DWORD
	v_or_b32_sdwa v124, v125, v124 dst_sel:WORD_1 dst_unused:UNUSED_PAD src0_sel:BYTE_0 src1_sel:DWORD
	v_add_u32_e32 v126, 0x4210, v129
	v_or_b32_sdwa v132, v127, v124 dst_sel:DWORD dst_unused:UNUSED_PAD src0_sel:WORD_0 src1_sel:DWORD
	ds_read2_b32 v[124:125], v123 offset0:4 offset1:5
	ds_read2_b32 v[126:127], v126 offset1:1
	s_waitcnt lgkmcnt(1)
	v_ashrrev_i32_e32 v124, s23, v124
	s_waitcnt lgkmcnt(0)
	v_ashrrev_i32_e32 v126, s3, v126
	v_lshlrev_b32_e32 v126, 2, v126
	v_and_b32_e32 v133, 0x3030303, v124
	v_bfe_u32 v124, v124, 24, 2
	v_and_b32_e32 v126, 0x4040404, v126
	;; [unrolled: 31-line block ×3, first 2 shown]
	v_sub_u16_e32 v129, v124, v126
	v_sub_u16_sdwa v135, v124, v126 dst_sel:BYTE_1 dst_unused:UNUSED_PAD src0_sel:BYTE_1 src1_sel:BYTE_1
	v_sub_u16_sdwa v123, v123, v126 dst_sel:BYTE_1 dst_unused:UNUSED_PAD src0_sel:DWORD src1_sel:BYTE_3
	v_sub_u16_sdwa v124, v124, v126 dst_sel:DWORD dst_unused:UNUSED_PAD src0_sel:WORD_1 src1_sel:WORD_1
	v_ashrrev_i32_e32 v126, s3, v127
	v_or_b32_sdwa v123, v124, v123 dst_sel:WORD_1 dst_unused:UNUSED_PAD src0_sel:BYTE_0 src1_sel:DWORD
	v_ashrrev_i32_e32 v124, s23, v125
	v_lshlrev_b32_e32 v126, 2, v126
	v_or_b32_sdwa v129, v129, v135 dst_sel:DWORD dst_unused:UNUSED_PAD src0_sel:BYTE_0 src1_sel:DWORD
	v_and_b32_e32 v125, 0x3030303, v124
	v_bfe_u32 v124, v124, 24, 2
	v_and_b32_e32 v126, 0x4040404, v126
	v_or_b32_sdwa v123, v129, v123 dst_sel:DWORD dst_unused:UNUSED_PAD src0_sel:WORD_0 src1_sel:DWORD
	v_sub_u16_e32 v127, v125, v126
	v_sub_u16_sdwa v129, v125, v126 dst_sel:BYTE_1 dst_unused:UNUSED_PAD src0_sel:BYTE_1 src1_sel:BYTE_1
	v_sub_u16_sdwa v124, v124, v126 dst_sel:BYTE_1 dst_unused:UNUSED_PAD src0_sel:DWORD src1_sel:BYTE_3
	v_sub_u16_sdwa v125, v125, v126 dst_sel:DWORD dst_unused:UNUSED_PAD src0_sel:WORD_1 src1_sel:WORD_1
	v_or_b32_sdwa v127, v127, v129 dst_sel:DWORD dst_unused:UNUSED_PAD src0_sel:BYTE_0 src1_sel:DWORD
	v_or_b32_sdwa v124, v125, v124 dst_sel:WORD_1 dst_unused:UNUSED_PAD src0_sel:BYTE_0 src1_sel:DWORD
	v_or_b32_sdwa v124, v127, v124 dst_sel:DWORD dst_unused:UNUSED_PAD src0_sel:WORD_0 src1_sel:DWORD
	v_add_u32_e32 v125, s35, v79
	v_add_u32_e32 v126, s37, v51
	v_mov_b32_e32 v127, 0
	ds_read_b32 v126, v126
	v_dot4c_i32_i8_e32 v127, v128, v6
	ds_read_u16 v6, v125 offset:28402
	v_dot4c_i32_i8_e32 v127, v130, v7
	v_dot4c_i32_i8_e32 v127, v131, v8
	v_mov_b32_e32 v8, 0
	v_dot4c_i32_i8_e32 v8, v133, v2
	v_dot4c_i32_i8_e32 v8, v134, v3
	;; [unrolled: 1-line block ×3, first 2 shown]
	s_waitcnt lgkmcnt(0)
	v_lshrrev_b16_e32 v7, 8, v6
	v_bfe_i32 v6, v6, 0, 8
	v_dot4c_i32_i8_e32 v8, v123, v4
	v_mul_lo_u32 v6, v127, v6
	v_dot4c_i32_i8_e32 v8, v124, v5
	v_bfe_i32 v2, v7, 0, 8
	s_add_i32 s3, s3, 1
	s_cmp_lt_u32 s22, 22
	v_mad_u64_u32 v[2:3], s[34:35], v8, v2, v[6:7]
	v_cvt_f32_i32_e32 v2, v2
	v_mul_f32_e32 v3, v122, v126
	s_mov_b32 s35, s22
	v_fmac_f32_e32 v118, v3, v2
	s_cbranch_scc1 .LBB210_28
; %bb.29:                               ;   in Loop: Header=BB210_5 Depth=1
	s_or_b32 s2, s33, 0x180
	s_cmp_ge_i32 s2, s9
	s_barrier
	s_cbranch_scc1 .LBB210_4
; %bb.30:                               ;   in Loop: Header=BB210_5 Depth=1
	v_add_u32_e32 v2, s31, v57
	v_cmp_gt_i32_e64 s[2:3], s12, v2
	s_and_b64 s[22:23], s[0:1], s[2:3]
	s_and_saveexec_b64 s[2:3], s[22:23]
	s_cbranch_execz .LBB210_32
; %bb.31:                               ;   in Loop: Header=BB210_5 Depth=1
	v_add_u32_e32 v2, v116, v2
	v_mad_i64_i32 v[2:3], s[22:23], v2, 36, v[114:115]
	global_load_dword v2, v[2:3], off offset:4
	s_waitcnt vmcnt(0)
	ds_write_b32 v23, v2
.LBB210_32:                             ;   in Loop: Header=BB210_5 Depth=1
	s_or_b64 exec, exec, s[2:3]
	s_and_saveexec_b64 s[22:23], vcc
	s_cbranch_execz .LBB210_35
; %bb.33:                               ;   in Loop: Header=BB210_5 Depth=1
	v_or_b32_e32 v2, s31, v13
	v_or_b32_e32 v3, 12, v2
	v_cmp_gt_i32_e64 s[2:3], s12, v3
	s_and_b64 s[2:3], s[0:1], s[2:3]
	s_and_b64 exec, exec, s[2:3]
	s_cbranch_execz .LBB210_35
; %bb.34:                               ;   in Loop: Header=BB210_5 Depth=1
	v_ashrrev_i32_e32 v3, 31, v2
	v_add_co_u32_e64 v2, s[2:3], v116, v2
	v_addc_co_u32_e64 v4, s[2:3], v1, v3, s[2:3]
	v_mad_u64_u32 v[2:3], s[2:3], v2, 36, s[20:21]
	v_mad_i32_i24 v3, v4, 36, v3
	global_load_dword v2, v[2:3], off
	s_waitcnt vmcnt(0)
	v_cvt_f32_f16_e32 v2, v2
	ds_write_b32 v25, v2
.LBB210_35:                             ;   in Loop: Header=BB210_5 Depth=1
	s_or_b64 exec, exec, s[22:23]
	s_mov_b32 s2, 24
	s_mov_b32 s33, 22
	;; [unrolled: 1-line block ×3, first 2 shown]
	v_mov_b32_e32 v120, v67
	v_mov_b32_e32 v121, v69
	s_waitcnt lgkmcnt(0)
	s_barrier
.LBB210_36:                             ;   Parent Loop BB210_5 Depth=1
                                        ; =>  This Inner Loop Header: Depth=2
	s_add_i32 s22, s33, 2
	s_lshr_b32 s36, s22, 4
	s_and_b32 s34, s22, 0x3ffffff8
	s_lshl_b32 s31, s36, 3
	s_lshl_b32 s34, s34, 2
	v_add_lshl_u32 v129, v29, s31, 2
	v_add_u32_e32 v123, s34, v31
	v_add_u32_e32 v126, 0x4200, v129
	ds_read_b32 v122, v121
	ds_read_b128 v[6:9], v120
	ds_read_b128 v[2:5], v120 offset:16
	ds_read2_b32 v[124:125], v123 offset1:1
	ds_read2_b32 v[126:127], v126 offset1:1
	s_sub_i32 s23, s33, 22
	s_and_b32 s35, s2, -16
	s_add_i32 s33, s33, s35
	s_waitcnt lgkmcnt(1)
	v_ashrrev_i32_e32 v124, s23, v124
	s_waitcnt lgkmcnt(0)
	v_ashrrev_i32_e32 v126, s3, v126
	v_lshlrev_b32_e32 v126, 2, v126
	v_and_b32_e32 v128, 0x3030303, v124
	v_bfe_u32 v124, v124, 24, 2
	v_and_b32_e32 v126, 0x4040404, v126
	v_sub_u16_e32 v130, v128, v126
	v_sub_u16_sdwa v131, v128, v126 dst_sel:BYTE_1 dst_unused:UNUSED_PAD src0_sel:BYTE_1 src1_sel:BYTE_1
	v_sub_u16_sdwa v124, v124, v126 dst_sel:BYTE_1 dst_unused:UNUSED_PAD src0_sel:DWORD src1_sel:BYTE_3
	v_sub_u16_sdwa v126, v128, v126 dst_sel:DWORD dst_unused:UNUSED_PAD src0_sel:WORD_1 src1_sel:WORD_1
	v_or_b32_sdwa v130, v130, v131 dst_sel:DWORD dst_unused:UNUSED_PAD src0_sel:BYTE_0 src1_sel:DWORD
	v_or_b32_sdwa v124, v126, v124 dst_sel:WORD_1 dst_unused:UNUSED_PAD src0_sel:BYTE_0 src1_sel:DWORD
	v_ashrrev_i32_e32 v126, s3, v127
	v_or_b32_sdwa v128, v130, v124 dst_sel:DWORD dst_unused:UNUSED_PAD src0_sel:WORD_0 src1_sel:DWORD
	v_ashrrev_i32_e32 v124, s23, v125
	v_lshlrev_b32_e32 v126, 2, v126
	v_and_b32_e32 v125, 0x3030303, v124
	v_bfe_u32 v124, v124, 24, 2
	v_and_b32_e32 v126, 0x4040404, v126
	v_sub_u16_e32 v127, v125, v126
	v_sub_u16_sdwa v130, v125, v126 dst_sel:BYTE_1 dst_unused:UNUSED_PAD src0_sel:BYTE_1 src1_sel:BYTE_1
	v_sub_u16_sdwa v124, v124, v126 dst_sel:BYTE_1 dst_unused:UNUSED_PAD src0_sel:DWORD src1_sel:BYTE_3
	v_sub_u16_sdwa v125, v125, v126 dst_sel:DWORD dst_unused:UNUSED_PAD src0_sel:WORD_1 src1_sel:WORD_1
	v_or_b32_sdwa v127, v127, v130 dst_sel:DWORD dst_unused:UNUSED_PAD src0_sel:BYTE_0 src1_sel:DWORD
	v_or_b32_sdwa v124, v125, v124 dst_sel:WORD_1 dst_unused:UNUSED_PAD src0_sel:BYTE_0 src1_sel:DWORD
	v_add_u32_e32 v126, 0x4208, v129
	v_or_b32_sdwa v130, v127, v124 dst_sel:DWORD dst_unused:UNUSED_PAD src0_sel:WORD_0 src1_sel:DWORD
	ds_read2_b32 v[124:125], v123 offset0:2 offset1:3
	ds_read2_b32 v[126:127], v126 offset1:1
	s_lshl_b32 s35, s36, 2
	s_add_i32 s2, s2, 2
	v_add_u32_e32 v121, 4, v121
	s_waitcnt lgkmcnt(1)
	v_ashrrev_i32_e32 v124, s23, v124
	s_waitcnt lgkmcnt(0)
	v_ashrrev_i32_e32 v126, s3, v126
	v_lshlrev_b32_e32 v126, 2, v126
	v_and_b32_e32 v131, 0x3030303, v124
	v_bfe_u32 v124, v124, 24, 2
	v_and_b32_e32 v126, 0x4040404, v126
	v_sub_u16_e32 v132, v131, v126
	v_sub_u16_sdwa v133, v131, v126 dst_sel:BYTE_1 dst_unused:UNUSED_PAD src0_sel:BYTE_1 src1_sel:BYTE_1
	v_sub_u16_sdwa v124, v124, v126 dst_sel:BYTE_1 dst_unused:UNUSED_PAD src0_sel:DWORD src1_sel:BYTE_3
	v_sub_u16_sdwa v126, v131, v126 dst_sel:DWORD dst_unused:UNUSED_PAD src0_sel:WORD_1 src1_sel:WORD_1
	v_or_b32_sdwa v132, v132, v133 dst_sel:DWORD dst_unused:UNUSED_PAD src0_sel:BYTE_0 src1_sel:DWORD
	v_or_b32_sdwa v124, v126, v124 dst_sel:WORD_1 dst_unused:UNUSED_PAD src0_sel:BYTE_0 src1_sel:DWORD
	v_ashrrev_i32_e32 v126, s3, v127
	v_or_b32_sdwa v131, v132, v124 dst_sel:DWORD dst_unused:UNUSED_PAD src0_sel:WORD_0 src1_sel:DWORD
	v_ashrrev_i32_e32 v124, s23, v125
	v_lshlrev_b32_e32 v126, 2, v126
	v_and_b32_e32 v125, 0x3030303, v124
	v_bfe_u32 v124, v124, 24, 2
	v_and_b32_e32 v126, 0x4040404, v126
	v_sub_u16_e32 v127, v125, v126
	v_sub_u16_sdwa v132, v125, v126 dst_sel:BYTE_1 dst_unused:UNUSED_PAD src0_sel:BYTE_1 src1_sel:BYTE_1
	v_sub_u16_sdwa v124, v124, v126 dst_sel:BYTE_1 dst_unused:UNUSED_PAD src0_sel:DWORD src1_sel:BYTE_3
	v_sub_u16_sdwa v125, v125, v126 dst_sel:DWORD dst_unused:UNUSED_PAD src0_sel:WORD_1 src1_sel:WORD_1
	v_or_b32_sdwa v127, v127, v132 dst_sel:DWORD dst_unused:UNUSED_PAD src0_sel:BYTE_0 src1_sel:DWORD
	v_or_b32_sdwa v124, v125, v124 dst_sel:WORD_1 dst_unused:UNUSED_PAD src0_sel:BYTE_0 src1_sel:DWORD
	v_add_u32_e32 v126, 0x4210, v129
	v_or_b32_sdwa v132, v127, v124 dst_sel:DWORD dst_unused:UNUSED_PAD src0_sel:WORD_0 src1_sel:DWORD
	ds_read2_b32 v[124:125], v123 offset0:4 offset1:5
	ds_read2_b32 v[126:127], v126 offset1:1
	v_add_u32_e32 v120, 32, v120
	s_waitcnt lgkmcnt(1)
	v_ashrrev_i32_e32 v124, s23, v124
	s_waitcnt lgkmcnt(0)
	v_ashrrev_i32_e32 v126, s3, v126
	v_lshlrev_b32_e32 v126, 2, v126
	v_and_b32_e32 v133, 0x3030303, v124
	v_bfe_u32 v124, v124, 24, 2
	v_and_b32_e32 v126, 0x4040404, v126
	v_sub_u16_e32 v134, v133, v126
	v_sub_u16_sdwa v135, v133, v126 dst_sel:BYTE_1 dst_unused:UNUSED_PAD src0_sel:BYTE_1 src1_sel:BYTE_1
	v_sub_u16_sdwa v124, v124, v126 dst_sel:BYTE_1 dst_unused:UNUSED_PAD src0_sel:DWORD src1_sel:BYTE_3
	v_sub_u16_sdwa v126, v133, v126 dst_sel:DWORD dst_unused:UNUSED_PAD src0_sel:WORD_1 src1_sel:WORD_1
	v_or_b32_sdwa v134, v134, v135 dst_sel:DWORD dst_unused:UNUSED_PAD src0_sel:BYTE_0 src1_sel:DWORD
	v_or_b32_sdwa v124, v126, v124 dst_sel:WORD_1 dst_unused:UNUSED_PAD src0_sel:BYTE_0 src1_sel:DWORD
	v_ashrrev_i32_e32 v126, s3, v127
	v_or_b32_sdwa v133, v134, v124 dst_sel:DWORD dst_unused:UNUSED_PAD src0_sel:WORD_0 src1_sel:DWORD
	v_ashrrev_i32_e32 v124, s23, v125
	v_lshlrev_b32_e32 v126, 2, v126
	v_and_b32_e32 v125, 0x3030303, v124
	v_bfe_u32 v124, v124, 24, 2
	v_and_b32_e32 v126, 0x4040404, v126
	v_sub_u16_e32 v127, v125, v126
	v_sub_u16_sdwa v134, v125, v126 dst_sel:BYTE_1 dst_unused:UNUSED_PAD src0_sel:BYTE_1 src1_sel:BYTE_1
	v_sub_u16_sdwa v124, v124, v126 dst_sel:BYTE_1 dst_unused:UNUSED_PAD src0_sel:DWORD src1_sel:BYTE_3
	v_sub_u16_sdwa v125, v125, v126 dst_sel:DWORD dst_unused:UNUSED_PAD src0_sel:WORD_1 src1_sel:WORD_1
	v_or_b32_sdwa v127, v127, v134 dst_sel:DWORD dst_unused:UNUSED_PAD src0_sel:BYTE_0 src1_sel:DWORD
	v_or_b32_sdwa v124, v125, v124 dst_sel:WORD_1 dst_unused:UNUSED_PAD src0_sel:BYTE_0 src1_sel:DWORD
	v_add_u32_e32 v126, 0x4218, v129
	v_or_b32_sdwa v134, v127, v124 dst_sel:DWORD dst_unused:UNUSED_PAD src0_sel:WORD_0 src1_sel:DWORD
	ds_read2_b32 v[124:125], v123 offset0:6 offset1:7
	ds_read2_b32 v[126:127], v126 offset1:1
	s_waitcnt lgkmcnt(1)
	v_ashrrev_i32_e32 v123, s23, v124
	s_waitcnt lgkmcnt(0)
	v_ashrrev_i32_e32 v126, s3, v126
	v_lshlrev_b32_e32 v126, 2, v126
	v_and_b32_e32 v124, 0x3030303, v123
	v_bfe_u32 v123, v123, 24, 2
	v_and_b32_e32 v126, 0x4040404, v126
	v_sub_u16_e32 v129, v124, v126
	v_sub_u16_sdwa v135, v124, v126 dst_sel:BYTE_1 dst_unused:UNUSED_PAD src0_sel:BYTE_1 src1_sel:BYTE_1
	v_sub_u16_sdwa v123, v123, v126 dst_sel:BYTE_1 dst_unused:UNUSED_PAD src0_sel:DWORD src1_sel:BYTE_3
	v_sub_u16_sdwa v124, v124, v126 dst_sel:DWORD dst_unused:UNUSED_PAD src0_sel:WORD_1 src1_sel:WORD_1
	v_ashrrev_i32_e32 v126, s3, v127
	v_or_b32_sdwa v123, v124, v123 dst_sel:WORD_1 dst_unused:UNUSED_PAD src0_sel:BYTE_0 src1_sel:DWORD
	v_ashrrev_i32_e32 v124, s23, v125
	v_lshlrev_b32_e32 v126, 2, v126
	v_or_b32_sdwa v129, v129, v135 dst_sel:DWORD dst_unused:UNUSED_PAD src0_sel:BYTE_0 src1_sel:DWORD
	v_and_b32_e32 v125, 0x3030303, v124
	v_bfe_u32 v124, v124, 24, 2
	v_and_b32_e32 v126, 0x4040404, v126
	v_or_b32_sdwa v123, v129, v123 dst_sel:DWORD dst_unused:UNUSED_PAD src0_sel:WORD_0 src1_sel:DWORD
	v_sub_u16_e32 v127, v125, v126
	v_sub_u16_sdwa v129, v125, v126 dst_sel:BYTE_1 dst_unused:UNUSED_PAD src0_sel:BYTE_1 src1_sel:BYTE_1
	v_sub_u16_sdwa v124, v124, v126 dst_sel:BYTE_1 dst_unused:UNUSED_PAD src0_sel:DWORD src1_sel:BYTE_3
	v_sub_u16_sdwa v125, v125, v126 dst_sel:DWORD dst_unused:UNUSED_PAD src0_sel:WORD_1 src1_sel:WORD_1
	v_or_b32_sdwa v127, v127, v129 dst_sel:DWORD dst_unused:UNUSED_PAD src0_sel:BYTE_0 src1_sel:DWORD
	v_or_b32_sdwa v124, v125, v124 dst_sel:WORD_1 dst_unused:UNUSED_PAD src0_sel:BYTE_0 src1_sel:DWORD
	v_or_b32_sdwa v125, v127, v124 dst_sel:DWORD dst_unused:UNUSED_PAD src0_sel:WORD_0 src1_sel:DWORD
	v_add_u32_e32 v124, s33, v85
	v_add_u32_e32 v126, s35, v33
	ds_read_b32 v126, v126
	ds_read_u16 v124, v124 offset:25330
	v_mov_b32_e32 v127, 0
	v_dot4c_i32_i8_e32 v127, v128, v6
	v_dot4c_i32_i8_e32 v127, v130, v7
	v_dot4c_i32_i8_e32 v127, v131, v8
	v_dot4c_i32_i8_e32 v127, v132, v9
	s_waitcnt lgkmcnt(0)
	v_lshrrev_b16_e32 v128, 8, v124
	v_bfe_i32 v124, v124, 0, 8
	v_add_lshl_u32 v129, v35, s31, 2
	v_mul_lo_u32 v124, v127, v124
	v_mov_b32_e32 v127, 0
	v_dot4c_i32_i8_e32 v127, v133, v2
	v_dot4c_i32_i8_e32 v127, v134, v3
	v_dot4c_i32_i8_e32 v127, v123, v4
	v_dot4c_i32_i8_e32 v127, v125, v5
	v_bfe_i32 v123, v128, 0, 8
                                        ; kill: def $vgpr125 killed $sgpr0 killed $exec
	s_nop 1
	v_mad_u64_u32 v[124:125], s[36:37], v127, v123, v[124:125]
	v_cvt_f32_i32_e32 v124, v124
	v_mul_f32_e32 v123, v122, v126
	v_add_u32_e32 v126, 0x4200, v129
	ds_read2_b32 v[126:127], v126 offset1:1
	v_fmac_f32_e32 v15, v123, v124
	v_add_u32_e32 v123, s34, v37
	ds_read2_b32 v[124:125], v123 offset1:1
	s_waitcnt lgkmcnt(1)
	v_ashrrev_i32_e32 v126, s3, v126
	v_lshlrev_b32_e32 v126, 2, v126
	v_and_b32_e32 v126, 0x4040404, v126
	s_waitcnt lgkmcnt(0)
	v_ashrrev_i32_e32 v124, s23, v124
	v_and_b32_e32 v128, 0x3030303, v124
	v_bfe_u32 v124, v124, 24, 2
	v_sub_u16_e32 v130, v128, v126
	v_sub_u16_sdwa v131, v128, v126 dst_sel:BYTE_1 dst_unused:UNUSED_PAD src0_sel:BYTE_1 src1_sel:BYTE_1
	v_sub_u16_sdwa v124, v124, v126 dst_sel:BYTE_1 dst_unused:UNUSED_PAD src0_sel:DWORD src1_sel:BYTE_3
	v_sub_u16_sdwa v126, v128, v126 dst_sel:DWORD dst_unused:UNUSED_PAD src0_sel:WORD_1 src1_sel:WORD_1
	v_or_b32_sdwa v130, v130, v131 dst_sel:DWORD dst_unused:UNUSED_PAD src0_sel:BYTE_0 src1_sel:DWORD
	v_or_b32_sdwa v124, v126, v124 dst_sel:WORD_1 dst_unused:UNUSED_PAD src0_sel:BYTE_0 src1_sel:DWORD
	v_ashrrev_i32_e32 v126, s3, v127
	v_or_b32_sdwa v128, v130, v124 dst_sel:DWORD dst_unused:UNUSED_PAD src0_sel:WORD_0 src1_sel:DWORD
	v_ashrrev_i32_e32 v124, s23, v125
	v_lshlrev_b32_e32 v126, 2, v126
	v_and_b32_e32 v125, 0x3030303, v124
	v_bfe_u32 v124, v124, 24, 2
	v_and_b32_e32 v126, 0x4040404, v126
	v_sub_u16_e32 v127, v125, v126
	v_sub_u16_sdwa v130, v125, v126 dst_sel:BYTE_1 dst_unused:UNUSED_PAD src0_sel:BYTE_1 src1_sel:BYTE_1
	v_sub_u16_sdwa v124, v124, v126 dst_sel:BYTE_1 dst_unused:UNUSED_PAD src0_sel:DWORD src1_sel:BYTE_3
	v_sub_u16_sdwa v125, v125, v126 dst_sel:DWORD dst_unused:UNUSED_PAD src0_sel:WORD_1 src1_sel:WORD_1
	v_or_b32_sdwa v127, v127, v130 dst_sel:DWORD dst_unused:UNUSED_PAD src0_sel:BYTE_0 src1_sel:DWORD
	v_or_b32_sdwa v124, v125, v124 dst_sel:WORD_1 dst_unused:UNUSED_PAD src0_sel:BYTE_0 src1_sel:DWORD
	v_add_u32_e32 v126, 0x4208, v129
	v_or_b32_sdwa v130, v127, v124 dst_sel:DWORD dst_unused:UNUSED_PAD src0_sel:WORD_0 src1_sel:DWORD
	ds_read2_b32 v[124:125], v123 offset0:2 offset1:3
	ds_read2_b32 v[126:127], v126 offset1:1
	s_waitcnt lgkmcnt(1)
	v_ashrrev_i32_e32 v124, s23, v124
	s_waitcnt lgkmcnt(0)
	v_ashrrev_i32_e32 v126, s3, v126
	v_lshlrev_b32_e32 v126, 2, v126
	v_and_b32_e32 v131, 0x3030303, v124
	v_bfe_u32 v124, v124, 24, 2
	v_and_b32_e32 v126, 0x4040404, v126
	v_sub_u16_e32 v132, v131, v126
	v_sub_u16_sdwa v133, v131, v126 dst_sel:BYTE_1 dst_unused:UNUSED_PAD src0_sel:BYTE_1 src1_sel:BYTE_1
	v_sub_u16_sdwa v124, v124, v126 dst_sel:BYTE_1 dst_unused:UNUSED_PAD src0_sel:DWORD src1_sel:BYTE_3
	v_sub_u16_sdwa v126, v131, v126 dst_sel:DWORD dst_unused:UNUSED_PAD src0_sel:WORD_1 src1_sel:WORD_1
	v_or_b32_sdwa v132, v132, v133 dst_sel:DWORD dst_unused:UNUSED_PAD src0_sel:BYTE_0 src1_sel:DWORD
	v_or_b32_sdwa v124, v126, v124 dst_sel:WORD_1 dst_unused:UNUSED_PAD src0_sel:BYTE_0 src1_sel:DWORD
	v_ashrrev_i32_e32 v126, s3, v127
	v_or_b32_sdwa v131, v132, v124 dst_sel:DWORD dst_unused:UNUSED_PAD src0_sel:WORD_0 src1_sel:DWORD
	v_ashrrev_i32_e32 v124, s23, v125
	v_lshlrev_b32_e32 v126, 2, v126
	v_and_b32_e32 v125, 0x3030303, v124
	v_bfe_u32 v124, v124, 24, 2
	v_and_b32_e32 v126, 0x4040404, v126
	v_sub_u16_e32 v127, v125, v126
	v_sub_u16_sdwa v132, v125, v126 dst_sel:BYTE_1 dst_unused:UNUSED_PAD src0_sel:BYTE_1 src1_sel:BYTE_1
	v_sub_u16_sdwa v124, v124, v126 dst_sel:BYTE_1 dst_unused:UNUSED_PAD src0_sel:DWORD src1_sel:BYTE_3
	v_sub_u16_sdwa v125, v125, v126 dst_sel:DWORD dst_unused:UNUSED_PAD src0_sel:WORD_1 src1_sel:WORD_1
	v_or_b32_sdwa v127, v127, v132 dst_sel:DWORD dst_unused:UNUSED_PAD src0_sel:BYTE_0 src1_sel:DWORD
	v_or_b32_sdwa v124, v125, v124 dst_sel:WORD_1 dst_unused:UNUSED_PAD src0_sel:BYTE_0 src1_sel:DWORD
	v_add_u32_e32 v126, 0x4210, v129
	v_or_b32_sdwa v132, v127, v124 dst_sel:DWORD dst_unused:UNUSED_PAD src0_sel:WORD_0 src1_sel:DWORD
	ds_read2_b32 v[124:125], v123 offset0:4 offset1:5
	ds_read2_b32 v[126:127], v126 offset1:1
	s_waitcnt lgkmcnt(1)
	v_ashrrev_i32_e32 v124, s23, v124
	s_waitcnt lgkmcnt(0)
	v_ashrrev_i32_e32 v126, s3, v126
	v_lshlrev_b32_e32 v126, 2, v126
	v_and_b32_e32 v133, 0x3030303, v124
	v_bfe_u32 v124, v124, 24, 2
	v_and_b32_e32 v126, 0x4040404, v126
	;; [unrolled: 31-line block ×3, first 2 shown]
	v_sub_u16_e32 v129, v124, v126
	v_sub_u16_sdwa v135, v124, v126 dst_sel:BYTE_1 dst_unused:UNUSED_PAD src0_sel:BYTE_1 src1_sel:BYTE_1
	v_sub_u16_sdwa v123, v123, v126 dst_sel:BYTE_1 dst_unused:UNUSED_PAD src0_sel:DWORD src1_sel:BYTE_3
	v_sub_u16_sdwa v124, v124, v126 dst_sel:DWORD dst_unused:UNUSED_PAD src0_sel:WORD_1 src1_sel:WORD_1
	v_ashrrev_i32_e32 v126, s3, v127
	v_or_b32_sdwa v123, v124, v123 dst_sel:WORD_1 dst_unused:UNUSED_PAD src0_sel:BYTE_0 src1_sel:DWORD
	v_ashrrev_i32_e32 v124, s23, v125
	v_lshlrev_b32_e32 v126, 2, v126
	v_or_b32_sdwa v129, v129, v135 dst_sel:DWORD dst_unused:UNUSED_PAD src0_sel:BYTE_0 src1_sel:DWORD
	v_and_b32_e32 v125, 0x3030303, v124
	v_bfe_u32 v124, v124, 24, 2
	v_and_b32_e32 v126, 0x4040404, v126
	v_or_b32_sdwa v123, v129, v123 dst_sel:DWORD dst_unused:UNUSED_PAD src0_sel:WORD_0 src1_sel:DWORD
	v_sub_u16_e32 v127, v125, v126
	v_sub_u16_sdwa v129, v125, v126 dst_sel:BYTE_1 dst_unused:UNUSED_PAD src0_sel:BYTE_1 src1_sel:BYTE_1
	v_sub_u16_sdwa v124, v124, v126 dst_sel:BYTE_1 dst_unused:UNUSED_PAD src0_sel:DWORD src1_sel:BYTE_3
	v_sub_u16_sdwa v125, v125, v126 dst_sel:DWORD dst_unused:UNUSED_PAD src0_sel:WORD_1 src1_sel:WORD_1
	v_or_b32_sdwa v127, v127, v129 dst_sel:DWORD dst_unused:UNUSED_PAD src0_sel:BYTE_0 src1_sel:DWORD
	v_or_b32_sdwa v124, v125, v124 dst_sel:WORD_1 dst_unused:UNUSED_PAD src0_sel:BYTE_0 src1_sel:DWORD
	v_or_b32_sdwa v125, v127, v124 dst_sel:DWORD dst_unused:UNUSED_PAD src0_sel:WORD_0 src1_sel:DWORD
	v_add_u32_e32 v124, s33, v83
	v_add_u32_e32 v126, s35, v39
	ds_read_b32 v126, v126
	ds_read_u16 v124, v124 offset:26354
	v_mov_b32_e32 v127, 0
	v_dot4c_i32_i8_e32 v127, v128, v6
	v_dot4c_i32_i8_e32 v127, v130, v7
	v_dot4c_i32_i8_e32 v127, v131, v8
	v_dot4c_i32_i8_e32 v127, v132, v9
	s_waitcnt lgkmcnt(0)
	v_lshrrev_b16_e32 v128, 8, v124
	v_bfe_i32 v124, v124, 0, 8
	v_add_lshl_u32 v129, v41, s31, 2
	v_mul_lo_u32 v124, v127, v124
	v_mov_b32_e32 v127, 0
	v_dot4c_i32_i8_e32 v127, v133, v2
	v_dot4c_i32_i8_e32 v127, v134, v3
	;; [unrolled: 1-line block ×4, first 2 shown]
	v_bfe_i32 v123, v128, 0, 8
                                        ; kill: def $vgpr125 killed $sgpr0 killed $exec
	s_nop 1
	v_mad_u64_u32 v[124:125], s[36:37], v127, v123, v[124:125]
	v_cvt_f32_i32_e32 v124, v124
	v_mul_f32_e32 v123, v122, v126
	v_add_u32_e32 v126, 0x4200, v129
	ds_read2_b32 v[126:127], v126 offset1:1
	v_fmac_f32_e32 v113, v123, v124
	v_add_u32_e32 v123, s34, v43
	ds_read2_b32 v[124:125], v123 offset1:1
	s_waitcnt lgkmcnt(1)
	v_ashrrev_i32_e32 v126, s3, v126
	v_lshlrev_b32_e32 v126, 2, v126
	v_and_b32_e32 v126, 0x4040404, v126
	s_waitcnt lgkmcnt(0)
	v_ashrrev_i32_e32 v124, s23, v124
	v_and_b32_e32 v128, 0x3030303, v124
	v_bfe_u32 v124, v124, 24, 2
	v_sub_u16_e32 v130, v128, v126
	v_sub_u16_sdwa v131, v128, v126 dst_sel:BYTE_1 dst_unused:UNUSED_PAD src0_sel:BYTE_1 src1_sel:BYTE_1
	v_sub_u16_sdwa v124, v124, v126 dst_sel:BYTE_1 dst_unused:UNUSED_PAD src0_sel:DWORD src1_sel:BYTE_3
	v_sub_u16_sdwa v126, v128, v126 dst_sel:DWORD dst_unused:UNUSED_PAD src0_sel:WORD_1 src1_sel:WORD_1
	v_or_b32_sdwa v130, v130, v131 dst_sel:DWORD dst_unused:UNUSED_PAD src0_sel:BYTE_0 src1_sel:DWORD
	v_or_b32_sdwa v124, v126, v124 dst_sel:WORD_1 dst_unused:UNUSED_PAD src0_sel:BYTE_0 src1_sel:DWORD
	v_ashrrev_i32_e32 v126, s3, v127
	v_or_b32_sdwa v128, v130, v124 dst_sel:DWORD dst_unused:UNUSED_PAD src0_sel:WORD_0 src1_sel:DWORD
	v_ashrrev_i32_e32 v124, s23, v125
	v_lshlrev_b32_e32 v126, 2, v126
	v_and_b32_e32 v125, 0x3030303, v124
	v_bfe_u32 v124, v124, 24, 2
	v_and_b32_e32 v126, 0x4040404, v126
	v_sub_u16_e32 v127, v125, v126
	v_sub_u16_sdwa v130, v125, v126 dst_sel:BYTE_1 dst_unused:UNUSED_PAD src0_sel:BYTE_1 src1_sel:BYTE_1
	v_sub_u16_sdwa v124, v124, v126 dst_sel:BYTE_1 dst_unused:UNUSED_PAD src0_sel:DWORD src1_sel:BYTE_3
	v_sub_u16_sdwa v125, v125, v126 dst_sel:DWORD dst_unused:UNUSED_PAD src0_sel:WORD_1 src1_sel:WORD_1
	v_or_b32_sdwa v127, v127, v130 dst_sel:DWORD dst_unused:UNUSED_PAD src0_sel:BYTE_0 src1_sel:DWORD
	v_or_b32_sdwa v124, v125, v124 dst_sel:WORD_1 dst_unused:UNUSED_PAD src0_sel:BYTE_0 src1_sel:DWORD
	v_add_u32_e32 v126, 0x4208, v129
	v_or_b32_sdwa v130, v127, v124 dst_sel:DWORD dst_unused:UNUSED_PAD src0_sel:WORD_0 src1_sel:DWORD
	ds_read2_b32 v[124:125], v123 offset0:2 offset1:3
	ds_read2_b32 v[126:127], v126 offset1:1
	s_waitcnt lgkmcnt(1)
	v_ashrrev_i32_e32 v124, s23, v124
	s_waitcnt lgkmcnt(0)
	v_ashrrev_i32_e32 v126, s3, v126
	v_lshlrev_b32_e32 v126, 2, v126
	v_and_b32_e32 v131, 0x3030303, v124
	v_bfe_u32 v124, v124, 24, 2
	v_and_b32_e32 v126, 0x4040404, v126
	v_sub_u16_e32 v132, v131, v126
	v_sub_u16_sdwa v133, v131, v126 dst_sel:BYTE_1 dst_unused:UNUSED_PAD src0_sel:BYTE_1 src1_sel:BYTE_1
	v_sub_u16_sdwa v124, v124, v126 dst_sel:BYTE_1 dst_unused:UNUSED_PAD src0_sel:DWORD src1_sel:BYTE_3
	v_sub_u16_sdwa v126, v131, v126 dst_sel:DWORD dst_unused:UNUSED_PAD src0_sel:WORD_1 src1_sel:WORD_1
	v_or_b32_sdwa v132, v132, v133 dst_sel:DWORD dst_unused:UNUSED_PAD src0_sel:BYTE_0 src1_sel:DWORD
	v_or_b32_sdwa v124, v126, v124 dst_sel:WORD_1 dst_unused:UNUSED_PAD src0_sel:BYTE_0 src1_sel:DWORD
	v_ashrrev_i32_e32 v126, s3, v127
	v_or_b32_sdwa v131, v132, v124 dst_sel:DWORD dst_unused:UNUSED_PAD src0_sel:WORD_0 src1_sel:DWORD
	v_ashrrev_i32_e32 v124, s23, v125
	v_lshlrev_b32_e32 v126, 2, v126
	v_and_b32_e32 v125, 0x3030303, v124
	v_bfe_u32 v124, v124, 24, 2
	v_and_b32_e32 v126, 0x4040404, v126
	v_sub_u16_e32 v127, v125, v126
	v_sub_u16_sdwa v132, v125, v126 dst_sel:BYTE_1 dst_unused:UNUSED_PAD src0_sel:BYTE_1 src1_sel:BYTE_1
	v_sub_u16_sdwa v124, v124, v126 dst_sel:BYTE_1 dst_unused:UNUSED_PAD src0_sel:DWORD src1_sel:BYTE_3
	v_sub_u16_sdwa v125, v125, v126 dst_sel:DWORD dst_unused:UNUSED_PAD src0_sel:WORD_1 src1_sel:WORD_1
	v_or_b32_sdwa v127, v127, v132 dst_sel:DWORD dst_unused:UNUSED_PAD src0_sel:BYTE_0 src1_sel:DWORD
	v_or_b32_sdwa v124, v125, v124 dst_sel:WORD_1 dst_unused:UNUSED_PAD src0_sel:BYTE_0 src1_sel:DWORD
	v_add_u32_e32 v126, 0x4210, v129
	v_or_b32_sdwa v132, v127, v124 dst_sel:DWORD dst_unused:UNUSED_PAD src0_sel:WORD_0 src1_sel:DWORD
	ds_read2_b32 v[124:125], v123 offset0:4 offset1:5
	ds_read2_b32 v[126:127], v126 offset1:1
	s_waitcnt lgkmcnt(1)
	v_ashrrev_i32_e32 v124, s23, v124
	s_waitcnt lgkmcnt(0)
	v_ashrrev_i32_e32 v126, s3, v126
	v_lshlrev_b32_e32 v126, 2, v126
	v_and_b32_e32 v133, 0x3030303, v124
	v_bfe_u32 v124, v124, 24, 2
	v_and_b32_e32 v126, 0x4040404, v126
	;; [unrolled: 31-line block ×3, first 2 shown]
	v_sub_u16_e32 v129, v124, v126
	v_sub_u16_sdwa v135, v124, v126 dst_sel:BYTE_1 dst_unused:UNUSED_PAD src0_sel:BYTE_1 src1_sel:BYTE_1
	v_sub_u16_sdwa v123, v123, v126 dst_sel:BYTE_1 dst_unused:UNUSED_PAD src0_sel:DWORD src1_sel:BYTE_3
	v_sub_u16_sdwa v124, v124, v126 dst_sel:DWORD dst_unused:UNUSED_PAD src0_sel:WORD_1 src1_sel:WORD_1
	v_ashrrev_i32_e32 v126, s3, v127
	v_or_b32_sdwa v123, v124, v123 dst_sel:WORD_1 dst_unused:UNUSED_PAD src0_sel:BYTE_0 src1_sel:DWORD
	v_ashrrev_i32_e32 v124, s23, v125
	v_lshlrev_b32_e32 v126, 2, v126
	v_or_b32_sdwa v129, v129, v135 dst_sel:DWORD dst_unused:UNUSED_PAD src0_sel:BYTE_0 src1_sel:DWORD
	v_and_b32_e32 v125, 0x3030303, v124
	v_bfe_u32 v124, v124, 24, 2
	v_and_b32_e32 v126, 0x4040404, v126
	v_or_b32_sdwa v123, v129, v123 dst_sel:DWORD dst_unused:UNUSED_PAD src0_sel:WORD_0 src1_sel:DWORD
	v_sub_u16_e32 v127, v125, v126
	v_sub_u16_sdwa v129, v125, v126 dst_sel:BYTE_1 dst_unused:UNUSED_PAD src0_sel:BYTE_1 src1_sel:BYTE_1
	v_sub_u16_sdwa v124, v124, v126 dst_sel:BYTE_1 dst_unused:UNUSED_PAD src0_sel:DWORD src1_sel:BYTE_3
	v_sub_u16_sdwa v125, v125, v126 dst_sel:DWORD dst_unused:UNUSED_PAD src0_sel:WORD_1 src1_sel:WORD_1
	v_or_b32_sdwa v127, v127, v129 dst_sel:DWORD dst_unused:UNUSED_PAD src0_sel:BYTE_0 src1_sel:DWORD
	v_or_b32_sdwa v124, v125, v124 dst_sel:WORD_1 dst_unused:UNUSED_PAD src0_sel:BYTE_0 src1_sel:DWORD
	v_or_b32_sdwa v125, v127, v124 dst_sel:DWORD dst_unused:UNUSED_PAD src0_sel:WORD_0 src1_sel:DWORD
	v_add_u32_e32 v124, s33, v81
	v_add_u32_e32 v126, s35, v45
	ds_read_b32 v126, v126
	ds_read_u16 v124, v124 offset:27378
	v_mov_b32_e32 v127, 0
	v_dot4c_i32_i8_e32 v127, v128, v6
	v_dot4c_i32_i8_e32 v127, v130, v7
	;; [unrolled: 1-line block ×4, first 2 shown]
	s_waitcnt lgkmcnt(0)
	v_lshrrev_b16_e32 v128, 8, v124
	v_bfe_i32 v124, v124, 0, 8
	v_add_lshl_u32 v129, v47, s31, 2
	v_mul_lo_u32 v124, v127, v124
	v_mov_b32_e32 v127, 0
	v_dot4c_i32_i8_e32 v127, v133, v2
	v_dot4c_i32_i8_e32 v127, v134, v3
	;; [unrolled: 1-line block ×4, first 2 shown]
	v_bfe_i32 v123, v128, 0, 8
                                        ; kill: def $vgpr125 killed $sgpr0 killed $exec
	s_nop 1
	v_mad_u64_u32 v[124:125], s[36:37], v127, v123, v[124:125]
	v_cvt_f32_i32_e32 v124, v124
	v_mul_f32_e32 v123, v122, v126
	v_add_u32_e32 v126, 0x4200, v129
	ds_read2_b32 v[126:127], v126 offset1:1
	v_fmac_f32_e32 v117, v123, v124
	v_add_u32_e32 v123, s34, v49
	ds_read2_b32 v[124:125], v123 offset1:1
	s_waitcnt lgkmcnt(1)
	v_ashrrev_i32_e32 v126, s3, v126
	v_lshlrev_b32_e32 v126, 2, v126
	v_and_b32_e32 v126, 0x4040404, v126
	s_waitcnt lgkmcnt(0)
	v_ashrrev_i32_e32 v124, s23, v124
	v_and_b32_e32 v128, 0x3030303, v124
	v_bfe_u32 v124, v124, 24, 2
	v_sub_u16_e32 v130, v128, v126
	v_sub_u16_sdwa v131, v128, v126 dst_sel:BYTE_1 dst_unused:UNUSED_PAD src0_sel:BYTE_1 src1_sel:BYTE_1
	v_sub_u16_sdwa v124, v124, v126 dst_sel:BYTE_1 dst_unused:UNUSED_PAD src0_sel:DWORD src1_sel:BYTE_3
	v_sub_u16_sdwa v126, v128, v126 dst_sel:DWORD dst_unused:UNUSED_PAD src0_sel:WORD_1 src1_sel:WORD_1
	v_or_b32_sdwa v130, v130, v131 dst_sel:DWORD dst_unused:UNUSED_PAD src0_sel:BYTE_0 src1_sel:DWORD
	v_or_b32_sdwa v124, v126, v124 dst_sel:WORD_1 dst_unused:UNUSED_PAD src0_sel:BYTE_0 src1_sel:DWORD
	v_ashrrev_i32_e32 v126, s3, v127
	v_or_b32_sdwa v128, v130, v124 dst_sel:DWORD dst_unused:UNUSED_PAD src0_sel:WORD_0 src1_sel:DWORD
	v_ashrrev_i32_e32 v124, s23, v125
	v_lshlrev_b32_e32 v126, 2, v126
	v_and_b32_e32 v125, 0x3030303, v124
	v_bfe_u32 v124, v124, 24, 2
	v_and_b32_e32 v126, 0x4040404, v126
	v_sub_u16_e32 v127, v125, v126
	v_sub_u16_sdwa v130, v125, v126 dst_sel:BYTE_1 dst_unused:UNUSED_PAD src0_sel:BYTE_1 src1_sel:BYTE_1
	v_sub_u16_sdwa v124, v124, v126 dst_sel:BYTE_1 dst_unused:UNUSED_PAD src0_sel:DWORD src1_sel:BYTE_3
	v_sub_u16_sdwa v125, v125, v126 dst_sel:DWORD dst_unused:UNUSED_PAD src0_sel:WORD_1 src1_sel:WORD_1
	v_or_b32_sdwa v127, v127, v130 dst_sel:DWORD dst_unused:UNUSED_PAD src0_sel:BYTE_0 src1_sel:DWORD
	v_or_b32_sdwa v124, v125, v124 dst_sel:WORD_1 dst_unused:UNUSED_PAD src0_sel:BYTE_0 src1_sel:DWORD
	v_add_u32_e32 v126, 0x4208, v129
	v_or_b32_sdwa v130, v127, v124 dst_sel:DWORD dst_unused:UNUSED_PAD src0_sel:WORD_0 src1_sel:DWORD
	ds_read2_b32 v[124:125], v123 offset0:2 offset1:3
	ds_read2_b32 v[126:127], v126 offset1:1
	s_waitcnt lgkmcnt(1)
	v_ashrrev_i32_e32 v124, s23, v124
	s_waitcnt lgkmcnt(0)
	v_ashrrev_i32_e32 v126, s3, v126
	v_lshlrev_b32_e32 v126, 2, v126
	v_and_b32_e32 v131, 0x3030303, v124
	v_bfe_u32 v124, v124, 24, 2
	v_and_b32_e32 v126, 0x4040404, v126
	v_sub_u16_e32 v132, v131, v126
	v_sub_u16_sdwa v133, v131, v126 dst_sel:BYTE_1 dst_unused:UNUSED_PAD src0_sel:BYTE_1 src1_sel:BYTE_1
	v_sub_u16_sdwa v124, v124, v126 dst_sel:BYTE_1 dst_unused:UNUSED_PAD src0_sel:DWORD src1_sel:BYTE_3
	v_sub_u16_sdwa v126, v131, v126 dst_sel:DWORD dst_unused:UNUSED_PAD src0_sel:WORD_1 src1_sel:WORD_1
	v_or_b32_sdwa v132, v132, v133 dst_sel:DWORD dst_unused:UNUSED_PAD src0_sel:BYTE_0 src1_sel:DWORD
	v_or_b32_sdwa v124, v126, v124 dst_sel:WORD_1 dst_unused:UNUSED_PAD src0_sel:BYTE_0 src1_sel:DWORD
	v_ashrrev_i32_e32 v126, s3, v127
	v_or_b32_sdwa v131, v132, v124 dst_sel:DWORD dst_unused:UNUSED_PAD src0_sel:WORD_0 src1_sel:DWORD
	v_ashrrev_i32_e32 v124, s23, v125
	v_lshlrev_b32_e32 v126, 2, v126
	v_and_b32_e32 v125, 0x3030303, v124
	v_bfe_u32 v124, v124, 24, 2
	v_and_b32_e32 v126, 0x4040404, v126
	v_sub_u16_e32 v127, v125, v126
	v_sub_u16_sdwa v132, v125, v126 dst_sel:BYTE_1 dst_unused:UNUSED_PAD src0_sel:BYTE_1 src1_sel:BYTE_1
	v_sub_u16_sdwa v124, v124, v126 dst_sel:BYTE_1 dst_unused:UNUSED_PAD src0_sel:DWORD src1_sel:BYTE_3
	v_sub_u16_sdwa v125, v125, v126 dst_sel:DWORD dst_unused:UNUSED_PAD src0_sel:WORD_1 src1_sel:WORD_1
	v_or_b32_sdwa v127, v127, v132 dst_sel:DWORD dst_unused:UNUSED_PAD src0_sel:BYTE_0 src1_sel:DWORD
	v_or_b32_sdwa v124, v125, v124 dst_sel:WORD_1 dst_unused:UNUSED_PAD src0_sel:BYTE_0 src1_sel:DWORD
	v_add_u32_e32 v126, 0x4210, v129
	v_or_b32_sdwa v132, v127, v124 dst_sel:DWORD dst_unused:UNUSED_PAD src0_sel:WORD_0 src1_sel:DWORD
	ds_read2_b32 v[124:125], v123 offset0:4 offset1:5
	ds_read2_b32 v[126:127], v126 offset1:1
	s_waitcnt lgkmcnt(1)
	v_ashrrev_i32_e32 v124, s23, v124
	s_waitcnt lgkmcnt(0)
	v_ashrrev_i32_e32 v126, s3, v126
	v_lshlrev_b32_e32 v126, 2, v126
	v_and_b32_e32 v133, 0x3030303, v124
	v_bfe_u32 v124, v124, 24, 2
	v_and_b32_e32 v126, 0x4040404, v126
	;; [unrolled: 31-line block ×3, first 2 shown]
	v_sub_u16_e32 v129, v124, v126
	v_sub_u16_sdwa v135, v124, v126 dst_sel:BYTE_1 dst_unused:UNUSED_PAD src0_sel:BYTE_1 src1_sel:BYTE_1
	v_sub_u16_sdwa v123, v123, v126 dst_sel:BYTE_1 dst_unused:UNUSED_PAD src0_sel:DWORD src1_sel:BYTE_3
	v_sub_u16_sdwa v124, v124, v126 dst_sel:DWORD dst_unused:UNUSED_PAD src0_sel:WORD_1 src1_sel:WORD_1
	v_ashrrev_i32_e32 v126, s3, v127
	v_or_b32_sdwa v123, v124, v123 dst_sel:WORD_1 dst_unused:UNUSED_PAD src0_sel:BYTE_0 src1_sel:DWORD
	v_ashrrev_i32_e32 v124, s23, v125
	v_lshlrev_b32_e32 v126, 2, v126
	v_or_b32_sdwa v129, v129, v135 dst_sel:DWORD dst_unused:UNUSED_PAD src0_sel:BYTE_0 src1_sel:DWORD
	v_and_b32_e32 v125, 0x3030303, v124
	v_bfe_u32 v124, v124, 24, 2
	v_and_b32_e32 v126, 0x4040404, v126
	v_or_b32_sdwa v123, v129, v123 dst_sel:DWORD dst_unused:UNUSED_PAD src0_sel:WORD_0 src1_sel:DWORD
	v_sub_u16_e32 v127, v125, v126
	v_sub_u16_sdwa v129, v125, v126 dst_sel:BYTE_1 dst_unused:UNUSED_PAD src0_sel:BYTE_1 src1_sel:BYTE_1
	v_sub_u16_sdwa v124, v124, v126 dst_sel:BYTE_1 dst_unused:UNUSED_PAD src0_sel:DWORD src1_sel:BYTE_3
	v_sub_u16_sdwa v125, v125, v126 dst_sel:DWORD dst_unused:UNUSED_PAD src0_sel:WORD_1 src1_sel:WORD_1
	v_or_b32_sdwa v127, v127, v129 dst_sel:DWORD dst_unused:UNUSED_PAD src0_sel:BYTE_0 src1_sel:DWORD
	v_or_b32_sdwa v124, v125, v124 dst_sel:WORD_1 dst_unused:UNUSED_PAD src0_sel:BYTE_0 src1_sel:DWORD
	v_or_b32_sdwa v124, v127, v124 dst_sel:DWORD dst_unused:UNUSED_PAD src0_sel:WORD_0 src1_sel:DWORD
	v_add_u32_e32 v125, s33, v79
	v_add_u32_e32 v126, s35, v51
	v_mov_b32_e32 v127, 0
	ds_read_b32 v126, v126
	v_dot4c_i32_i8_e32 v127, v128, v6
	ds_read_u16 v6, v125 offset:28402
	v_dot4c_i32_i8_e32 v127, v130, v7
	v_dot4c_i32_i8_e32 v127, v131, v8
	v_mov_b32_e32 v8, 0
	v_dot4c_i32_i8_e32 v8, v133, v2
	v_dot4c_i32_i8_e32 v8, v134, v3
	;; [unrolled: 1-line block ×3, first 2 shown]
	s_waitcnt lgkmcnt(0)
	v_lshrrev_b16_e32 v7, 8, v6
	v_bfe_i32 v6, v6, 0, 8
	v_dot4c_i32_i8_e32 v8, v123, v4
	v_mul_lo_u32 v6, v127, v6
	v_dot4c_i32_i8_e32 v8, v124, v5
	v_bfe_i32 v2, v7, 0, 8
	s_add_i32 s3, s3, 1
	s_cmp_lt_u32 s22, 30
	v_mad_u64_u32 v[2:3], s[34:35], v8, v2, v[6:7]
	v_cvt_f32_i32_e32 v2, v2
	v_mul_f32_e32 v3, v122, v126
	s_mov_b32 s33, s22
	v_fmac_f32_e32 v118, v3, v2
	s_cbranch_scc1 .LBB210_36
; %bb.37:                               ;   in Loop: Header=BB210_5 Depth=1
	s_barrier
	s_branch .LBB210_4
.LBB210_38:
	v_mov_b32_e32 v1, 0
	v_mov_b32_e32 v2, 0
	;; [unrolled: 1-line block ×3, first 2 shown]
	s_mul_i32 s0, s14, s11
	s_waitcnt vmcnt(0)
	v_cmp_gt_i32_e32 vcc, s0, v11
	s_and_saveexec_b64 s[0:1], vcc
	s_cbranch_execnz .LBB210_41
.LBB210_39:
	s_endpgm
.LBB210_40:
	v_cvt_f16_f32_e32 v5, v15
	v_cvt_f16_f32_e32 v2, v113
	;; [unrolled: 1-line block ×4, first 2 shown]
	s_mul_i32 s0, s14, s11
	v_cmp_gt_i32_e32 vcc, s0, v11
	s_and_saveexec_b64 s[0:1], vcc
	s_cbranch_execz .LBB210_39
.LBB210_41:
	v_and_b32_e32 v0, 0x3ff, v0
	v_add_u32_e32 v4, s15, v0
	v_mul_lo_u32 v0, v11, s13
	v_cmp_gt_u32_e32 vcc, s13, v4
	s_and_saveexec_b64 s[0:1], vcc
	s_cbranch_execz .LBB210_43
; %bb.42:
	v_add_u32_e32 v6, v0, v4
	v_mov_b32_e32 v7, 0
	v_lshlrev_b64 v[6:7], 1, v[6:7]
	v_mov_b32_e32 v8, s17
	v_add_co_u32_e32 v6, vcc, s16, v6
	v_addc_co_u32_e32 v7, vcc, v8, v7, vcc
	global_store_short v[6:7], v5, off
.LBB210_43:
	s_or_b64 exec, exec, s[0:1]
	v_add_u32_e32 v5, 32, v4
	v_cmp_gt_u32_e32 vcc, s13, v5
	s_and_saveexec_b64 s[0:1], vcc
	s_cbranch_execz .LBB210_45
; %bb.44:
	v_add_u32_e32 v6, v0, v5
	v_mov_b32_e32 v7, 0
	v_lshlrev_b64 v[6:7], 1, v[6:7]
	v_mov_b32_e32 v5, s17
	v_add_co_u32_e32 v6, vcc, s16, v6
	v_addc_co_u32_e32 v7, vcc, v5, v7, vcc
	global_store_short v[6:7], v2, off
.LBB210_45:
	s_or_b64 exec, exec, s[0:1]
	v_add_u32_e32 v2, 64, v4
	;; [unrolled: 14-line block ×3, first 2 shown]
	v_cmp_gt_u32_e32 vcc, s13, v1
	s_and_b64 exec, exec, vcc
	s_cbranch_execz .LBB210_39
; %bb.48:
	v_add_u32_e32 v0, v0, v1
	v_mov_b32_e32 v1, 0
	v_lshlrev_b64 v[0:1], 1, v[0:1]
	v_mov_b32_e32 v2, s17
	v_add_co_u32_e32 v0, vcc, s16, v0
	v_addc_co_u32_e32 v1, vcc, v2, v1, vcc
	global_store_short v[0:1], v3, off
	s_endpgm
	.section	.rodata,"a",@progbits
	.p2align	6, 0x0
	.amdhsa_kernel _ZL8moe_q3_KIN3c104HalfELb1EEvPKvS3_PT_PKiS7_S7_iiiiiii
		.amdhsa_group_segment_fixed_size 31776
		.amdhsa_private_segment_fixed_size 0
		.amdhsa_kernarg_size 76
		.amdhsa_user_sgpr_count 6
		.amdhsa_user_sgpr_private_segment_buffer 1
		.amdhsa_user_sgpr_dispatch_ptr 0
		.amdhsa_user_sgpr_queue_ptr 0
		.amdhsa_user_sgpr_kernarg_segment_ptr 1
		.amdhsa_user_sgpr_dispatch_id 0
		.amdhsa_user_sgpr_flat_scratch_init 0
		.amdhsa_user_sgpr_kernarg_preload_length 0
		.amdhsa_user_sgpr_kernarg_preload_offset 0
		.amdhsa_user_sgpr_private_segment_size 0
		.amdhsa_uses_dynamic_stack 0
		.amdhsa_system_sgpr_private_segment_wavefront_offset 0
		.amdhsa_system_sgpr_workgroup_id_x 1
		.amdhsa_system_sgpr_workgroup_id_y 1
		.amdhsa_system_sgpr_workgroup_id_z 0
		.amdhsa_system_sgpr_workgroup_info 0
		.amdhsa_system_vgpr_workitem_id 1
		.amdhsa_next_free_vgpr 150
		.amdhsa_next_free_sgpr 40
		.amdhsa_accum_offset 152
		.amdhsa_reserve_vcc 1
		.amdhsa_reserve_flat_scratch 0
		.amdhsa_float_round_mode_32 0
		.amdhsa_float_round_mode_16_64 0
		.amdhsa_float_denorm_mode_32 3
		.amdhsa_float_denorm_mode_16_64 3
		.amdhsa_dx10_clamp 1
		.amdhsa_ieee_mode 1
		.amdhsa_fp16_overflow 0
		.amdhsa_tg_split 0
		.amdhsa_exception_fp_ieee_invalid_op 0
		.amdhsa_exception_fp_denorm_src 0
		.amdhsa_exception_fp_ieee_div_zero 0
		.amdhsa_exception_fp_ieee_overflow 0
		.amdhsa_exception_fp_ieee_underflow 0
		.amdhsa_exception_fp_ieee_inexact 0
		.amdhsa_exception_int_div_zero 0
	.end_amdhsa_kernel
	.section	.text._ZL8moe_q3_KIN3c104HalfELb1EEvPKvS3_PT_PKiS7_S7_iiiiiii,"axG",@progbits,_ZL8moe_q3_KIN3c104HalfELb1EEvPKvS3_PT_PKiS7_S7_iiiiiii,comdat
.Lfunc_end210:
	.size	_ZL8moe_q3_KIN3c104HalfELb1EEvPKvS3_PT_PKiS7_S7_iiiiiii, .Lfunc_end210-_ZL8moe_q3_KIN3c104HalfELb1EEvPKvS3_PT_PKiS7_S7_iiiiiii
                                        ; -- End function
	.section	.AMDGPU.csdata,"",@progbits
; Kernel info:
; codeLenInByte = 20532
; NumSgprs: 44
; NumVgprs: 150
; NumAgprs: 0
; TotalNumVgprs: 150
; ScratchSize: 0
; MemoryBound: 0
; FloatMode: 240
; IeeeMode: 1
; LDSByteSize: 31776 bytes/workgroup (compile time only)
; SGPRBlocks: 5
; VGPRBlocks: 18
; NumSGPRsForWavesPerEU: 44
; NumVGPRsForWavesPerEU: 150
; AccumOffset: 152
; Occupancy: 2
; WaveLimiterHint : 1
; COMPUTE_PGM_RSRC2:SCRATCH_EN: 0
; COMPUTE_PGM_RSRC2:USER_SGPR: 6
; COMPUTE_PGM_RSRC2:TRAP_HANDLER: 0
; COMPUTE_PGM_RSRC2:TGID_X_EN: 1
; COMPUTE_PGM_RSRC2:TGID_Y_EN: 1
; COMPUTE_PGM_RSRC2:TGID_Z_EN: 0
; COMPUTE_PGM_RSRC2:TIDIG_COMP_CNT: 1
; COMPUTE_PGM_RSRC3_GFX90A:ACCUM_OFFSET: 37
; COMPUTE_PGM_RSRC3_GFX90A:TG_SPLIT: 0
	.section	.text._ZL8moe_q4_KIN3c104HalfELb0EEvPKvS3_PT_PKiS7_S7_iiiiiii,"axG",@progbits,_ZL8moe_q4_KIN3c104HalfELb0EEvPKvS3_PT_PKiS7_S7_iiiiiii,comdat
	.globl	_ZL8moe_q4_KIN3c104HalfELb0EEvPKvS3_PT_PKiS7_S7_iiiiiii ; -- Begin function _ZL8moe_q4_KIN3c104HalfELb0EEvPKvS3_PT_PKiS7_S7_iiiiiii
	.p2align	8
	.type	_ZL8moe_q4_KIN3c104HalfELb0EEvPKvS3_PT_PKiS7_S7_iiiiiii,@function
_ZL8moe_q4_KIN3c104HalfELb0EEvPKvS3_PT_PKiS7_S7_iiiiiii: ; @_ZL8moe_q4_KIN3c104HalfELb0EEvPKvS3_PT_PKiS7_S7_iiiiiii
; %bb.0:
	s_load_dwordx4 s[0:3], s[4:5], 0x18
	s_mov_b32 s8, s7
	s_mov_b32 s9, 0
	s_lshl_b64 s[10:11], s[8:9], 2
	s_waitcnt lgkmcnt(0)
	s_add_u32 s2, s2, s10
	s_addc_u32 s3, s3, s11
	s_load_dword s2, s[2:3], 0x0
	s_waitcnt lgkmcnt(0)
	s_cmpk_gt_u32 s2, 0xff
	s_cbranch_scc1 .LBB211_19
; %bb.1:
	s_load_dwordx2 s[10:11], s[4:5], 0x28
	s_lshl_b32 s3, s8, 3
	s_waitcnt lgkmcnt(0)
	s_load_dword s7, s[10:11], 0x0
	s_waitcnt lgkmcnt(0)
	s_cmp_gt_u32 s3, s7
	s_cbranch_scc1 .LBB211_19
; %bb.2:
	v_bfe_u32 v4, v0, 10, 10
	v_add_u32_e32 v2, s3, v4
	v_mov_b32_e32 v3, 0
	v_lshlrev_b64 v[6:7], 2, v[2:3]
	v_mov_b32_e32 v1, s1
	v_add_co_u32_e32 v6, vcc, s0, v6
	v_addc_co_u32_e32 v7, vcc, v1, v7, vcc
	global_load_dword v67, v[6:7], off
	s_load_dwordx2 s[18:19], s[4:5], 0x30
	s_load_dwordx2 s[16:17], s[4:5], 0x10
	s_load_dwordx4 s[8:11], s[4:5], 0x3c
	s_lshl_b32 s24, s6, 7
	s_mov_b32 s20, 0
	s_waitcnt lgkmcnt(0)
	s_cmpk_lt_i32 s19, 0x100
	s_cbranch_scc1 .LBB211_18
; %bb.3:
	s_ashr_i32 s0, s19, 31
	s_lshr_b32 s0, s0, 24
	s_add_i32 s0, s19, s0
	s_ashr_i32 s25, s0, 8
	s_ashr_i32 s0, s9, 31
	s_lshr_b32 s0, s0, 27
	s_add_i32 s0, s9, s0
	v_and_b32_e32 v83, 0x3ff, v0
	s_ashr_i32 s9, s0, 5
	v_lshlrev_b32_e32 v1, 2, v83
	s_movk_i32 s0, 0x84
	v_mad_u32_u24 v90, v4, s0, v1
	s_lshl_b32 s0, s25, 3
	v_mov_b32_e32 v2, s0
	v_mad_i32_i24 v9, s25, v4, v2
	v_add_u32_e32 v10, s0, v9
	v_add_u32_e32 v11, s0, v10
	;; [unrolled: 1-line block ×6, first 2 shown]
	v_lshlrev_b32_e32 v2, 5, v4
	v_add_u32_e32 v16, s0, v15
	v_add_u32_e32 v3, v2, v83
	v_and_b32_e32 v24, 3, v83
	v_add_u32_e32 v17, s0, v16
	v_and_b32_e32 v7, 0x7f, v3
	v_lshrrev_b32_e32 v22, 3, v3
	v_add_u32_e32 v25, 0xfe, v24
	v_cmp_gt_u32_e32 vcc, 2, v24
	s_mul_i32 s18, s2, s18
	v_add_u32_e32 v18, s0, v17
	v_mul_i32_i24_e32 v57, s25, v7
	v_and_b32_e32 v22, 12, v22
	v_lshlrev_b32_e32 v7, 2, v7
	s_movk_i32 s2, 0x4e40
	v_cndmask_b32_e32 v25, v25, v24, vcc
	v_add_u32_e32 v19, s0, v18
	v_add3_u32 v107, v7, v22, s2
	v_lshlrev_b32_e32 v7, 3, v4
	v_lshrrev_b32_e32 v22, 2, v83
	v_and_b32_e32 v25, 0xff, v25
	v_cmp_ne_u32_e32 vcc, 0, v24
	v_add_u32_e32 v20, s0, v19
	v_add_u32_e32 v23, v22, v7
	v_addc_co_u32_e32 v60, vcc, 0, v25, vcc
	v_add_u16_e32 v7, v22, v7
	v_add_u32_e32 v21, s0, v20
	v_cmp_lt_u32_e32 vcc, 1, v24
	v_and_b32_e32 v23, 0x7f, v23
	v_lshlrev_b32_e32 v24, 2, v24
	v_lshrrev_b16_e32 v7, 1, v7
	s_load_dwordx4 s[12:15], s[4:5], 0x0
	v_add_u32_e32 v53, s0, v21
	v_lshlrev_b32_e32 v109, 1, v25
	v_lshl_or_b32 v25, v23, 4, v24
	v_and_b32_e32 v7, 60, v7
	s_movk_i32 s0, 0x4200
	v_add3_u32 v110, v25, v7, s0
	v_xor_b32_e32 v7, 64, v23
	v_mul_i32_i24_e32 v63, s25, v7
	v_lshl_or_b32 v22, v7, 4, v24
	v_lshrrev_b32_e32 v7, 1, v7
	v_and_b32_e32 v7, 60, v7
	v_add3_u32 v111, v22, v7, s0
	v_and_b32_e32 v7, 28, v1
	v_and_or_b32 v2, v83, 31, v2
	s_waitcnt lgkmcnt(0)
	v_add_co_u32_e64 v22, s[0:1], s14, v7
	v_mov_b32_e32 v7, 0x4a40
	s_movk_i32 s3, 0xffe4
	v_lshl_add_u32 v112, v2, 2, v7
	v_mad_i32_i24 v2, v4, s3, v3
	v_mov_b32_e32 v3, 0x5050
	v_lshrrev_b32_e32 v114, 3, v83
	v_lshrrev_b32_e32 v5, 5, v83
	v_lshl_add_u32 v113, v2, 2, v3
	v_add_u32_e32 v2, v114, v1
	v_mov_b32_e32 v3, 0x4200
	v_lshl_add_u32 v117, v2, 2, v3
	v_lshlrev_b32_e32 v2, 2, v5
	v_add3_u32 v119, v2, v1, s2
	v_add_u32_e32 v2, 32, v83
	v_lshrrev_b32_e32 v120, 3, v2
	v_lshl_add_u32 v2, v2, 2, v120
	v_lshl_add_u32 v121, v2, 2, v3
	v_and_b32_e32 v2, 60, v120
	v_add3_u32 v122, v1, v2, s2
	v_add_u32_e32 v2, 64, v83
	v_lshl_add_u32 v115, v4, 7, v7
	v_lshrrev_b32_e32 v7, 3, v2
	v_lshl_add_u32 v2, v2, 2, v7
	s_abs_i32 s4, s11
	v_lshl_add_u32 v123, v2, 2, v3
	v_and_b32_e32 v2, 60, v7
	v_cvt_f32_u32_e32 v24, s4
	v_add3_u32 v124, v1, v2, s2
	v_add_u32_e32 v2, 0x60, v83
	v_lshrrev_b32_e32 v7, 3, v2
	v_lshl_add_u32 v2, v2, 2, v7
	v_lshl_add_u32 v125, v2, 2, v3
	v_rcp_iflag_f32_e32 v3, v24
	v_and_b32_e32 v2, 60, v7
	v_add3_u32 v126, v1, v2, s2
	s_sub_i32 s2, 0, s4
	v_mul_f32_e32 v2, 0x4f7ffffe, v3
	v_cvt_u32_f32_e32 v2, v2
	s_waitcnt vmcnt(0)
	v_sub_u32_e32 v3, 0, v67
	v_max_i32_e32 v3, v67, v3
	v_and_b32_e32 v8, 0x7c, v1
	v_mul_lo_u32 v7, s2, v2
	v_mul_hi_u32 v7, v2, v7
	v_add_u32_e32 v2, v2, v7
	v_mul_hi_u32 v2, v3, v2
	v_mul_lo_u32 v7, v2, s4
	v_sub_u32_e32 v3, v3, v7
	v_add_u32_e32 v7, 1, v2
	v_cmp_le_u32_e64 s[2:3], s4, v3
	v_cndmask_b32_e64 v2, v2, v7, s[2:3]
	v_subrev_u32_e32 v7, s4, v3
	v_cndmask_b32_e64 v3, v3, v7, s[2:3]
	v_and_b32_e32 v26, 4, v1
	v_xor_b32_e32 v1, s11, v67
	v_add_u32_e32 v7, 1, v2
	v_cmp_le_u32_e64 s[2:3], s4, v3
	s_mul_i32 s21, s25, s24
	v_ashrrev_i32_e32 v1, 31, v1
	v_cndmask_b32_e64 v2, v2, v7, s[2:3]
	v_xor_b32_e32 v2, v2, v1
	s_mul_hi_i32 s23, s21, 0x90
	s_mul_i32 s22, s21, 0x90
	v_sub_u32_e32 v1, v2, v1
	s_movk_i32 s27, 0x90
	v_pk_mov_b32 v[2:3], s[22:23], s[22:23] op_sel:[0,1]
	v_mul_i32_i24_e32 v6, s25, v4
	v_mad_u64_u32 v[2:3], s[4:5], v5, s27, v[2:3]
	v_mad_u64_u32 v[6:7], s[4:5], v6, s27, v[2:3]
	v_add_co_u32_e64 v5, s[4:5], v6, v8
	v_addc_co_u32_e64 v6, s[4:5], 0, v7, s[4:5]
	v_mov_b32_e32 v65, s13
	v_add_co_u32_e64 v5, s[4:5], s12, v5
	v_addc_co_u32_e64 v6, s[4:5], v6, v65, s[4:5]
	v_cndmask_b32_e32 v108, 0, v26, vcc
	v_add_co_u32_e64 v26, s[4:5], 16, v5
	v_addc_co_u32_e64 v25, s[4:5], 0, v6, s[4:5]
	v_mad_u64_u32 v[6:7], s[4:5], v9, s27, v[2:3]
	v_add_co_u32_e64 v5, s[4:5], v6, v8
	v_addc_co_u32_e64 v6, s[4:5], 0, v7, s[4:5]
	v_add_co_u32_e64 v5, s[4:5], s12, v5
	v_addc_co_u32_e64 v6, s[4:5], v6, v65, s[4:5]
	v_add_co_u32_e64 v28, s[4:5], 16, v5
	v_addc_co_u32_e64 v27, s[4:5], 0, v6, s[4:5]
	v_mad_u64_u32 v[6:7], s[4:5], v10, s27, v[2:3]
	v_add_co_u32_e64 v5, s[4:5], v6, v8
	v_addc_co_u32_e64 v6, s[4:5], 0, v7, s[4:5]
	v_add_co_u32_e64 v5, s[4:5], s12, v5
	v_addc_co_u32_e64 v6, s[4:5], v6, v65, s[4:5]
	;; [unrolled: 7-line block ×14, first 2 shown]
	v_add_co_u32_e64 v54, s[4:5], 16, v5
	v_addc_co_u32_e64 v53, s[4:5], 0, v6, s[4:5]
	s_mul_i32 s4, s25, 0x78
	v_mov_b32_e32 v5, s4
	v_lshlrev_b32_e32 v116, 4, v4
	v_mad_i32_i24 v4, s25, v4, v5
	v_mad_u64_u32 v[2:3], s[4:5], v4, s27, v[2:3]
	v_add_co_u32_e64 v2, s[4:5], v2, v8
	v_addc_co_u32_e64 v3, s[4:5], 0, v3, s[4:5]
	v_add_co_u32_e64 v2, s[4:5], s12, v2
	s_ashr_i32 s26, s18, 31
	v_addc_co_u32_e64 v3, s[4:5], v3, v65, s[4:5]
	s_add_u32 s6, s14, 0x90
	v_add_co_u32_e64 v56, s[4:5], 16, v2
	s_addc_u32 s7, s15, 0
	v_addc_co_u32_e64 v55, s[4:5], 0, v3, s[4:5]
	s_add_u32 s4, s12, s22
	s_addc_u32 s5, s13, s23
	v_mul_i32_i24_e32 v61, s25, v23
	v_pk_mov_b32 v[2:3], s[4:5], s[4:5] op_sel:[0,1]
	v_mad_u64_u32 v[58:59], s[4:5], v57, s27, v[2:3]
	v_mad_u64_u32 v[2:3], s[4:5], v61, s27, 0
	v_mov_b32_e32 v4, 0x90
	v_mad_i64_i32 v[2:3], s[4:5], s21, v4, v[2:3]
	v_lshlrev_b32_e32 v5, 2, v60
	v_add_co_u32_e64 v6, s[4:5], v2, v5
	v_addc_co_u32_e64 v7, s[4:5], 0, v3, s[4:5]
	v_add_co_u32_e64 v6, s[4:5], s12, v6
	v_addc_co_u32_e64 v7, s[4:5], v7, v65, s[4:5]
	v_add_co_u32_e64 v60, s[4:5], 4, v6
	v_cndmask_b32_e64 v6, 0, 1, vcc
	v_lshlrev_b32_e32 v6, 2, v6
	v_or_b32_e32 v2, v2, v6
	v_add_co_u32_e32 v2, vcc, s12, v2
	v_addc_co_u32_e32 v3, vcc, v3, v65, vcc
	v_add_co_u32_e32 v62, vcc, 4, v2
	v_addc_co_u32_e64 v57, s[4:5], 0, v7, s[4:5]
	v_addc_co_u32_e32 v61, vcc, 0, v3, vcc
	v_mad_u64_u32 v[2:3], s[4:5], v63, s27, 0
	v_mad_i64_i32 v[2:3], s[4:5], s21, v4, v[2:3]
	v_add_co_u32_e32 v4, vcc, v2, v5
	v_addc_co_u32_e32 v5, vcc, 0, v3, vcc
	v_add_co_u32_e32 v4, vcc, s12, v4
	v_addc_co_u32_e32 v5, vcc, v5, v65, vcc
	;; [unrolled: 2-line block ×3, first 2 shown]
	v_or_b32_e32 v2, v2, v6
	v_add_co_u32_e32 v2, vcc, s12, v2
	v_mov_b32_e32 v23, s15
	v_addc_co_u32_e32 v3, vcc, v3, v65, vcc
	v_addc_co_u32_e64 v23, s[0:1], 0, v23, s[0:1]
	v_mul_lo_u32 v24, v1, s9
	v_add_co_u32_e32 v66, vcc, 4, v2
	s_mov_b32 s21, s20
	v_mov_b32_e32 v91, 0
	v_add_u32_e32 v92, 0x420, v90
	v_add_u32_e32 v93, 0x840, v90
	;; [unrolled: 1-line block ×15, first 2 shown]
	v_cmp_gt_u32_e64 s[0:1], 4, v83
	v_mul_u32_u24_e32 v118, 0x84, v83
	v_cmp_gt_i32_e64 s[2:3], s8, v1
	v_ashrrev_i32_e32 v1, 31, v24
	v_addc_co_u32_e32 v65, vcc, 0, v3, vcc
	s_movk_i32 s12, 0x80
	v_pk_mov_b32 v[68:69], s[20:21], s[20:21] op_sel:[0,1]
	s_mov_b32 s13, 0x30303030
	v_mov_b32_e32 v127, 0
	s_branch .LBB211_6
.LBB211_4:                              ;   in Loop: Header=BB211_6 Depth=1
	s_or_b64 exec, exec, s[4:5]
	s_waitcnt lgkmcnt(0)
	s_barrier
	ds_read_b128 v[2:5], v116 offset:20560
	ds_read2_b32 v[70:71], v118 offset0:16 offset1:17
	ds_read_b128 v[18:21], v115
	ds_read_b128 v[14:17], v115 offset:16
	ds_read_b128 v[10:13], v115 offset:32
	;; [unrolled: 1-line block ×3, first 2 shown]
	ds_read_b32 v82, v119
	s_waitcnt lgkmcnt(5)
	v_and_b32_e32 v72, 0xf0f0f0f, v70
	v_mov_b32_e32 v128, 0
	s_waitcnt lgkmcnt(4)
	v_dot4c_i32_i8_e32 v128, v72, v18
	ds_read2_b32 v[72:73], v118 offset0:18 offset1:19
	v_lshrrev_b32_e32 v70, 4, v70
	v_and_b32_e32 v70, 0xf0f0f0f, v70
	v_mov_b32_e32 v141, 0
	s_waitcnt lgkmcnt(3)
	v_dot4c_i32_i8_e32 v141, v70, v10
	v_lshrrev_b32_e32 v70, 4, v71
	v_and_b32_e32 v70, 0xf0f0f0f, v70
	v_and_b32_e32 v74, 0xf0f0f0f, v71
	v_dot4c_i32_i8_e32 v141, v70, v11
	s_waitcnt lgkmcnt(0)
	v_lshrrev_b32_e32 v70, 4, v72
	v_dot4c_i32_i8_e32 v128, v74, v19
	ds_read2_b32 v[74:75], v118 offset0:20 offset1:21
	ds_read2_b32 v[80:81], v118 offset0:22 offset1:23
	;; [unrolled: 1-line block ×3, first 2 shown]
	v_and_b32_e32 v70, 0xf0f0f0f, v70
	v_dot4c_i32_i8_e32 v141, v70, v12
	v_lshrrev_b32_e32 v70, 4, v73
	v_and_b32_e32 v70, 0xf0f0f0f, v70
	v_dot4c_i32_i8_e32 v141, v70, v13
	s_waitcnt lgkmcnt(2)
	v_lshrrev_b32_e32 v70, 4, v74
	v_and_b32_e32 v70, 0xf0f0f0f, v70
	v_dot4c_i32_i8_e32 v141, v70, v6
	v_lshrrev_b32_e32 v70, 4, v75
	v_and_b32_e32 v78, 0xf0f0f0f, v72
	v_and_b32_e32 v70, 0xf0f0f0f, v70
	v_dot4c_i32_i8_e32 v128, v78, v20
	v_and_b32_e32 v78, 0xf0f0f0f, v73
	v_dot4c_i32_i8_e32 v141, v70, v7
	s_waitcnt lgkmcnt(1)
	v_lshrrev_b32_e32 v70, 4, v80
	v_dot4c_i32_i8_e32 v128, v78, v21
	v_and_b32_e32 v78, 0xf0f0f0f, v74
	v_and_b32_e32 v70, 0xf0f0f0f, v70
	v_dot4c_i32_i8_e32 v128, v78, v14
	v_and_b32_e32 v78, 0xf0f0f0f, v75
	v_dot4c_i32_i8_e32 v141, v70, v8
	v_lshrrev_b32_e32 v70, 4, v81
	v_dot4c_i32_i8_e32 v128, v78, v15
	v_and_b32_e32 v84, 0xf0f0f0f, v80
	v_and_b32_e32 v70, 0xf0f0f0f, v70
	v_dot4c_i32_i8_e32 v128, v84, v16
	v_and_b32_e32 v84, 0xf0f0f0f, v81
	v_dot4c_i32_i8_e32 v141, v70, v9
	v_add_u32_e32 v70, 0x10c0, v118
	ds_read2_b32 v[78:79], v117 offset0:1 offset1:3
	v_dot4c_i32_i8_e32 v128, v84, v17
	ds_read2_b32 v[84:85], v118 offset0:26 offset1:27
	ds_read2_b32 v[86:87], v118 offset0:28 offset1:29
	;; [unrolled: 1-line block ×3, first 2 shown]
	ds_read2_b32 v[70:71], v70 offset1:1
	v_mov_b32_e32 v130, 0
	ds_read_b32 v131, v122 offset:128
	ds_read_b32 v129, v124 offset:256
	;; [unrolled: 1-line block ×3, first 2 shown]
	v_add_u32_e32 v74, 0x10d0, v118
	v_add_u32_e32 v136, 0x2140, v118
	s_waitcnt lgkmcnt(3)
	v_and_b32_e32 v72, 0xf0f0f0f, v70
	v_dot4c_i32_i8_e32 v130, v72, v18
	v_and_b32_e32 v72, 0xf0f0f0f, v71
	v_dot4c_i32_i8_e32 v130, v72, v19
	v_add_u32_e32 v72, 0x10c8, v118
	ds_read2_b32 v[72:73], v72 offset1:1
	v_add_u32_e32 v75, 0x10d8, v118
	ds_read2_b32 v[132:133], v74 offset1:1
	ds_read2_b32 v[134:135], v75 offset1:1
	;; [unrolled: 1-line block ×3, first 2 shown]
	v_lshrrev_b32_e32 v70, 4, v70
	v_and_b32_e32 v70, 0xf0f0f0f, v70
	s_waitcnt lgkmcnt(3)
	v_and_b32_e32 v74, 0xf0f0f0f, v72
	v_dot4c_i32_i8_e32 v130, v74, v20
	v_and_b32_e32 v74, 0xf0f0f0f, v73
	v_dot4c_i32_i8_e32 v130, v74, v21
	s_waitcnt lgkmcnt(2)
	v_and_b32_e32 v74, 0xf0f0f0f, v132
	v_dot4c_i32_i8_e32 v130, v74, v14
	v_and_b32_e32 v74, 0xf0f0f0f, v133
	v_dot4c_i32_i8_e32 v130, v74, v15
	ds_read2_b32 v[74:75], v121 offset0:1 offset1:3
	s_waitcnt lgkmcnt(2)
	v_and_b32_e32 v138, 0xf0f0f0f, v134
	v_dot4c_i32_i8_e32 v130, v138, v16
	v_and_b32_e32 v138, 0xf0f0f0f, v135
	v_dot4c_i32_i8_e32 v130, v138, v17
	s_waitcnt lgkmcnt(0)
	v_and_b32_e32 v138, 0xff, v74
	v_mov_b32_e32 v147, 0
	v_mov_b32_e32 v149, 0
	v_mul_lo_u32 v130, v130, v138
	v_cvt_f32_i32_e32 v143, v130
	v_mov_b32_e32 v130, 0
	v_dot4c_i32_i8_e32 v130, v70, v10
	v_lshrrev_b32_e32 v70, 4, v71
	v_and_b32_e32 v70, 0xf0f0f0f, v70
	v_dot4c_i32_i8_e32 v130, v70, v11
	v_lshrrev_b32_e32 v70, 4, v72
	v_and_b32_e32 v70, 0xf0f0f0f, v70
	;; [unrolled: 3-line block ×7, first 2 shown]
	v_dot4c_i32_i8_e32 v130, v70, v9
	v_bfe_u32 v70, v74, 8, 8
	v_add_u32_e32 v71, 0x2150, v118
	v_mov_b32_e32 v151, 0
	v_mul_lo_u32 v70, v130, v70
	v_cvt_f32_i32_e32 v145, v70
	v_and_b32_e32 v70, 0xf0f0f0f, v136
	v_dot4c_i32_i8_e32 v147, v70, v18
	v_and_b32_e32 v70, 0xf0f0f0f, v137
	v_dot4c_i32_i8_e32 v147, v70, v19
	v_add_u32_e32 v70, 0x2148, v118
	ds_read2_b32 v[72:73], v70 offset1:1
	v_lshrrev_b32_e32 v136, 4, v136
	v_and_b32_e32 v136, 0xf0f0f0f, v136
	v_add_u32_e32 v70, 0x31c0, v118
	v_dot4c_i32_i8_e32 v149, v136, v10
	v_lshrrev_b32_e32 v136, 4, v137
	v_add_u32_e32 v130, 0x2158, v118
	ds_read2_b32 v[132:133], v71 offset1:1
	ds_read2_b32 v[134:135], v130 offset1:1
	;; [unrolled: 1-line block ×3, first 2 shown]
	s_waitcnt lgkmcnt(3)
	v_and_b32_e32 v70, 0xf0f0f0f, v72
	v_and_b32_e32 v136, 0xf0f0f0f, v136
	v_lshrrev_b32_e32 v72, 4, v72
	v_dot4c_i32_i8_e32 v149, v136, v11
	v_and_b32_e32 v72, 0xf0f0f0f, v72
	v_dot4c_i32_i8_e32 v149, v72, v12
	v_lshrrev_b32_e32 v72, 4, v73
	v_and_b32_e32 v72, 0xf0f0f0f, v72
	v_dot4c_i32_i8_e32 v147, v70, v20
	v_and_b32_e32 v70, 0xf0f0f0f, v73
	v_dot4c_i32_i8_e32 v149, v72, v13
	s_waitcnt lgkmcnt(2)
	v_lshrrev_b32_e32 v72, 4, v132
	v_dot4c_i32_i8_e32 v147, v70, v21
	v_and_b32_e32 v70, 0xf0f0f0f, v132
	v_and_b32_e32 v72, 0xf0f0f0f, v72
	v_dot4c_i32_i8_e32 v147, v70, v14
	v_and_b32_e32 v70, 0xf0f0f0f, v133
	v_dot4c_i32_i8_e32 v149, v72, v6
	v_lshrrev_b32_e32 v72, 4, v133
	v_dot4c_i32_i8_e32 v147, v70, v15
	ds_read2_b32 v[70:71], v123 offset0:1 offset1:3
	v_and_b32_e32 v72, 0xf0f0f0f, v72
	v_dot4c_i32_i8_e32 v149, v72, v7
	s_waitcnt lgkmcnt(2)
	v_lshrrev_b32_e32 v72, 4, v134
	v_and_b32_e32 v72, 0xf0f0f0f, v72
	v_dot4c_i32_i8_e32 v149, v72, v8
	v_lshrrev_b32_e32 v72, 4, v135
	v_and_b32_e32 v72, 0xf0f0f0f, v72
	v_dot4c_i32_i8_e32 v149, v72, v9
	s_waitcnt lgkmcnt(0)
	v_bfe_u32 v72, v70, 8, 8
	v_and_b32_e32 v130, 0xf0f0f0f, v134
	v_add_u32_e32 v136, 0x10e0, v118
	v_mul_lo_u32 v72, v149, v72
	v_cvt_f32_i32_e32 v149, v72
	v_and_b32_e32 v72, 0xf0f0f0f, v138
	v_dot4c_i32_i8_e32 v151, v72, v18
	v_and_b32_e32 v18, 0xf0f0f0f, v139
	v_dot4c_i32_i8_e32 v151, v18, v19
	v_add_u32_e32 v18, 0x31c8, v118
	ds_read2_b32 v[18:19], v18 offset1:1
	v_add_u32_e32 v72, 0x31d0, v118
	v_dot4c_i32_i8_e32 v147, v130, v16
	v_and_b32_e32 v130, 0xf0f0f0f, v135
	v_add_u32_e32 v73, 0x31d8, v118
	ds_read2_b32 v[132:133], v72 offset1:1
	ds_read2_b32 v[134:135], v73 offset1:1
	;; [unrolled: 1-line block ×3, first 2 shown]
	s_waitcnt lgkmcnt(3)
	v_and_b32_e32 v72, 0xf0f0f0f, v18
	v_dot4c_i32_i8_e32 v151, v72, v20
	v_and_b32_e32 v20, 0xf0f0f0f, v19
	ds_read2_b32 v[72:73], v125 offset0:1 offset1:3
	v_dot4c_i32_i8_e32 v151, v20, v21
	s_waitcnt lgkmcnt(3)
	v_and_b32_e32 v20, 0xf0f0f0f, v132
	v_dot4c_i32_i8_e32 v151, v20, v14
	v_and_b32_e32 v14, 0xf0f0f0f, v133
	v_dot4c_i32_i8_e32 v151, v14, v15
	s_waitcnt lgkmcnt(2)
	v_and_b32_e32 v14, 0xf0f0f0f, v134
	v_dot4c_i32_i8_e32 v151, v14, v16
	v_and_b32_e32 v14, 0xf0f0f0f, v135
	v_dot4c_i32_i8_e32 v151, v14, v17
	s_waitcnt lgkmcnt(0)
	v_and_b32_e32 v14, 0xff, v72
	v_mov_b32_e32 v15, 0
	v_dot4c_i32_i8_e32 v147, v130, v17
	v_mul_lo_u32 v14, v151, v14
	v_cvt_f32_i32_e32 v151, v14
	v_lshrrev_b32_e32 v14, 4, v138
	v_and_b32_e32 v14, 0xf0f0f0f, v14
	v_dot4c_i32_i8_e32 v15, v14, v10
	v_lshrrev_b32_e32 v10, 4, v139
	v_and_b32_e32 v10, 0xf0f0f0f, v10
	v_dot4c_i32_i8_e32 v15, v10, v11
	v_lshrrev_b32_e32 v10, 4, v18
	v_and_b32_e32 v10, 0xf0f0f0f, v10
	v_dot4c_i32_i8_e32 v15, v10, v12
	v_lshrrev_b32_e32 v10, 4, v19
	v_and_b32_e32 v10, 0xf0f0f0f, v10
	v_dot4c_i32_i8_e32 v15, v10, v13
	v_lshrrev_b32_e32 v10, 4, v132
	v_and_b32_e32 v10, 0xf0f0f0f, v10
	v_dot4c_i32_i8_e32 v15, v10, v6
	v_lshrrev_b32_e32 v6, 4, v133
	v_and_b32_e32 v6, 0xf0f0f0f, v6
	v_dot4c_i32_i8_e32 v15, v6, v7
	v_lshrrev_b32_e32 v6, 4, v134
	v_and_b32_e32 v6, 0xf0f0f0f, v6
	v_dot4c_i32_i8_e32 v15, v6, v8
	v_lshrrev_b32_e32 v6, 4, v135
	v_and_b32_e32 v6, 0xf0f0f0f, v6
	v_dot4c_i32_i8_e32 v15, v6, v9
	v_bfe_u32 v6, v72, 8, 8
	v_and_b32_e32 v132, 0xf0f0f0f, v76
	v_mov_b32_e32 v133, 0
	v_mul_lo_u32 v6, v15, v6
	v_cvt_f32_i32_e32 v138, v6
	ds_read_b128 v[18:21], v115 offset:64
	ds_read_b128 v[14:17], v115 offset:80
	ds_read_b128 v[10:13], v115 offset:96
	ds_read_b128 v[6:9], v115 offset:112
	v_lshrrev_b32_e32 v76, 4, v76
	s_waitcnt lgkmcnt(3)
	v_dot4c_i32_i8_e32 v133, v132, v18
	v_and_b32_e32 v132, 0xf0f0f0f, v77
	v_dot4c_i32_i8_e32 v133, v132, v19
	v_and_b32_e32 v132, 0xf0f0f0f, v84
	;; [unrolled: 2-line block ×4, first 2 shown]
	s_waitcnt lgkmcnt(2)
	v_dot4c_i32_i8_e32 v133, v132, v14
	v_and_b32_e32 v132, 0xf0f0f0f, v87
	v_dot4c_i32_i8_e32 v133, v132, v15
	v_and_b32_e32 v132, 0xf0f0f0f, v88
	;; [unrolled: 2-line block ×4, first 2 shown]
	v_mov_b32_e32 v132, 0
	s_waitcnt lgkmcnt(1)
	v_dot4c_i32_i8_e32 v132, v76, v10
	v_lshrrev_b32_e32 v76, 4, v77
	v_and_b32_e32 v76, 0xf0f0f0f, v76
	v_dot4c_i32_i8_e32 v132, v76, v11
	v_lshrrev_b32_e32 v76, 4, v84
	v_and_b32_e32 v76, 0xf0f0f0f, v76
	;; [unrolled: 3-line block ×4, first 2 shown]
	s_waitcnt lgkmcnt(0)
	v_dot4c_i32_i8_e32 v132, v76, v6
	v_lshrrev_b32_e32 v76, 4, v87
	v_and_b32_e32 v76, 0xf0f0f0f, v76
	v_dot4c_i32_i8_e32 v132, v76, v7
	v_lshrrev_b32_e32 v76, 4, v88
	v_cvt_f32_f16_e32 v85, v4
	v_cvt_f32_f16_sdwa v77, v4 dst_sel:DWORD dst_unused:UNUSED_PAD src0_sel:WORD_1
	v_and_b32_e32 v4, 0xff, v78
	v_bfe_u32 v86, v78, 16, 8
	v_and_b32_e32 v76, 0xf0f0f0f, v76
	v_mul_lo_u32 v4, v128, v4
	v_mul_lo_u32 v86, v133, v86
	v_dot4c_i32_i8_e32 v132, v76, v8
	v_lshrrev_b32_e32 v76, 4, v89
	v_cvt_f32_f16_e32 v84, v2
	v_cvt_f32_i32_e32 v89, v86
	v_cvt_f32_i32_e32 v88, v4
	v_and_b32_e32 v76, 0xf0f0f0f, v76
	v_lshrrev_b32_e32 v140, 24, v78
	v_dot4c_i32_i8_e32 v132, v76, v9
	v_bfe_u32 v78, v78, 8, 8
	v_pk_fma_f32 v[88:89], v[84:85], v[88:89], 0 op_sel_hi:[1,1,0]
	v_mul_lo_u32 v78, v141, v78
	v_mul_lo_u32 v84, v132, v140
	v_cvt_f32_f16_sdwa v76, v2 dst_sel:DWORD dst_unused:UNUSED_PAD src0_sel:WORD_1
	v_cvt_f32_f16_e32 v87, v5
	v_cvt_f32_f16_e32 v86, v3
	v_cvt_f32_i32_e32 v133, v84
	v_cvt_f32_i32_e32 v132, v78
	v_and_b32_e32 v148, 0xff, v70
	v_cvt_f32_f16_sdwa v5, v5 dst_sel:DWORD dst_unused:UNUSED_PAD src0_sel:WORD_1
	v_cvt_f32_f16_sdwa v4, v3 dst_sel:DWORD dst_unused:UNUSED_PAD src0_sel:WORD_1
	v_cvt_f32_f16_e32 v80, v82
	v_cvt_f32_f16_sdwa v82, v82 dst_sel:DWORD dst_unused:UNUSED_PAD src0_sel:WORD_1
	v_mul_lo_u32 v147, v147, v148
	v_cvt_f32_i32_e32 v147, v147
	v_cvt_f32_ubyte2_e32 v135, v79
	v_cvt_f32_ubyte0_e32 v134, v79
	v_pk_fma_f32 v[134:135], v[76:77], v[134:135], 0 op_sel_hi:[1,1,0]
	v_pk_fma_f32 v[88:89], v[86:87], v[132:133], v[88:89]
	v_cvt_f32_ubyte3_e32 v133, v79
	v_cvt_f32_ubyte1_e32 v132, v79
	v_pk_fma_f32 v[78:79], v[4:5], v[132:133], v[134:135]
	v_cvt_f32_ubyte0_e32 v144, v75
	v_cvt_f32_ubyte0_e32 v148, v71
	;; [unrolled: 1-line block ×3, first 2 shown]
	v_pk_mul_f32 v[78:79], v[78:79], v[82:83] op_sel_hi:[1,0]
	v_cvt_f32_ubyte1_e32 v139, v73
	v_pk_fma_f32 v[78:79], v[88:89], v[80:81], v[78:79] op_sel_hi:[1,0,1] neg_lo:[0,0,1] neg_hi:[0,0,1]
	v_fma_mix_f32 v4, v2, v143, 0 op_sel_hi:[1,0,0]
	v_fma_mix_f32 v76, v2, v144, 0 op_sel:[1,0,0] op_sel_hi:[1,0,0]
	v_fma_mix_f32 v80, v2, v147, 0 op_sel_hi:[1,0,0]
	v_fma_mix_f32 v82, v2, v148, 0 op_sel:[1,0,0] op_sel_hi:[1,0,0]
	;; [unrolled: 2-line block ×4, first 2 shown]
	v_and_b32_e32 v2, 0xf0f0f0f, v136
	v_mov_b32_e32 v84, 0
	v_dot4c_i32_i8_e32 v84, v2, v18
	v_and_b32_e32 v2, 0xf0f0f0f, v137
	v_cvt_f32_ubyte1_e32 v146, v75
	v_cvt_f32_ubyte1_e32 v150, v71
	v_dot4c_i32_i8_e32 v84, v2, v19
	v_add_u32_e32 v2, 0x10e8, v118
	v_fma_mix_f32 v4, v3, v145, v4 op_sel_hi:[1,0,0]
	v_fma_mix_f32 v76, v3, v146, v76 op_sel:[1,0,0] op_sel_hi:[1,0,0]
	v_fma_mix_f32 v80, v3, v149, v80 op_sel_hi:[1,0,0]
	v_fma_mix_f32 v82, v3, v150, v82 op_sel:[1,0,0] op_sel_hi:[1,0,0]
	ds_read2_b32 v[2:3], v2 offset1:1
	v_add_u32_e32 v86, 0x10f0, v118
	v_add_u32_e32 v132, 0x10f8, v118
	;; [unrolled: 1-line block ×3, first 2 shown]
	ds_read2_b32 v[88:89], v86 offset1:1
	ds_read2_b32 v[132:133], v132 offset1:1
	;; [unrolled: 1-line block ×3, first 2 shown]
	s_waitcnt lgkmcnt(3)
	v_and_b32_e32 v86, 0xf0f0f0f, v2
	v_dot4c_i32_i8_e32 v84, v86, v20
	v_and_b32_e32 v86, 0xf0f0f0f, v3
	v_dot4c_i32_i8_e32 v84, v86, v21
	s_waitcnt lgkmcnt(2)
	v_and_b32_e32 v86, 0xf0f0f0f, v88
	v_dot4c_i32_i8_e32 v84, v86, v14
	v_and_b32_e32 v86, 0xf0f0f0f, v89
	v_dot4c_i32_i8_e32 v84, v86, v15
	s_waitcnt lgkmcnt(1)
	v_and_b32_e32 v86, 0xf0f0f0f, v132
	v_dot4c_i32_i8_e32 v84, v86, v16
	v_and_b32_e32 v86, 0xf0f0f0f, v133
	v_lshrrev_b32_e32 v142, 24, v74
	v_dot4c_i32_i8_e32 v84, v86, v17
	v_bfe_u32 v74, v74, 16, 8
	v_lshrrev_b32_e32 v2, 4, v2
	v_and_b32_e32 v2, 0xf0f0f0f, v2
	v_mul_lo_u32 v74, v84, v74
	v_cvt_f32_i32_e32 v138, v74
	v_lshrrev_b32_e32 v74, 4, v136
	v_and_b32_e32 v74, 0xf0f0f0f, v74
	v_mov_b32_e32 v84, 0
	v_dot4c_i32_i8_e32 v84, v74, v10
	v_lshrrev_b32_e32 v74, 4, v137
	v_and_b32_e32 v74, 0xf0f0f0f, v74
	v_dot4c_i32_i8_e32 v84, v74, v11
	v_dot4c_i32_i8_e32 v84, v2, v12
	v_lshrrev_b32_e32 v2, 4, v3
	v_and_b32_e32 v2, 0xf0f0f0f, v2
	v_dot4c_i32_i8_e32 v84, v2, v13
	v_lshrrev_b32_e32 v2, 4, v88
	v_and_b32_e32 v2, 0xf0f0f0f, v2
	;; [unrolled: 3-line block ×5, first 2 shown]
	v_cvt_f32_f16_sdwa v3, v131 dst_sel:DWORD dst_unused:UNUSED_PAD src0_sel:WORD_1
	v_dot4c_i32_i8_e32 v84, v2, v9
	v_cvt_f32_ubyte2_e32 v139, v75
	v_cvt_f32_ubyte3_e32 v75, v75
	v_mul_f32_e32 v76, v76, v3
	v_mul_lo_u32 v2, v84, v142
	v_cvt_f32_i32_e32 v74, v2
	v_cvt_f32_f16_e32 v2, v131
	v_fma_mix_f32 v89, v4, v131, -v76 op_sel_hi:[0,1,0]
	v_mov_b32_e32 v76, v85
	v_pk_fma_f32 v[84:85], v[76:77], v[138:139], 0 op_sel_hi:[1,1,0]
	v_mov_b32_e32 v4, v87
	v_pk_fma_f32 v[74:75], v[4:5], v[74:75], v[84:85]
	v_pk_mul_f32 v[84:85], v[74:75], v[2:3]
	v_mov_b32_e32 v85, v84
	v_mov_b32_e32 v88, v78
	v_pk_fma_f32 v[2:3], v[74:75], v[2:3], v[84:85] neg_lo:[1,0,0] neg_hi:[1,0,0]
	v_pk_add_f32 v[68:69], v[68:69], v[88:89]
	v_mov_b32_e32 v2, v79
	v_pk_add_f32 v[68:69], v[68:69], v[2:3]
	s_waitcnt lgkmcnt(0)
	v_and_b32_e32 v2, 0xf0f0f0f, v134
	v_mov_b32_e32 v86, 0
	v_dot4c_i32_i8_e32 v86, v2, v18
	v_and_b32_e32 v2, 0xf0f0f0f, v135
	v_dot4c_i32_i8_e32 v86, v2, v19
	v_add_u32_e32 v2, 0x2168, v118
	ds_read2_b32 v[2:3], v2 offset1:1
	v_add_u32_e32 v74, 0x2170, v118
	v_add_u32_e32 v78, 0x2178, v118
	;; [unrolled: 1-line block ×3, first 2 shown]
	ds_read2_b32 v[74:75], v74 offset1:1
	ds_read2_b32 v[78:79], v78 offset1:1
	;; [unrolled: 1-line block ×3, first 2 shown]
	s_waitcnt lgkmcnt(3)
	v_and_b32_e32 v87, 0xf0f0f0f, v2
	v_dot4c_i32_i8_e32 v86, v87, v20
	v_and_b32_e32 v87, 0xf0f0f0f, v3
	v_dot4c_i32_i8_e32 v86, v87, v21
	s_waitcnt lgkmcnt(2)
	v_and_b32_e32 v87, 0xf0f0f0f, v74
	v_dot4c_i32_i8_e32 v86, v87, v14
	v_and_b32_e32 v87, 0xf0f0f0f, v75
	v_dot4c_i32_i8_e32 v86, v87, v15
	s_waitcnt lgkmcnt(1)
	v_and_b32_e32 v87, 0xf0f0f0f, v78
	v_dot4c_i32_i8_e32 v86, v87, v16
	v_and_b32_e32 v87, 0xf0f0f0f, v79
	v_lshrrev_b32_e32 v130, 24, v70
	v_dot4c_i32_i8_e32 v86, v87, v17
	v_bfe_u32 v70, v70, 16, 8
	v_mov_b32_e32 v88, 0
	v_lshrrev_b32_e32 v2, 4, v2
	v_mul_lo_u32 v70, v86, v70
	v_cvt_f32_i32_e32 v86, v70
	v_lshrrev_b32_e32 v70, 4, v134
	v_and_b32_e32 v70, 0xf0f0f0f, v70
	v_dot4c_i32_i8_e32 v88, v70, v10
	v_lshrrev_b32_e32 v70, 4, v135
	v_and_b32_e32 v70, 0xf0f0f0f, v70
	v_dot4c_i32_i8_e32 v88, v70, v11
	v_and_b32_e32 v2, 0xf0f0f0f, v2
	v_dot4c_i32_i8_e32 v88, v2, v12
	v_lshrrev_b32_e32 v2, 4, v3
	v_and_b32_e32 v2, 0xf0f0f0f, v2
	v_dot4c_i32_i8_e32 v88, v2, v13
	v_lshrrev_b32_e32 v2, 4, v74
	;; [unrolled: 3-line block ×5, first 2 shown]
	v_and_b32_e32 v2, 0xf0f0f0f, v2
	v_cvt_f32_f16_sdwa v3, v129 dst_sel:DWORD dst_unused:UNUSED_PAD src0_sel:WORD_1
	v_dot4c_i32_i8_e32 v88, v2, v9
	v_cvt_f32_ubyte2_e32 v87, v71
	v_cvt_f32_ubyte3_e32 v71, v71
	v_mul_f32_e32 v74, v82, v3
	v_mul_lo_u32 v2, v88, v130
	v_cvt_f32_i32_e32 v70, v2
	v_cvt_f32_f16_e32 v2, v129
	v_fma_mix_f32 v74, v80, v129, -v74 op_sel_hi:[0,1,0]
	v_add_f32_e32 v78, v91, v74
	v_pk_fma_f32 v[74:75], v[76:77], v[86:87], 0 op_sel_hi:[1,1,0]
	v_pk_fma_f32 v[70:71], v[4:5], v[70:71], v[74:75]
	v_pk_mul_f32 v[2:3], v[70:71], v[2:3]
	v_sub_f32_e32 v2, v2, v3
	v_add_f32_e32 v91, v78, v2
	s_waitcnt lgkmcnt(0)
	v_and_b32_e32 v2, 0xf0f0f0f, v84
	v_mov_b32_e32 v74, 0
	v_dot4c_i32_i8_e32 v74, v2, v18
	v_and_b32_e32 v2, 0xf0f0f0f, v85
	v_dot4c_i32_i8_e32 v74, v2, v19
	v_add_u32_e32 v2, 0x31e8, v118
	ds_read2_b32 v[2:3], v2 offset1:1
	v_add_u32_e32 v18, 0x31f0, v118
	v_add_u32_e32 v70, 0x31f8, v118
	ds_read2_b32 v[18:19], v18 offset1:1
	ds_read2_b32 v[70:71], v70 offset1:1
	v_lshrrev_b32_e32 v152, 24, v72
	s_waitcnt lgkmcnt(2)
	v_and_b32_e32 v75, 0xf0f0f0f, v2
	v_dot4c_i32_i8_e32 v74, v75, v20
	v_and_b32_e32 v20, 0xf0f0f0f, v3
	v_dot4c_i32_i8_e32 v74, v20, v21
	s_waitcnt lgkmcnt(1)
	v_and_b32_e32 v20, 0xf0f0f0f, v18
	v_dot4c_i32_i8_e32 v74, v20, v14
	v_and_b32_e32 v14, 0xf0f0f0f, v19
	v_dot4c_i32_i8_e32 v74, v14, v15
	s_waitcnt lgkmcnt(0)
	v_and_b32_e32 v14, 0xf0f0f0f, v70
	v_dot4c_i32_i8_e32 v74, v14, v16
	v_and_b32_e32 v14, 0xf0f0f0f, v71
	v_lshrrev_b32_e32 v16, 4, v84
	v_dot4c_i32_i8_e32 v74, v14, v17
	v_and_b32_e32 v16, 0xf0f0f0f, v16
	v_mov_b32_e32 v17, 0
	v_dot4c_i32_i8_e32 v17, v16, v10
	v_lshrrev_b32_e32 v10, 4, v85
	v_and_b32_e32 v10, 0xf0f0f0f, v10
	v_lshrrev_b32_e32 v2, 4, v2
	v_dot4c_i32_i8_e32 v17, v10, v11
	v_and_b32_e32 v2, 0xf0f0f0f, v2
	v_dot4c_i32_i8_e32 v17, v2, v12
	v_lshrrev_b32_e32 v2, 4, v3
	v_and_b32_e32 v2, 0xf0f0f0f, v2
	v_dot4c_i32_i8_e32 v17, v2, v13
	v_lshrrev_b32_e32 v2, 4, v18
	;; [unrolled: 3-line block ×5, first 2 shown]
	v_bfe_u32 v14, v72, 16, 8
	v_and_b32_e32 v2, 0xf0f0f0f, v2
	v_cvt_f32_f16_sdwa v3, v81 dst_sel:DWORD dst_unused:UNUSED_PAD src0_sel:WORD_1
	v_mul_lo_u32 v14, v74, v14
	v_dot4c_i32_i8_e32 v17, v2, v9
	v_cvt_f32_i32_e32 v14, v14
	v_mul_f32_e32 v8, v140, v3
	v_cvt_f32_ubyte2_e32 v15, v73
	v_mul_lo_u32 v2, v17, v152
	v_cvt_f32_i32_e32 v6, v2
	v_cvt_f32_f16_e32 v2, v81
	v_fma_mix_f32 v8, v128, v81, -v8 op_sel_hi:[0,1,0]
	v_cvt_f32_ubyte3_e32 v7, v73
	v_add_f32_e32 v10, v127, v8
	v_pk_fma_f32 v[8:9], v[76:77], v[14:15], 0 op_sel_hi:[1,1,0]
	v_pk_fma_f32 v[4:5], v[4:5], v[6:7], v[8:9]
	v_pk_mul_f32 v[2:3], v[4:5], v[2:3]
	v_sub_f32_e32 v2, v2, v3
	v_add_f32_e32 v127, v10, v2
	s_barrier
.LBB211_5:                              ;   in Loop: Header=BB211_6 Depth=1
	v_add_co_u32_e32 v26, vcc, 0x90, v26
	v_addc_co_u32_e32 v25, vcc, 0, v25, vcc
	v_add_co_u32_e32 v28, vcc, 0x90, v28
	v_addc_co_u32_e32 v27, vcc, 0, v27, vcc
	;; [unrolled: 2-line block ×20, first 2 shown]
	s_add_i32 s25, s25, -1
	s_addk_i32 s12, 0x100
	v_add_co_u32_e32 v66, vcc, 0x90, v66
	v_add_u32_e32 v83, 8, v83
	v_add_u32_e32 v120, 8, v120
	;; [unrolled: 1-line block ×3, first 2 shown]
	s_cmp_eq_u32 s25, 0
	v_addc_co_u32_e32 v65, vcc, 0, v65, vcc
	s_cbranch_scc1 .LBB211_20
.LBB211_6:                              ; =>This Inner Loop Header: Depth=1
	v_mov_b32_e32 v4, s26
	v_add_co_u32_e32 v2, vcc, s18, v26
	v_addc_co_u32_e32 v3, vcc, v25, v4, vcc
	global_load_dword v5, v[2:3], off
	v_add_co_u32_e32 v2, vcc, s18, v28
	v_addc_co_u32_e32 v3, vcc, v27, v4, vcc
	global_load_dword v6, v[2:3], off
	;; [unrolled: 3-line block ×21, first 2 shown]
	s_waitcnt vmcnt(20)
	ds_write_b32 v90, v5
	s_waitcnt vmcnt(19)
	ds_write_b32 v92, v6
	;; [unrolled: 2-line block ×17, first 2 shown]
	s_add_i32 s4, s12, 0xffffff80
	s_cmp_lt_i32 s4, s19
	s_waitcnt vmcnt(3)
	v_ashrrev_i32_e32 v3, v108, v70
	v_and_b32_e32 v3, 0xf0f0f0f, v3
	s_waitcnt vmcnt(2)
	v_ashrrev_i32_e32 v4, v109, v71
	v_and_or_b32 v3, v4, s13, v3
	ds_write_b32 v110, v3
	s_waitcnt vmcnt(1)
	v_ashrrev_i32_e32 v3, v108, v72
	v_and_b32_e32 v3, 0xf0f0f0f, v3
	s_waitcnt vmcnt(0)
	v_ashrrev_i32_e32 v2, v109, v2
	v_and_or_b32 v2, v2, s13, v3
	ds_write_b32 v111, v2
	s_cbranch_scc0 .LBB211_5
; %bb.7:                                ;   in Loop: Header=BB211_6 Depth=1
	v_cmp_gt_i32_e32 vcc, s9, v114
	s_and_b64 s[20:21], s[2:3], vcc
	s_and_saveexec_b64 s[4:5], s[20:21]
	s_cbranch_execz .LBB211_9
; %bb.8:                                ;   in Loop: Header=BB211_6 Depth=1
	v_add_u32_e32 v2, v24, v114
	v_mad_i64_i32 v[2:3], s[20:21], v2, 36, v[22:23]
	global_load_dword v2, v[2:3], off offset:4
	s_waitcnt vmcnt(0)
	ds_write_b32 v112, v2
.LBB211_9:                              ;   in Loop: Header=BB211_6 Depth=1
	s_or_b64 exec, exec, s[4:5]
	s_and_saveexec_b64 s[4:5], s[0:1]
	s_cbranch_execz .LBB211_12
; %bb.10:                               ;   in Loop: Header=BB211_6 Depth=1
	v_cmp_gt_i32_e32 vcc, s9, v83
	s_and_b64 s[20:21], s[2:3], vcc
	s_and_b64 exec, exec, s[20:21]
	s_cbranch_execz .LBB211_12
; %bb.11:                               ;   in Loop: Header=BB211_6 Depth=1
	v_add_u32_e32 v2, v24, v83
	v_mad_i64_i32 v[2:3], s[20:21], v2, 36, s[14:15]
	global_load_dword v2, v[2:3], off
	s_waitcnt vmcnt(0)
	ds_write_b32 v113, v2
.LBB211_12:                             ;   in Loop: Header=BB211_6 Depth=1
	s_or_b64 exec, exec, s[4:5]
	s_waitcnt lgkmcnt(0)
	s_barrier
	ds_read_b128 v[2:5], v116 offset:20560
	ds_read2_b32 v[70:71], v118 offset1:1
	ds_read_b128 v[18:21], v115
	ds_read_b128 v[14:17], v115 offset:16
	ds_read_b128 v[10:13], v115 offset:32
	;; [unrolled: 1-line block ×3, first 2 shown]
	ds_read_b32 v82, v119
	s_waitcnt lgkmcnt(5)
	v_and_b32_e32 v72, 0xf0f0f0f, v70
	v_mov_b32_e32 v128, 0
	s_waitcnt lgkmcnt(4)
	v_dot4c_i32_i8_e32 v128, v72, v18
	ds_read2_b32 v[72:73], v118 offset0:2 offset1:3
	v_lshrrev_b32_e32 v70, 4, v70
	v_and_b32_e32 v70, 0xf0f0f0f, v70
	v_mov_b32_e32 v141, 0
	s_waitcnt lgkmcnt(3)
	v_dot4c_i32_i8_e32 v141, v70, v10
	v_lshrrev_b32_e32 v70, 4, v71
	v_and_b32_e32 v70, 0xf0f0f0f, v70
	v_and_b32_e32 v74, 0xf0f0f0f, v71
	v_dot4c_i32_i8_e32 v141, v70, v11
	s_waitcnt lgkmcnt(0)
	v_lshrrev_b32_e32 v70, 4, v72
	v_dot4c_i32_i8_e32 v128, v74, v19
	ds_read2_b32 v[74:75], v118 offset0:4 offset1:5
	ds_read2_b32 v[80:81], v118 offset0:6 offset1:7
	;; [unrolled: 1-line block ×3, first 2 shown]
	v_and_b32_e32 v70, 0xf0f0f0f, v70
	v_dot4c_i32_i8_e32 v141, v70, v12
	v_lshrrev_b32_e32 v70, 4, v73
	v_and_b32_e32 v70, 0xf0f0f0f, v70
	v_dot4c_i32_i8_e32 v141, v70, v13
	s_waitcnt lgkmcnt(2)
	v_lshrrev_b32_e32 v70, 4, v74
	v_and_b32_e32 v70, 0xf0f0f0f, v70
	v_dot4c_i32_i8_e32 v141, v70, v6
	v_lshrrev_b32_e32 v70, 4, v75
	v_and_b32_e32 v78, 0xf0f0f0f, v72
	v_and_b32_e32 v70, 0xf0f0f0f, v70
	v_dot4c_i32_i8_e32 v128, v78, v20
	v_and_b32_e32 v78, 0xf0f0f0f, v73
	v_dot4c_i32_i8_e32 v141, v70, v7
	s_waitcnt lgkmcnt(1)
	v_lshrrev_b32_e32 v70, 4, v80
	v_dot4c_i32_i8_e32 v128, v78, v21
	v_and_b32_e32 v78, 0xf0f0f0f, v74
	v_and_b32_e32 v70, 0xf0f0f0f, v70
	v_dot4c_i32_i8_e32 v128, v78, v14
	v_and_b32_e32 v78, 0xf0f0f0f, v75
	v_dot4c_i32_i8_e32 v141, v70, v8
	v_lshrrev_b32_e32 v70, 4, v81
	v_dot4c_i32_i8_e32 v128, v78, v15
	v_and_b32_e32 v84, 0xf0f0f0f, v80
	v_and_b32_e32 v70, 0xf0f0f0f, v70
	v_dot4c_i32_i8_e32 v128, v84, v16
	v_and_b32_e32 v84, 0xf0f0f0f, v81
	v_dot4c_i32_i8_e32 v141, v70, v9
	v_add_u32_e32 v70, 0x1080, v118
	ds_read2_b32 v[78:79], v117 offset1:2
	v_dot4c_i32_i8_e32 v128, v84, v17
	ds_read2_b32 v[84:85], v118 offset0:10 offset1:11
	ds_read2_b32 v[86:87], v118 offset0:12 offset1:13
	;; [unrolled: 1-line block ×3, first 2 shown]
	ds_read2_b32 v[70:71], v70 offset1:1
	v_mov_b32_e32 v130, 0
	ds_read_b32 v131, v122 offset:128
	ds_read_b32 v129, v124 offset:256
	ds_read_b32 v81, v126 offset:384
	v_add_u32_e32 v74, 0x1090, v118
	v_add_u32_e32 v136, 0x2100, v118
	s_waitcnt lgkmcnt(3)
	v_and_b32_e32 v72, 0xf0f0f0f, v70
	v_dot4c_i32_i8_e32 v130, v72, v18
	v_and_b32_e32 v72, 0xf0f0f0f, v71
	v_dot4c_i32_i8_e32 v130, v72, v19
	v_add_u32_e32 v72, 0x1088, v118
	ds_read2_b32 v[72:73], v72 offset1:1
	v_add_u32_e32 v75, 0x1098, v118
	ds_read2_b32 v[132:133], v74 offset1:1
	ds_read2_b32 v[134:135], v75 offset1:1
	;; [unrolled: 1-line block ×3, first 2 shown]
	v_lshrrev_b32_e32 v70, 4, v70
	v_and_b32_e32 v70, 0xf0f0f0f, v70
	s_waitcnt lgkmcnt(3)
	v_and_b32_e32 v74, 0xf0f0f0f, v72
	v_dot4c_i32_i8_e32 v130, v74, v20
	v_and_b32_e32 v74, 0xf0f0f0f, v73
	v_dot4c_i32_i8_e32 v130, v74, v21
	s_waitcnt lgkmcnt(2)
	v_and_b32_e32 v74, 0xf0f0f0f, v132
	v_dot4c_i32_i8_e32 v130, v74, v14
	v_and_b32_e32 v74, 0xf0f0f0f, v133
	v_dot4c_i32_i8_e32 v130, v74, v15
	ds_read2_b32 v[74:75], v121 offset1:2
	s_waitcnt lgkmcnt(2)
	v_and_b32_e32 v138, 0xf0f0f0f, v134
	v_dot4c_i32_i8_e32 v130, v138, v16
	v_and_b32_e32 v138, 0xf0f0f0f, v135
	v_dot4c_i32_i8_e32 v130, v138, v17
	s_waitcnt lgkmcnt(0)
	v_and_b32_e32 v138, 0xff, v74
	v_mov_b32_e32 v147, 0
	v_mov_b32_e32 v149, 0
	v_mul_lo_u32 v130, v130, v138
	v_cvt_f32_i32_e32 v143, v130
	v_mov_b32_e32 v130, 0
	v_dot4c_i32_i8_e32 v130, v70, v10
	v_lshrrev_b32_e32 v70, 4, v71
	v_and_b32_e32 v70, 0xf0f0f0f, v70
	v_dot4c_i32_i8_e32 v130, v70, v11
	v_lshrrev_b32_e32 v70, 4, v72
	v_and_b32_e32 v70, 0xf0f0f0f, v70
	;; [unrolled: 3-line block ×7, first 2 shown]
	v_dot4c_i32_i8_e32 v130, v70, v9
	v_bfe_u32 v70, v74, 8, 8
	v_add_u32_e32 v71, 0x2110, v118
	v_mov_b32_e32 v151, 0
	v_mul_lo_u32 v70, v130, v70
	v_cvt_f32_i32_e32 v145, v70
	v_and_b32_e32 v70, 0xf0f0f0f, v136
	v_dot4c_i32_i8_e32 v147, v70, v18
	v_and_b32_e32 v70, 0xf0f0f0f, v137
	v_dot4c_i32_i8_e32 v147, v70, v19
	v_add_u32_e32 v70, 0x2108, v118
	ds_read2_b32 v[72:73], v70 offset1:1
	v_lshrrev_b32_e32 v136, 4, v136
	v_and_b32_e32 v136, 0xf0f0f0f, v136
	v_add_u32_e32 v70, 0x3180, v118
	v_dot4c_i32_i8_e32 v149, v136, v10
	v_lshrrev_b32_e32 v136, 4, v137
	v_add_u32_e32 v130, 0x2118, v118
	ds_read2_b32 v[132:133], v71 offset1:1
	ds_read2_b32 v[134:135], v130 offset1:1
	;; [unrolled: 1-line block ×3, first 2 shown]
	s_waitcnt lgkmcnt(3)
	v_and_b32_e32 v70, 0xf0f0f0f, v72
	v_and_b32_e32 v136, 0xf0f0f0f, v136
	v_lshrrev_b32_e32 v72, 4, v72
	v_dot4c_i32_i8_e32 v149, v136, v11
	v_and_b32_e32 v72, 0xf0f0f0f, v72
	v_dot4c_i32_i8_e32 v149, v72, v12
	v_lshrrev_b32_e32 v72, 4, v73
	v_and_b32_e32 v72, 0xf0f0f0f, v72
	v_dot4c_i32_i8_e32 v147, v70, v20
	v_and_b32_e32 v70, 0xf0f0f0f, v73
	v_dot4c_i32_i8_e32 v149, v72, v13
	s_waitcnt lgkmcnt(2)
	v_lshrrev_b32_e32 v72, 4, v132
	v_dot4c_i32_i8_e32 v147, v70, v21
	v_and_b32_e32 v70, 0xf0f0f0f, v132
	v_and_b32_e32 v72, 0xf0f0f0f, v72
	v_dot4c_i32_i8_e32 v147, v70, v14
	v_and_b32_e32 v70, 0xf0f0f0f, v133
	v_dot4c_i32_i8_e32 v149, v72, v6
	v_lshrrev_b32_e32 v72, 4, v133
	v_dot4c_i32_i8_e32 v147, v70, v15
	ds_read2_b32 v[70:71], v123 offset1:2
	v_and_b32_e32 v72, 0xf0f0f0f, v72
	v_dot4c_i32_i8_e32 v149, v72, v7
	s_waitcnt lgkmcnt(2)
	v_lshrrev_b32_e32 v72, 4, v134
	v_and_b32_e32 v72, 0xf0f0f0f, v72
	v_dot4c_i32_i8_e32 v149, v72, v8
	v_lshrrev_b32_e32 v72, 4, v135
	v_and_b32_e32 v72, 0xf0f0f0f, v72
	v_dot4c_i32_i8_e32 v149, v72, v9
	s_waitcnt lgkmcnt(0)
	v_bfe_u32 v72, v70, 8, 8
	v_and_b32_e32 v130, 0xf0f0f0f, v134
	v_add_u32_e32 v136, 0x10a0, v118
	v_mul_lo_u32 v72, v149, v72
	v_cvt_f32_i32_e32 v149, v72
	v_and_b32_e32 v72, 0xf0f0f0f, v138
	v_dot4c_i32_i8_e32 v151, v72, v18
	v_and_b32_e32 v18, 0xf0f0f0f, v139
	v_dot4c_i32_i8_e32 v151, v18, v19
	v_add_u32_e32 v18, 0x3188, v118
	ds_read2_b32 v[18:19], v18 offset1:1
	v_add_u32_e32 v72, 0x3190, v118
	v_dot4c_i32_i8_e32 v147, v130, v16
	v_and_b32_e32 v130, 0xf0f0f0f, v135
	v_add_u32_e32 v73, 0x3198, v118
	ds_read2_b32 v[132:133], v72 offset1:1
	ds_read2_b32 v[134:135], v73 offset1:1
	;; [unrolled: 1-line block ×3, first 2 shown]
	s_waitcnt lgkmcnt(3)
	v_and_b32_e32 v72, 0xf0f0f0f, v18
	v_dot4c_i32_i8_e32 v151, v72, v20
	v_and_b32_e32 v20, 0xf0f0f0f, v19
	ds_read2_b32 v[72:73], v125 offset1:2
	v_dot4c_i32_i8_e32 v151, v20, v21
	s_waitcnt lgkmcnt(3)
	v_and_b32_e32 v20, 0xf0f0f0f, v132
	v_dot4c_i32_i8_e32 v151, v20, v14
	v_and_b32_e32 v14, 0xf0f0f0f, v133
	v_dot4c_i32_i8_e32 v151, v14, v15
	s_waitcnt lgkmcnt(2)
	v_and_b32_e32 v14, 0xf0f0f0f, v134
	v_dot4c_i32_i8_e32 v151, v14, v16
	v_and_b32_e32 v14, 0xf0f0f0f, v135
	v_dot4c_i32_i8_e32 v151, v14, v17
	s_waitcnt lgkmcnt(0)
	v_and_b32_e32 v14, 0xff, v72
	v_mov_b32_e32 v15, 0
	v_dot4c_i32_i8_e32 v147, v130, v17
	v_mul_lo_u32 v14, v151, v14
	v_cvt_f32_i32_e32 v151, v14
	v_lshrrev_b32_e32 v14, 4, v138
	v_and_b32_e32 v14, 0xf0f0f0f, v14
	v_dot4c_i32_i8_e32 v15, v14, v10
	v_lshrrev_b32_e32 v10, 4, v139
	v_and_b32_e32 v10, 0xf0f0f0f, v10
	v_dot4c_i32_i8_e32 v15, v10, v11
	;; [unrolled: 3-line block ×8, first 2 shown]
	v_bfe_u32 v6, v72, 8, 8
	v_and_b32_e32 v132, 0xf0f0f0f, v76
	v_mov_b32_e32 v133, 0
	v_mul_lo_u32 v6, v15, v6
	v_cvt_f32_i32_e32 v138, v6
	ds_read_b128 v[18:21], v115 offset:64
	ds_read_b128 v[14:17], v115 offset:80
	;; [unrolled: 1-line block ×4, first 2 shown]
	v_lshrrev_b32_e32 v76, 4, v76
	s_waitcnt lgkmcnt(3)
	v_dot4c_i32_i8_e32 v133, v132, v18
	v_and_b32_e32 v132, 0xf0f0f0f, v77
	v_dot4c_i32_i8_e32 v133, v132, v19
	v_and_b32_e32 v132, 0xf0f0f0f, v84
	;; [unrolled: 2-line block ×4, first 2 shown]
	s_waitcnt lgkmcnt(2)
	v_dot4c_i32_i8_e32 v133, v132, v14
	v_and_b32_e32 v132, 0xf0f0f0f, v87
	v_dot4c_i32_i8_e32 v133, v132, v15
	v_and_b32_e32 v132, 0xf0f0f0f, v88
	;; [unrolled: 2-line block ×4, first 2 shown]
	v_mov_b32_e32 v132, 0
	s_waitcnt lgkmcnt(1)
	v_dot4c_i32_i8_e32 v132, v76, v10
	v_lshrrev_b32_e32 v76, 4, v77
	v_and_b32_e32 v76, 0xf0f0f0f, v76
	v_dot4c_i32_i8_e32 v132, v76, v11
	v_lshrrev_b32_e32 v76, 4, v84
	v_and_b32_e32 v76, 0xf0f0f0f, v76
	;; [unrolled: 3-line block ×4, first 2 shown]
	s_waitcnt lgkmcnt(0)
	v_dot4c_i32_i8_e32 v132, v76, v6
	v_lshrrev_b32_e32 v76, 4, v87
	v_and_b32_e32 v76, 0xf0f0f0f, v76
	v_dot4c_i32_i8_e32 v132, v76, v7
	v_lshrrev_b32_e32 v76, 4, v88
	v_cvt_f32_f16_e32 v85, v4
	v_cvt_f32_f16_sdwa v77, v4 dst_sel:DWORD dst_unused:UNUSED_PAD src0_sel:WORD_1
	v_and_b32_e32 v4, 0xff, v78
	v_bfe_u32 v86, v78, 16, 8
	v_and_b32_e32 v76, 0xf0f0f0f, v76
	v_mul_lo_u32 v4, v128, v4
	v_mul_lo_u32 v86, v133, v86
	v_dot4c_i32_i8_e32 v132, v76, v8
	v_lshrrev_b32_e32 v76, 4, v89
	v_cvt_f32_f16_e32 v84, v2
	v_cvt_f32_i32_e32 v89, v86
	v_cvt_f32_i32_e32 v88, v4
	v_and_b32_e32 v76, 0xf0f0f0f, v76
	v_lshrrev_b32_e32 v140, 24, v78
	v_dot4c_i32_i8_e32 v132, v76, v9
	v_bfe_u32 v78, v78, 8, 8
	v_pk_fma_f32 v[88:89], v[84:85], v[88:89], 0 op_sel_hi:[1,1,0]
	v_mul_lo_u32 v78, v141, v78
	v_mul_lo_u32 v84, v132, v140
	v_cvt_f32_f16_sdwa v76, v2 dst_sel:DWORD dst_unused:UNUSED_PAD src0_sel:WORD_1
	v_cvt_f32_f16_e32 v87, v5
	v_cvt_f32_f16_e32 v86, v3
	v_cvt_f32_i32_e32 v133, v84
	v_cvt_f32_i32_e32 v132, v78
	v_and_b32_e32 v148, 0xff, v70
	v_cvt_f32_f16_sdwa v5, v5 dst_sel:DWORD dst_unused:UNUSED_PAD src0_sel:WORD_1
	v_cvt_f32_f16_sdwa v4, v3 dst_sel:DWORD dst_unused:UNUSED_PAD src0_sel:WORD_1
	v_cvt_f32_f16_e32 v80, v82
	v_cvt_f32_f16_sdwa v82, v82 dst_sel:DWORD dst_unused:UNUSED_PAD src0_sel:WORD_1
	v_mul_lo_u32 v147, v147, v148
	v_cvt_f32_i32_e32 v147, v147
	v_cvt_f32_ubyte2_e32 v135, v79
	v_cvt_f32_ubyte0_e32 v134, v79
	v_pk_fma_f32 v[134:135], v[76:77], v[134:135], 0 op_sel_hi:[1,1,0]
	v_pk_fma_f32 v[88:89], v[86:87], v[132:133], v[88:89]
	v_cvt_f32_ubyte3_e32 v133, v79
	v_cvt_f32_ubyte1_e32 v132, v79
	v_pk_fma_f32 v[78:79], v[4:5], v[132:133], v[134:135]
	v_cvt_f32_ubyte0_e32 v144, v75
	v_cvt_f32_ubyte0_e32 v148, v71
	;; [unrolled: 1-line block ×3, first 2 shown]
	v_pk_mul_f32 v[78:79], v[78:79], v[82:83] op_sel_hi:[1,0]
	v_cvt_f32_ubyte1_e32 v139, v73
	v_pk_fma_f32 v[78:79], v[88:89], v[80:81], v[78:79] op_sel_hi:[1,0,1] neg_lo:[0,0,1] neg_hi:[0,0,1]
	v_fma_mix_f32 v4, v2, v143, 0 op_sel_hi:[1,0,0]
	v_fma_mix_f32 v76, v2, v144, 0 op_sel:[1,0,0] op_sel_hi:[1,0,0]
	v_fma_mix_f32 v80, v2, v147, 0 op_sel_hi:[1,0,0]
	v_fma_mix_f32 v82, v2, v148, 0 op_sel:[1,0,0] op_sel_hi:[1,0,0]
	;; [unrolled: 2-line block ×4, first 2 shown]
	v_and_b32_e32 v2, 0xf0f0f0f, v136
	v_mov_b32_e32 v84, 0
	v_dot4c_i32_i8_e32 v84, v2, v18
	v_and_b32_e32 v2, 0xf0f0f0f, v137
	v_cvt_f32_ubyte1_e32 v146, v75
	v_cvt_f32_ubyte1_e32 v150, v71
	v_dot4c_i32_i8_e32 v84, v2, v19
	v_add_u32_e32 v2, 0x10a8, v118
	v_fma_mix_f32 v4, v3, v145, v4 op_sel_hi:[1,0,0]
	v_fma_mix_f32 v76, v3, v146, v76 op_sel:[1,0,0] op_sel_hi:[1,0,0]
	v_fma_mix_f32 v80, v3, v149, v80 op_sel_hi:[1,0,0]
	v_fma_mix_f32 v82, v3, v150, v82 op_sel:[1,0,0] op_sel_hi:[1,0,0]
	ds_read2_b32 v[2:3], v2 offset1:1
	v_add_u32_e32 v86, 0x10b0, v118
	v_add_u32_e32 v132, 0x10b8, v118
	;; [unrolled: 1-line block ×3, first 2 shown]
	ds_read2_b32 v[88:89], v86 offset1:1
	ds_read2_b32 v[132:133], v132 offset1:1
	;; [unrolled: 1-line block ×3, first 2 shown]
	s_waitcnt lgkmcnt(3)
	v_and_b32_e32 v86, 0xf0f0f0f, v2
	v_dot4c_i32_i8_e32 v84, v86, v20
	v_and_b32_e32 v86, 0xf0f0f0f, v3
	v_dot4c_i32_i8_e32 v84, v86, v21
	s_waitcnt lgkmcnt(2)
	v_and_b32_e32 v86, 0xf0f0f0f, v88
	v_dot4c_i32_i8_e32 v84, v86, v14
	v_and_b32_e32 v86, 0xf0f0f0f, v89
	v_dot4c_i32_i8_e32 v84, v86, v15
	s_waitcnt lgkmcnt(1)
	v_and_b32_e32 v86, 0xf0f0f0f, v132
	v_dot4c_i32_i8_e32 v84, v86, v16
	v_and_b32_e32 v86, 0xf0f0f0f, v133
	v_lshrrev_b32_e32 v142, 24, v74
	v_dot4c_i32_i8_e32 v84, v86, v17
	v_bfe_u32 v74, v74, 16, 8
	v_lshrrev_b32_e32 v2, 4, v2
	v_and_b32_e32 v2, 0xf0f0f0f, v2
	v_mul_lo_u32 v74, v84, v74
	v_cvt_f32_i32_e32 v138, v74
	v_lshrrev_b32_e32 v74, 4, v136
	v_and_b32_e32 v74, 0xf0f0f0f, v74
	v_mov_b32_e32 v84, 0
	v_dot4c_i32_i8_e32 v84, v74, v10
	v_lshrrev_b32_e32 v74, 4, v137
	v_and_b32_e32 v74, 0xf0f0f0f, v74
	v_dot4c_i32_i8_e32 v84, v74, v11
	v_dot4c_i32_i8_e32 v84, v2, v12
	v_lshrrev_b32_e32 v2, 4, v3
	v_and_b32_e32 v2, 0xf0f0f0f, v2
	v_dot4c_i32_i8_e32 v84, v2, v13
	v_lshrrev_b32_e32 v2, 4, v88
	v_and_b32_e32 v2, 0xf0f0f0f, v2
	;; [unrolled: 3-line block ×5, first 2 shown]
	v_cvt_f32_f16_sdwa v3, v131 dst_sel:DWORD dst_unused:UNUSED_PAD src0_sel:WORD_1
	v_dot4c_i32_i8_e32 v84, v2, v9
	v_cvt_f32_ubyte2_e32 v139, v75
	v_cvt_f32_ubyte3_e32 v75, v75
	v_mul_f32_e32 v76, v76, v3
	v_mul_lo_u32 v2, v84, v142
	v_cvt_f32_i32_e32 v74, v2
	v_cvt_f32_f16_e32 v2, v131
	v_fma_mix_f32 v89, v4, v131, -v76 op_sel_hi:[0,1,0]
	v_mov_b32_e32 v76, v85
	v_pk_fma_f32 v[84:85], v[76:77], v[138:139], 0 op_sel_hi:[1,1,0]
	v_mov_b32_e32 v4, v87
	v_pk_fma_f32 v[74:75], v[4:5], v[74:75], v[84:85]
	v_pk_mul_f32 v[84:85], v[74:75], v[2:3]
	v_mov_b32_e32 v85, v84
	v_mov_b32_e32 v88, v78
	v_pk_fma_f32 v[2:3], v[74:75], v[2:3], v[84:85] neg_lo:[1,0,0] neg_hi:[1,0,0]
	v_pk_add_f32 v[68:69], v[68:69], v[88:89]
	v_mov_b32_e32 v2, v79
	v_pk_add_f32 v[68:69], v[68:69], v[2:3]
	s_waitcnt lgkmcnt(0)
	v_and_b32_e32 v2, 0xf0f0f0f, v134
	v_mov_b32_e32 v86, 0
	v_dot4c_i32_i8_e32 v86, v2, v18
	v_and_b32_e32 v2, 0xf0f0f0f, v135
	v_dot4c_i32_i8_e32 v86, v2, v19
	v_add_u32_e32 v2, 0x2128, v118
	ds_read2_b32 v[2:3], v2 offset1:1
	v_add_u32_e32 v74, 0x2130, v118
	v_add_u32_e32 v78, 0x2138, v118
	;; [unrolled: 1-line block ×3, first 2 shown]
	ds_read2_b32 v[74:75], v74 offset1:1
	ds_read2_b32 v[78:79], v78 offset1:1
	;; [unrolled: 1-line block ×3, first 2 shown]
	s_waitcnt lgkmcnt(3)
	v_and_b32_e32 v87, 0xf0f0f0f, v2
	v_dot4c_i32_i8_e32 v86, v87, v20
	v_and_b32_e32 v87, 0xf0f0f0f, v3
	v_dot4c_i32_i8_e32 v86, v87, v21
	s_waitcnt lgkmcnt(2)
	v_and_b32_e32 v87, 0xf0f0f0f, v74
	v_dot4c_i32_i8_e32 v86, v87, v14
	v_and_b32_e32 v87, 0xf0f0f0f, v75
	v_dot4c_i32_i8_e32 v86, v87, v15
	s_waitcnt lgkmcnt(1)
	v_and_b32_e32 v87, 0xf0f0f0f, v78
	v_dot4c_i32_i8_e32 v86, v87, v16
	v_and_b32_e32 v87, 0xf0f0f0f, v79
	v_lshrrev_b32_e32 v130, 24, v70
	v_dot4c_i32_i8_e32 v86, v87, v17
	v_bfe_u32 v70, v70, 16, 8
	v_mov_b32_e32 v88, 0
	v_lshrrev_b32_e32 v2, 4, v2
	v_mul_lo_u32 v70, v86, v70
	v_cvt_f32_i32_e32 v86, v70
	v_lshrrev_b32_e32 v70, 4, v134
	v_and_b32_e32 v70, 0xf0f0f0f, v70
	v_dot4c_i32_i8_e32 v88, v70, v10
	v_lshrrev_b32_e32 v70, 4, v135
	v_and_b32_e32 v70, 0xf0f0f0f, v70
	v_dot4c_i32_i8_e32 v88, v70, v11
	v_and_b32_e32 v2, 0xf0f0f0f, v2
	v_dot4c_i32_i8_e32 v88, v2, v12
	v_lshrrev_b32_e32 v2, 4, v3
	v_and_b32_e32 v2, 0xf0f0f0f, v2
	v_dot4c_i32_i8_e32 v88, v2, v13
	v_lshrrev_b32_e32 v2, 4, v74
	;; [unrolled: 3-line block ×5, first 2 shown]
	v_and_b32_e32 v2, 0xf0f0f0f, v2
	v_cvt_f32_f16_sdwa v3, v129 dst_sel:DWORD dst_unused:UNUSED_PAD src0_sel:WORD_1
	v_dot4c_i32_i8_e32 v88, v2, v9
	v_cvt_f32_ubyte2_e32 v87, v71
	v_cvt_f32_ubyte3_e32 v71, v71
	v_mul_f32_e32 v74, v82, v3
	v_mul_lo_u32 v2, v88, v130
	v_cvt_f32_i32_e32 v70, v2
	v_cvt_f32_f16_e32 v2, v129
	v_fma_mix_f32 v74, v80, v129, -v74 op_sel_hi:[0,1,0]
	v_add_f32_e32 v78, v91, v74
	v_pk_fma_f32 v[74:75], v[76:77], v[86:87], 0 op_sel_hi:[1,1,0]
	v_pk_fma_f32 v[70:71], v[4:5], v[70:71], v[74:75]
	v_pk_mul_f32 v[2:3], v[70:71], v[2:3]
	v_sub_f32_e32 v2, v2, v3
	v_add_f32_e32 v91, v78, v2
	s_waitcnt lgkmcnt(0)
	v_and_b32_e32 v2, 0xf0f0f0f, v84
	v_mov_b32_e32 v74, 0
	v_dot4c_i32_i8_e32 v74, v2, v18
	v_and_b32_e32 v2, 0xf0f0f0f, v85
	v_dot4c_i32_i8_e32 v74, v2, v19
	v_add_u32_e32 v2, 0x31a8, v118
	ds_read2_b32 v[2:3], v2 offset1:1
	v_add_u32_e32 v18, 0x31b0, v118
	v_add_u32_e32 v70, 0x31b8, v118
	ds_read2_b32 v[18:19], v18 offset1:1
	ds_read2_b32 v[70:71], v70 offset1:1
	v_lshrrev_b32_e32 v152, 24, v72
	s_waitcnt lgkmcnt(2)
	v_and_b32_e32 v75, 0xf0f0f0f, v2
	v_dot4c_i32_i8_e32 v74, v75, v20
	v_and_b32_e32 v20, 0xf0f0f0f, v3
	v_dot4c_i32_i8_e32 v74, v20, v21
	s_waitcnt lgkmcnt(1)
	v_and_b32_e32 v20, 0xf0f0f0f, v18
	v_dot4c_i32_i8_e32 v74, v20, v14
	v_and_b32_e32 v14, 0xf0f0f0f, v19
	v_dot4c_i32_i8_e32 v74, v14, v15
	s_waitcnt lgkmcnt(0)
	v_and_b32_e32 v14, 0xf0f0f0f, v70
	v_dot4c_i32_i8_e32 v74, v14, v16
	v_and_b32_e32 v14, 0xf0f0f0f, v71
	v_lshrrev_b32_e32 v16, 4, v84
	v_dot4c_i32_i8_e32 v74, v14, v17
	v_and_b32_e32 v16, 0xf0f0f0f, v16
	v_mov_b32_e32 v17, 0
	v_dot4c_i32_i8_e32 v17, v16, v10
	v_lshrrev_b32_e32 v10, 4, v85
	v_and_b32_e32 v10, 0xf0f0f0f, v10
	v_lshrrev_b32_e32 v2, 4, v2
	v_dot4c_i32_i8_e32 v17, v10, v11
	v_and_b32_e32 v2, 0xf0f0f0f, v2
	v_dot4c_i32_i8_e32 v17, v2, v12
	v_lshrrev_b32_e32 v2, 4, v3
	v_and_b32_e32 v2, 0xf0f0f0f, v2
	v_dot4c_i32_i8_e32 v17, v2, v13
	v_lshrrev_b32_e32 v2, 4, v18
	;; [unrolled: 3-line block ×5, first 2 shown]
	v_bfe_u32 v14, v72, 16, 8
	v_and_b32_e32 v2, 0xf0f0f0f, v2
	v_cvt_f32_f16_sdwa v3, v81 dst_sel:DWORD dst_unused:UNUSED_PAD src0_sel:WORD_1
	v_mul_lo_u32 v14, v74, v14
	v_dot4c_i32_i8_e32 v17, v2, v9
	v_cvt_f32_i32_e32 v14, v14
	v_mul_f32_e32 v8, v140, v3
	v_cvt_f32_ubyte2_e32 v15, v73
	v_mul_lo_u32 v2, v17, v152
	v_cvt_f32_i32_e32 v6, v2
	v_cvt_f32_f16_e32 v2, v81
	v_fma_mix_f32 v8, v128, v81, -v8 op_sel_hi:[0,1,0]
	v_cvt_f32_ubyte3_e32 v7, v73
	v_add_f32_e32 v10, v127, v8
	v_pk_fma_f32 v[8:9], v[76:77], v[14:15], 0 op_sel_hi:[1,1,0]
	v_pk_fma_f32 v[4:5], v[4:5], v[6:7], v[8:9]
	v_pk_mul_f32 v[2:3], v[4:5], v[2:3]
	v_sub_f32_e32 v2, v2, v3
	v_add_f32_e32 v127, v10, v2
	s_cmp_ge_i32 s12, s19
	s_barrier
	s_cbranch_scc1 .LBB211_5
; %bb.13:                               ;   in Loop: Header=BB211_6 Depth=1
	v_cmp_gt_i32_e32 vcc, s9, v120
	s_and_b64 s[20:21], s[2:3], vcc
	s_and_saveexec_b64 s[4:5], s[20:21]
	s_cbranch_execz .LBB211_15
; %bb.14:                               ;   in Loop: Header=BB211_6 Depth=1
	v_add_u32_e32 v2, v24, v120
	v_mad_i64_i32 v[2:3], s[20:21], v2, 36, v[22:23]
	global_load_dword v2, v[2:3], off offset:4
	s_waitcnt vmcnt(0)
	ds_write_b32 v112, v2
.LBB211_15:                             ;   in Loop: Header=BB211_6 Depth=1
	s_or_b64 exec, exec, s[4:5]
	s_and_saveexec_b64 s[4:5], s[0:1]
	s_cbranch_execz .LBB211_4
; %bb.16:                               ;   in Loop: Header=BB211_6 Depth=1
	v_add_u32_e32 v2, 4, v83
	v_cmp_gt_i32_e32 vcc, s9, v2
	s_and_b64 s[20:21], s[2:3], vcc
	s_and_b64 exec, exec, s[20:21]
	s_cbranch_execz .LBB211_4
; %bb.17:                               ;   in Loop: Header=BB211_6 Depth=1
	v_ashrrev_i32_e32 v2, 31, v83
	v_add_co_u32_e32 v3, vcc, v24, v83
	v_addc_co_u32_e32 v4, vcc, v1, v2, vcc
	v_mad_u64_u32 v[2:3], s[20:21], v3, 36, s[6:7]
	v_mad_i32_i24 v3, v4, 36, v3
	global_load_dword v2, v[2:3], off
	s_waitcnt vmcnt(0)
	ds_write_b32 v113, v2
	s_branch .LBB211_4
.LBB211_18:
	v_mov_b32_e32 v1, 0
	v_mov_b32_e32 v2, 0
	;; [unrolled: 1-line block ×3, first 2 shown]
	s_mul_i32 s0, s11, s8
	s_waitcnt vmcnt(0)
	v_cmp_gt_i32_e32 vcc, s0, v67
	s_and_saveexec_b64 s[0:1], vcc
	s_cbranch_execnz .LBB211_21
.LBB211_19:
	s_endpgm
.LBB211_20:
	v_cvt_f16_f32_e32 v5, v68
	v_cvt_f16_f32_e32 v2, v69
	;; [unrolled: 1-line block ×4, first 2 shown]
	s_mul_i32 s0, s11, s8
	v_cmp_gt_i32_e32 vcc, s0, v67
	s_and_saveexec_b64 s[0:1], vcc
	s_cbranch_execz .LBB211_19
.LBB211_21:
	v_and_b32_e32 v0, 0x3ff, v0
	v_add_u32_e32 v4, s24, v0
	v_mul_lo_u32 v0, v67, s10
	v_cmp_gt_u32_e32 vcc, s10, v4
	s_and_saveexec_b64 s[0:1], vcc
	s_cbranch_execz .LBB211_23
; %bb.22:
	v_add_u32_e32 v6, v0, v4
	v_mov_b32_e32 v7, 0
	v_lshlrev_b64 v[6:7], 1, v[6:7]
	v_mov_b32_e32 v8, s17
	v_add_co_u32_e32 v6, vcc, s16, v6
	v_addc_co_u32_e32 v7, vcc, v8, v7, vcc
	global_store_short v[6:7], v5, off
.LBB211_23:
	s_or_b64 exec, exec, s[0:1]
	v_add_u32_e32 v5, 32, v4
	v_cmp_gt_u32_e32 vcc, s10, v5
	s_and_saveexec_b64 s[0:1], vcc
	s_cbranch_execz .LBB211_25
; %bb.24:
	v_add_u32_e32 v6, v0, v5
	v_mov_b32_e32 v7, 0
	v_lshlrev_b64 v[6:7], 1, v[6:7]
	v_mov_b32_e32 v5, s17
	v_add_co_u32_e32 v6, vcc, s16, v6
	v_addc_co_u32_e32 v7, vcc, v5, v7, vcc
	global_store_short v[6:7], v2, off
.LBB211_25:
	s_or_b64 exec, exec, s[0:1]
	v_add_u32_e32 v2, 64, v4
	;; [unrolled: 14-line block ×3, first 2 shown]
	v_cmp_gt_u32_e32 vcc, s10, v1
	s_and_b64 exec, exec, vcc
	s_cbranch_execz .LBB211_19
; %bb.28:
	v_add_u32_e32 v0, v0, v1
	v_mov_b32_e32 v1, 0
	v_lshlrev_b64 v[0:1], 1, v[0:1]
	v_mov_b32_e32 v2, s17
	v_add_co_u32_e32 v0, vcc, s16, v0
	v_addc_co_u32_e32 v1, vcc, v2, v1, vcc
	global_store_short v[0:1], v3, off
	s_endpgm
	.section	.rodata,"a",@progbits
	.p2align	6, 0x0
	.amdhsa_kernel _ZL8moe_q4_KIN3c104HalfELb0EEvPKvS3_PT_PKiS7_S7_iiiiiii
		.amdhsa_group_segment_fixed_size 20688
		.amdhsa_private_segment_fixed_size 0
		.amdhsa_kernarg_size 76
		.amdhsa_user_sgpr_count 6
		.amdhsa_user_sgpr_private_segment_buffer 1
		.amdhsa_user_sgpr_dispatch_ptr 0
		.amdhsa_user_sgpr_queue_ptr 0
		.amdhsa_user_sgpr_kernarg_segment_ptr 1
		.amdhsa_user_sgpr_dispatch_id 0
		.amdhsa_user_sgpr_flat_scratch_init 0
		.amdhsa_user_sgpr_kernarg_preload_length 0
		.amdhsa_user_sgpr_kernarg_preload_offset 0
		.amdhsa_user_sgpr_private_segment_size 0
		.amdhsa_uses_dynamic_stack 0
		.amdhsa_system_sgpr_private_segment_wavefront_offset 0
		.amdhsa_system_sgpr_workgroup_id_x 1
		.amdhsa_system_sgpr_workgroup_id_y 1
		.amdhsa_system_sgpr_workgroup_id_z 0
		.amdhsa_system_sgpr_workgroup_info 0
		.amdhsa_system_vgpr_workitem_id 1
		.amdhsa_next_free_vgpr 154
		.amdhsa_next_free_sgpr 28
		.amdhsa_accum_offset 156
		.amdhsa_reserve_vcc 1
		.amdhsa_reserve_flat_scratch 0
		.amdhsa_float_round_mode_32 0
		.amdhsa_float_round_mode_16_64 0
		.amdhsa_float_denorm_mode_32 3
		.amdhsa_float_denorm_mode_16_64 3
		.amdhsa_dx10_clamp 1
		.amdhsa_ieee_mode 1
		.amdhsa_fp16_overflow 0
		.amdhsa_tg_split 0
		.amdhsa_exception_fp_ieee_invalid_op 0
		.amdhsa_exception_fp_denorm_src 0
		.amdhsa_exception_fp_ieee_div_zero 0
		.amdhsa_exception_fp_ieee_overflow 0
		.amdhsa_exception_fp_ieee_underflow 0
		.amdhsa_exception_fp_ieee_inexact 0
		.amdhsa_exception_int_div_zero 0
	.end_amdhsa_kernel
	.section	.text._ZL8moe_q4_KIN3c104HalfELb0EEvPKvS3_PT_PKiS7_S7_iiiiiii,"axG",@progbits,_ZL8moe_q4_KIN3c104HalfELb0EEvPKvS3_PT_PKiS7_S7_iiiiiii,comdat
.Lfunc_end211:
	.size	_ZL8moe_q4_KIN3c104HalfELb0EEvPKvS3_PT_PKiS7_S7_iiiiiii, .Lfunc_end211-_ZL8moe_q4_KIN3c104HalfELb0EEvPKvS3_PT_PKiS7_S7_iiiiiii
                                        ; -- End function
	.section	.AMDGPU.csdata,"",@progbits
; Kernel info:
; codeLenInByte = 10496
; NumSgprs: 32
; NumVgprs: 154
; NumAgprs: 0
; TotalNumVgprs: 154
; ScratchSize: 0
; MemoryBound: 0
; FloatMode: 240
; IeeeMode: 1
; LDSByteSize: 20688 bytes/workgroup (compile time only)
; SGPRBlocks: 3
; VGPRBlocks: 19
; NumSGPRsForWavesPerEU: 32
; NumVGPRsForWavesPerEU: 154
; AccumOffset: 156
; Occupancy: 3
; WaveLimiterHint : 1
; COMPUTE_PGM_RSRC2:SCRATCH_EN: 0
; COMPUTE_PGM_RSRC2:USER_SGPR: 6
; COMPUTE_PGM_RSRC2:TRAP_HANDLER: 0
; COMPUTE_PGM_RSRC2:TGID_X_EN: 1
; COMPUTE_PGM_RSRC2:TGID_Y_EN: 1
; COMPUTE_PGM_RSRC2:TGID_Z_EN: 0
; COMPUTE_PGM_RSRC2:TIDIG_COMP_CNT: 1
; COMPUTE_PGM_RSRC3_GFX90A:ACCUM_OFFSET: 38
; COMPUTE_PGM_RSRC3_GFX90A:TG_SPLIT: 0
	.section	.text._ZL8moe_q4_KIN3c104HalfELb1EEvPKvS3_PT_PKiS7_S7_iiiiiii,"axG",@progbits,_ZL8moe_q4_KIN3c104HalfELb1EEvPKvS3_PT_PKiS7_S7_iiiiiii,comdat
	.globl	_ZL8moe_q4_KIN3c104HalfELb1EEvPKvS3_PT_PKiS7_S7_iiiiiii ; -- Begin function _ZL8moe_q4_KIN3c104HalfELb1EEvPKvS3_PT_PKiS7_S7_iiiiiii
	.p2align	8
	.type	_ZL8moe_q4_KIN3c104HalfELb1EEvPKvS3_PT_PKiS7_S7_iiiiiii,@function
_ZL8moe_q4_KIN3c104HalfELb1EEvPKvS3_PT_PKiS7_S7_iiiiiii: ; @_ZL8moe_q4_KIN3c104HalfELb1EEvPKvS3_PT_PKiS7_S7_iiiiiii
; %bb.0:
	s_load_dwordx4 s[0:3], s[4:5], 0x18
	s_mov_b32 s8, s7
	s_mov_b32 s9, 0
	s_lshl_b64 s[10:11], s[8:9], 2
	s_waitcnt lgkmcnt(0)
	s_add_u32 s2, s2, s10
	s_addc_u32 s3, s3, s11
	s_load_dword s2, s[2:3], 0x0
	s_waitcnt lgkmcnt(0)
	s_cmpk_gt_u32 s2, 0xff
	s_cbranch_scc1 .LBB212_19
; %bb.1:
	s_load_dwordx2 s[10:11], s[4:5], 0x28
	s_lshl_b32 s3, s8, 3
	s_waitcnt lgkmcnt(0)
	s_load_dword s7, s[10:11], 0x0
	s_waitcnt lgkmcnt(0)
	s_cmp_gt_u32 s3, s7
	s_cbranch_scc1 .LBB212_19
; %bb.2:
	v_bfe_u32 v1, v0, 10, 10
	v_add_u32_e32 v2, s3, v1
	v_mov_b32_e32 v3, 0
	v_lshlrev_b64 v[4:5], 2, v[2:3]
	v_mov_b32_e32 v2, s1
	v_add_co_u32_e32 v4, vcc, s0, v4
	v_addc_co_u32_e32 v5, vcc, v2, v5, vcc
	global_load_dword v65, v[4:5], off
	s_load_dwordx8 s[8:15], s[4:5], 0x30
	s_load_dwordx2 s[20:21], s[4:5], 0x10
	s_waitcnt lgkmcnt(0)
	s_lshl_b32 s15, s6, 7
	s_mov_b32 s22, 0
	s_cmpk_lt_i32 s9, 0x100
	s_cbranch_scc1 .LBB212_18
; %bb.3:
	s_ashr_i32 s0, s9, 31
	s_lshr_b32 s0, s0, 24
	s_add_i32 s0, s9, s0
	s_ashr_i32 s26, s0, 8
	s_ashr_i32 s0, s12, 31
	s_lshr_b32 s0, s0, 27
	s_add_i32 s0, s12, s0
	s_ashr_i32 s12, s0, 5
	s_not_b32 s0, s15
	s_mul_i32 s8, s2, s8
	s_add_i32 s2, s0, s10
	v_and_b32_e32 v67, 0x3ff, v0
	v_lshlrev_b32_e32 v2, 2, v67
	v_min_i32_e32 v3, s2, v1
	s_movk_i32 s3, 0x84
	v_mul_lo_u32 v5, v3, s26
	v_mad_u64_u32 v[22:23], s[0:1], v3, s3, v[2:3]
	v_add_u32_e32 v3, 8, v1
	v_min_i32_e32 v3, s2, v3
	v_mul_lo_u32 v7, v3, s26
	v_mad_u64_u32 v[24:25], s[0:1], v3, s3, v[2:3]
	v_add_u32_e32 v3, 16, v1
	v_min_i32_e32 v3, s2, v3
	;; [unrolled: 4-line block ×15, first 2 shown]
	v_mul_lo_u32 v21, v3, s26
	v_mad_u64_u32 v[52:53], s[0:1], v3, s3, v[2:3]
	v_lshlrev_b32_e32 v3, 5, v1
	v_add_u32_e32 v23, v3, v67
	v_and_b32_e32 v25, 0x7f, v23
	v_min_i32_e32 v25, s2, v25
	v_ashrrev_i32_e32 v27, 31, v25
	v_lshrrev_b32_e32 v27, 27, v27
	v_add_u32_e32 v27, v25, v27
	v_ashrrev_i32_e32 v27, 5, v27
	v_mul_lo_u32 v57, v25, s26
	v_lshlrev_b32_e32 v27, 2, v27
	v_lshlrev_b32_e32 v25, 2, v25
	s_movk_i32 s3, 0x4e40
	v_add3_u32 v71, v27, v25, s3
	v_and_b32_e32 v27, 3, v67
	v_add_u32_e32 v29, 0xfe, v27
	v_cmp_gt_u32_e32 vcc, 2, v27
	v_lshrrev_b32_e32 v25, 2, v67
	v_cndmask_b32_e32 v29, v29, v27, vcc
	v_lshl_add_u32 v25, v1, 3, v25
	v_and_b32_e32 v29, 0xff, v29
	v_cmp_ne_u32_e32 vcc, 0, v27
	v_addc_co_u32_e32 v59, vcc, 0, v29, vcc
	v_and_b32_e32 v25, 0x7f, v25
	v_and_b32_e32 v31, 4, v2
	v_cmp_lt_u32_e32 vcc, 1, v27
	v_lshlrev_b32_e32 v75, 1, v29
	v_min_i32_e32 v29, s2, v25
	v_cndmask_b32_e32 v73, 0, v31, vcc
	v_ashrrev_i32_e32 v31, 31, v29
	v_xor_b32_e32 v25, 64, v25
	v_lshrrev_b32_e32 v31, 29, v31
	v_min_i32_e32 v25, s2, v25
	s_load_dwordx4 s[16:19], s[4:5], 0x0
	v_mul_lo_u32 v61, v29, s26
	v_add_u32_e32 v31, v29, v31
	v_lshlrev_b32_e32 v103, 4, v29
	v_ashrrev_i32_e32 v29, 31, v25
	v_lshrrev_b32_e32 v29, 29, v29
	v_add_u32_e32 v29, v25, v29
	v_ashrrev_i32_e32 v31, 3, v31
	v_ashrrev_i32_e32 v29, 3, v29
	v_lshlrev_b32_e32 v31, 2, v31
	v_lshlrev_b32_e32 v27, 2, v27
	s_movk_i32 s0, 0x4200
	v_mul_lo_u32 v63, v25, s26
	v_lshlrev_b32_e32 v29, 2, v29
	v_lshlrev_b32_e32 v105, 4, v25
	v_and_b32_e32 v25, 28, v2
	v_add3_u32 v102, v31, v27, s0
	v_add3_u32 v104, v29, v27, s0
	v_and_or_b32 v3, v67, 31, v3
	s_waitcnt lgkmcnt(0)
	v_add_co_u32_e64 v54, s[0:1], s18, v25
	v_mov_b32_e32 v25, 0x4a40
	s_movk_i32 s2, 0xffe4
	v_lshl_add_u32 v77, v3, 2, v25
	v_mad_i32_i24 v3, v1, s2, v23
	v_mov_b32_e32 v23, 0x5050
	v_lshrrev_b32_e32 v81, 3, v67
	v_lshrrev_b32_e32 v4, 5, v67
	v_lshl_add_u32 v79, v3, 2, v23
	v_lshl_add_u32 v83, v1, 7, v25
	v_lshlrev_b32_e32 v85, 4, v1
	v_add_u32_e32 v1, v81, v2
	v_mov_b32_e32 v3, 0x4200
	v_lshl_add_u32 v87, v1, 2, v3
	v_lshlrev_b32_e32 v1, 2, v4
	v_add3_u32 v93, v1, v2, s3
	v_add_u32_e32 v1, 32, v67
	v_lshrrev_b32_e32 v95, 3, v1
	v_lshl_add_u32 v1, v1, 2, v95
	v_lshl_add_u32 v97, v1, 2, v3
	v_and_b32_e32 v1, 60, v95
	v_add3_u32 v99, v2, v1, s3
	v_add_u32_e32 v1, 64, v67
	v_lshrrev_b32_e32 v23, 3, v1
	v_lshl_add_u32 v1, v1, 2, v23
	s_abs_i32 s4, s14
	v_lshl_add_u32 v115, v1, 2, v3
	v_and_b32_e32 v1, 60, v23
	v_cvt_f32_u32_e32 v25, s4
	v_add3_u32 v122, v2, v1, s3
	v_add_u32_e32 v1, 0x60, v67
	v_lshrrev_b32_e32 v23, 3, v1
	v_lshl_add_u32 v1, v1, 2, v23
	v_lshl_add_u32 v123, v1, 2, v3
	v_rcp_iflag_f32_e32 v3, v25
	v_and_b32_e32 v1, 60, v23
	v_and_b32_e32 v6, 0x7c, v2
	v_add3_u32 v124, v2, v1, s3
	v_mul_f32_e32 v2, 0x4f7ffffe, v3
	v_cvt_u32_f32_e32 v2, v2
	s_sub_i32 s2, 0, s4
	s_waitcnt vmcnt(0)
	v_sub_u32_e32 v3, 0, v65
	v_max_i32_e32 v3, v65, v3
	v_mul_lo_u32 v23, s2, v2
	v_mul_hi_u32 v23, v2, v23
	v_add_u32_e32 v2, v2, v23
	v_mul_hi_u32 v2, v3, v2
	v_mul_lo_u32 v23, v2, s4
	v_sub_u32_e32 v3, v3, v23
	v_add_u32_e32 v23, 1, v2
	v_cmp_le_u32_e64 s[2:3], s4, v3
	v_cndmask_b32_e64 v2, v2, v23, s[2:3]
	v_subrev_u32_e32 v23, s4, v3
	v_cndmask_b32_e64 v3, v3, v23, s[2:3]
	v_xor_b32_e32 v1, s14, v65
	v_add_u32_e32 v23, 1, v2
	v_cmp_le_u32_e64 s[2:3], s4, v3
	s_mul_i32 s23, s26, s15
	v_ashrrev_i32_e32 v1, 31, v1
	v_cndmask_b32_e64 v2, v2, v23, s[2:3]
	v_xor_b32_e32 v2, v2, v1
	s_mul_hi_i32 s25, s23, 0x90
	s_mul_i32 s24, s23, 0x90
	v_sub_u32_e32 v1, v2, v1
	s_movk_i32 s10, 0x90
	v_pk_mov_b32 v[2:3], s[24:25], s[24:25] op_sel:[0,1]
	v_mad_u64_u32 v[2:3], s[4:5], v4, s10, v[2:3]
	v_mad_i64_i32 v[4:5], s[4:5], v5, s10, v[2:3]
	v_add_co_u32_e64 v4, s[4:5], v4, v6
	v_addc_co_u32_e64 v5, s[4:5], 0, v5, s[4:5]
	v_mov_b32_e32 v98, s17
	v_add_co_u32_e64 v4, s[4:5], s16, v4
	v_addc_co_u32_e64 v5, s[4:5], v5, v98, s[4:5]
	v_add_co_u32_e64 v58, s[4:5], 16, v4
	v_addc_co_u32_e64 v23, s[4:5], 0, v5, s[4:5]
	v_mad_i64_i32 v[4:5], s[4:5], v7, s10, v[2:3]
	v_add_co_u32_e64 v4, s[4:5], v4, v6
	v_addc_co_u32_e64 v5, s[4:5], 0, v5, s[4:5]
	v_add_co_u32_e64 v4, s[4:5], s16, v4
	v_addc_co_u32_e64 v5, s[4:5], v5, v98, s[4:5]
	;; [unrolled: 2-line block ×3, first 2 shown]
	v_mad_i64_i32 v[4:5], s[4:5], v8, s10, v[2:3]
	v_add_co_u32_e64 v4, s[4:5], v4, v6
	v_addc_co_u32_e64 v5, s[4:5], 0, v5, s[4:5]
	v_add_co_u32_e64 v4, s[4:5], s16, v4
	v_addc_co_u32_e64 v5, s[4:5], v5, v98, s[4:5]
	v_mov_b32_e32 v27, s19
	v_add_co_u32_e64 v62, s[4:5], 16, v4
	v_addc_co_u32_e64 v55, s[0:1], 0, v27, s[0:1]
	v_addc_co_u32_e64 v27, s[4:5], 0, v5, s[4:5]
	v_mad_i64_i32 v[4:5], s[4:5], v9, s10, v[2:3]
	v_add_co_u32_e64 v4, s[4:5], v4, v6
	v_addc_co_u32_e64 v5, s[4:5], 0, v5, s[4:5]
	v_add_co_u32_e64 v4, s[4:5], s16, v4
	v_addc_co_u32_e64 v5, s[4:5], v5, v98, s[4:5]
	v_add_co_u32_e64 v64, s[4:5], 16, v4
	v_addc_co_u32_e64 v29, s[4:5], 0, v5, s[4:5]
	v_mad_i64_i32 v[4:5], s[4:5], v10, s10, v[2:3]
	v_add_co_u32_e64 v4, s[4:5], v4, v6
	v_addc_co_u32_e64 v5, s[4:5], 0, v5, s[4:5]
	v_add_co_u32_e64 v4, s[4:5], s16, v4
	v_addc_co_u32_e64 v5, s[4:5], v5, v98, s[4:5]
	v_add_co_u32_e64 v66, s[4:5], 16, v4
	;; [unrolled: 7-line block ×12, first 2 shown]
	v_addc_co_u32_e64 v51, s[4:5], 0, v5, s[4:5]
	v_mad_i64_i32 v[2:3], s[4:5], v21, s10, v[2:3]
	v_add_co_u32_e64 v2, s[4:5], v2, v6
	v_addc_co_u32_e64 v3, s[4:5], 0, v3, s[4:5]
	v_add_co_u32_e64 v2, s[4:5], s16, v2
	s_ashr_i32 s27, s8, 31
	v_addc_co_u32_e64 v3, s[4:5], v3, v98, s[4:5]
	s_add_u32 s6, s18, 0x90
	v_add_co_u32_e64 v88, s[4:5], 16, v2
	s_addc_u32 s7, s19, 0
	v_addc_co_u32_e64 v53, s[4:5], 0, v3, s[4:5]
	s_add_u32 s4, s16, s24
	s_addc_u32 s5, s17, s25
	v_pk_mov_b32 v[2:3], s[4:5], s[4:5] op_sel:[0,1]
	v_mad_i64_i32 v[90:91], s[4:5], v57, s10, v[2:3]
	v_mad_i64_i32 v[2:3], s[4:5], v61, s10, 0
	v_mov_b32_e32 v4, 0x90
	v_mad_i64_i32 v[2:3], s[4:5], s23, v4, v[2:3]
	v_lshlrev_b32_e32 v5, 2, v59
	v_add_co_u32_e64 v6, s[4:5], v2, v5
	v_addc_co_u32_e64 v7, s[4:5], 0, v3, s[4:5]
	v_add_co_u32_e64 v6, s[4:5], s16, v6
	v_addc_co_u32_e64 v7, s[4:5], v7, v98, s[4:5]
	v_add_co_u32_e64 v92, s[4:5], 4, v6
	v_cndmask_b32_e64 v6, 0, 1, vcc
	v_lshlrev_b32_e32 v6, 2, v6
	v_or_b32_e32 v2, v2, v6
	v_add_co_u32_e32 v2, vcc, s16, v2
	v_addc_co_u32_e32 v3, vcc, v3, v98, vcc
	v_add_co_u32_e32 v94, vcc, 4, v2
	v_addc_co_u32_e64 v57, s[4:5], 0, v7, s[4:5]
	v_addc_co_u32_e32 v59, vcc, 0, v3, vcc
	v_mad_i64_i32 v[2:3], s[4:5], v63, s10, 0
	v_mad_i64_i32 v[2:3], s[4:5], s23, v4, v[2:3]
	v_add_co_u32_e32 v4, vcc, v2, v5
	v_addc_co_u32_e32 v5, vcc, 0, v3, vcc
	v_add_co_u32_e32 v4, vcc, s16, v4
	v_addc_co_u32_e32 v5, vcc, v5, v98, vcc
	;; [unrolled: 2-line block ×3, first 2 shown]
	v_or_b32_e32 v2, v2, v6
	v_add_co_u32_e32 v2, vcc, s16, v2
	v_addc_co_u32_e32 v3, vcc, v3, v98, vcc
	v_mul_lo_u32 v56, v1, s12
	v_add_co_u32_e32 v98, vcc, 4, v2
	s_mov_b32 s23, s22
	v_mov_b32_e32 v69, 0
	v_cmp_gt_u32_e64 s[0:1], 4, v67
	v_mul_u32_u24_e32 v89, 0x84, v67
	v_cmp_gt_i32_e64 s[2:3], s11, v1
	v_ashrrev_i32_e32 v1, 31, v56
	v_addc_co_u32_e32 v63, vcc, 0, v3, vcc
	s_movk_i32 s10, 0x80
	v_pk_mov_b32 v[100:101], s[22:23], s[22:23] op_sel:[0,1]
	s_mov_b32 s16, 0x30303030
	v_add_u32_e32 v125, v102, v103
	v_add_u32_e32 v126, v104, v105
	v_mov_b32_e32 v127, 0
	s_branch .LBB212_6
.LBB212_4:                              ;   in Loop: Header=BB212_6 Depth=1
	s_or_b64 exec, exec, s[4:5]
	s_waitcnt lgkmcnt(0)
	s_barrier
	ds_read_b128 v[2:5], v85 offset:20560
	ds_read2_b32 v[102:103], v89 offset0:16 offset1:17
	ds_read_b128 v[18:21], v83
	ds_read_b128 v[14:17], v83 offset:16
	ds_read_b128 v[10:13], v83 offset:32
	;; [unrolled: 1-line block ×3, first 2 shown]
	ds_read_b32 v114, v93
	s_waitcnt lgkmcnt(5)
	v_and_b32_e32 v104, 0xf0f0f0f, v102
	v_mov_b32_e32 v128, 0
	s_waitcnt lgkmcnt(4)
	v_dot4c_i32_i8_e32 v128, v104, v18
	ds_read2_b32 v[104:105], v89 offset0:18 offset1:19
	v_lshrrev_b32_e32 v102, 4, v102
	v_and_b32_e32 v102, 0xf0f0f0f, v102
	v_mov_b32_e32 v141, 0
	s_waitcnt lgkmcnt(3)
	v_dot4c_i32_i8_e32 v141, v102, v10
	v_lshrrev_b32_e32 v102, 4, v103
	v_and_b32_e32 v102, 0xf0f0f0f, v102
	v_and_b32_e32 v106, 0xf0f0f0f, v103
	v_dot4c_i32_i8_e32 v141, v102, v11
	s_waitcnt lgkmcnt(0)
	v_lshrrev_b32_e32 v102, 4, v104
	v_dot4c_i32_i8_e32 v128, v106, v19
	ds_read2_b32 v[106:107], v89 offset0:20 offset1:21
	ds_read2_b32 v[112:113], v89 offset0:22 offset1:23
	;; [unrolled: 1-line block ×3, first 2 shown]
	v_and_b32_e32 v102, 0xf0f0f0f, v102
	v_dot4c_i32_i8_e32 v141, v102, v12
	v_lshrrev_b32_e32 v102, 4, v105
	v_and_b32_e32 v102, 0xf0f0f0f, v102
	v_dot4c_i32_i8_e32 v141, v102, v13
	s_waitcnt lgkmcnt(2)
	v_lshrrev_b32_e32 v102, 4, v106
	v_and_b32_e32 v102, 0xf0f0f0f, v102
	v_dot4c_i32_i8_e32 v141, v102, v6
	v_lshrrev_b32_e32 v102, 4, v107
	v_and_b32_e32 v110, 0xf0f0f0f, v104
	v_and_b32_e32 v102, 0xf0f0f0f, v102
	v_dot4c_i32_i8_e32 v128, v110, v20
	v_and_b32_e32 v110, 0xf0f0f0f, v105
	v_dot4c_i32_i8_e32 v141, v102, v7
	s_waitcnt lgkmcnt(1)
	v_lshrrev_b32_e32 v102, 4, v112
	v_dot4c_i32_i8_e32 v128, v110, v21
	v_and_b32_e32 v110, 0xf0f0f0f, v106
	v_and_b32_e32 v102, 0xf0f0f0f, v102
	v_dot4c_i32_i8_e32 v128, v110, v14
	v_and_b32_e32 v110, 0xf0f0f0f, v107
	v_dot4c_i32_i8_e32 v141, v102, v8
	v_lshrrev_b32_e32 v102, 4, v113
	v_dot4c_i32_i8_e32 v128, v110, v15
	v_and_b32_e32 v116, 0xf0f0f0f, v112
	v_and_b32_e32 v102, 0xf0f0f0f, v102
	v_dot4c_i32_i8_e32 v128, v116, v16
	v_and_b32_e32 v116, 0xf0f0f0f, v113
	v_dot4c_i32_i8_e32 v141, v102, v9
	v_add_u32_e32 v102, 0x10c0, v89
	ds_read2_b32 v[110:111], v87 offset0:1 offset1:3
	v_dot4c_i32_i8_e32 v128, v116, v17
	ds_read2_b32 v[116:117], v89 offset0:26 offset1:27
	ds_read2_b32 v[118:119], v89 offset0:28 offset1:29
	;; [unrolled: 1-line block ×3, first 2 shown]
	ds_read2_b32 v[102:103], v102 offset1:1
	v_mov_b32_e32 v130, 0
	ds_read_b32 v131, v99 offset:128
	ds_read_b32 v129, v122 offset:256
	;; [unrolled: 1-line block ×3, first 2 shown]
	v_add_u32_e32 v106, 0x10d0, v89
	v_add_u32_e32 v136, 0x2140, v89
	s_waitcnt lgkmcnt(3)
	v_and_b32_e32 v104, 0xf0f0f0f, v102
	v_dot4c_i32_i8_e32 v130, v104, v18
	v_and_b32_e32 v104, 0xf0f0f0f, v103
	v_dot4c_i32_i8_e32 v130, v104, v19
	v_add_u32_e32 v104, 0x10c8, v89
	ds_read2_b32 v[104:105], v104 offset1:1
	v_add_u32_e32 v107, 0x10d8, v89
	ds_read2_b32 v[132:133], v106 offset1:1
	ds_read2_b32 v[134:135], v107 offset1:1
	;; [unrolled: 1-line block ×3, first 2 shown]
	v_lshrrev_b32_e32 v102, 4, v102
	v_and_b32_e32 v102, 0xf0f0f0f, v102
	s_waitcnt lgkmcnt(3)
	v_and_b32_e32 v106, 0xf0f0f0f, v104
	v_dot4c_i32_i8_e32 v130, v106, v20
	v_and_b32_e32 v106, 0xf0f0f0f, v105
	v_dot4c_i32_i8_e32 v130, v106, v21
	s_waitcnt lgkmcnt(2)
	v_and_b32_e32 v106, 0xf0f0f0f, v132
	v_dot4c_i32_i8_e32 v130, v106, v14
	v_and_b32_e32 v106, 0xf0f0f0f, v133
	v_dot4c_i32_i8_e32 v130, v106, v15
	ds_read2_b32 v[106:107], v97 offset0:1 offset1:3
	s_waitcnt lgkmcnt(2)
	v_and_b32_e32 v138, 0xf0f0f0f, v134
	v_dot4c_i32_i8_e32 v130, v138, v16
	v_and_b32_e32 v138, 0xf0f0f0f, v135
	v_dot4c_i32_i8_e32 v130, v138, v17
	s_waitcnt lgkmcnt(0)
	v_and_b32_e32 v138, 0xff, v106
	v_mov_b32_e32 v147, 0
	v_mov_b32_e32 v149, 0
	v_mul_lo_u32 v130, v130, v138
	v_cvt_f32_i32_e32 v143, v130
	v_mov_b32_e32 v130, 0
	v_dot4c_i32_i8_e32 v130, v102, v10
	v_lshrrev_b32_e32 v102, 4, v103
	v_and_b32_e32 v102, 0xf0f0f0f, v102
	v_dot4c_i32_i8_e32 v130, v102, v11
	v_lshrrev_b32_e32 v102, 4, v104
	v_and_b32_e32 v102, 0xf0f0f0f, v102
	v_dot4c_i32_i8_e32 v130, v102, v12
	v_lshrrev_b32_e32 v102, 4, v105
	v_and_b32_e32 v102, 0xf0f0f0f, v102
	v_dot4c_i32_i8_e32 v130, v102, v13
	v_lshrrev_b32_e32 v102, 4, v132
	v_and_b32_e32 v102, 0xf0f0f0f, v102
	v_dot4c_i32_i8_e32 v130, v102, v6
	v_lshrrev_b32_e32 v102, 4, v133
	v_and_b32_e32 v102, 0xf0f0f0f, v102
	v_dot4c_i32_i8_e32 v130, v102, v7
	v_lshrrev_b32_e32 v102, 4, v134
	v_and_b32_e32 v102, 0xf0f0f0f, v102
	v_dot4c_i32_i8_e32 v130, v102, v8
	v_lshrrev_b32_e32 v102, 4, v135
	v_and_b32_e32 v102, 0xf0f0f0f, v102
	v_dot4c_i32_i8_e32 v130, v102, v9
	v_bfe_u32 v102, v106, 8, 8
	v_add_u32_e32 v103, 0x2150, v89
	v_mov_b32_e32 v151, 0
	v_mul_lo_u32 v102, v130, v102
	v_cvt_f32_i32_e32 v145, v102
	v_and_b32_e32 v102, 0xf0f0f0f, v136
	v_dot4c_i32_i8_e32 v147, v102, v18
	v_and_b32_e32 v102, 0xf0f0f0f, v137
	v_dot4c_i32_i8_e32 v147, v102, v19
	v_add_u32_e32 v102, 0x2148, v89
	ds_read2_b32 v[104:105], v102 offset1:1
	v_lshrrev_b32_e32 v136, 4, v136
	v_and_b32_e32 v136, 0xf0f0f0f, v136
	v_add_u32_e32 v102, 0x31c0, v89
	v_dot4c_i32_i8_e32 v149, v136, v10
	v_lshrrev_b32_e32 v136, 4, v137
	v_add_u32_e32 v130, 0x2158, v89
	ds_read2_b32 v[132:133], v103 offset1:1
	ds_read2_b32 v[134:135], v130 offset1:1
	;; [unrolled: 1-line block ×3, first 2 shown]
	s_waitcnt lgkmcnt(3)
	v_and_b32_e32 v102, 0xf0f0f0f, v104
	v_and_b32_e32 v136, 0xf0f0f0f, v136
	v_lshrrev_b32_e32 v104, 4, v104
	v_dot4c_i32_i8_e32 v149, v136, v11
	v_and_b32_e32 v104, 0xf0f0f0f, v104
	v_dot4c_i32_i8_e32 v149, v104, v12
	v_lshrrev_b32_e32 v104, 4, v105
	v_and_b32_e32 v104, 0xf0f0f0f, v104
	v_dot4c_i32_i8_e32 v147, v102, v20
	v_and_b32_e32 v102, 0xf0f0f0f, v105
	v_dot4c_i32_i8_e32 v149, v104, v13
	s_waitcnt lgkmcnt(2)
	v_lshrrev_b32_e32 v104, 4, v132
	v_dot4c_i32_i8_e32 v147, v102, v21
	v_and_b32_e32 v102, 0xf0f0f0f, v132
	v_and_b32_e32 v104, 0xf0f0f0f, v104
	v_dot4c_i32_i8_e32 v147, v102, v14
	v_and_b32_e32 v102, 0xf0f0f0f, v133
	v_dot4c_i32_i8_e32 v149, v104, v6
	v_lshrrev_b32_e32 v104, 4, v133
	v_dot4c_i32_i8_e32 v147, v102, v15
	ds_read2_b32 v[102:103], v115 offset0:1 offset1:3
	v_and_b32_e32 v104, 0xf0f0f0f, v104
	v_dot4c_i32_i8_e32 v149, v104, v7
	s_waitcnt lgkmcnt(2)
	v_lshrrev_b32_e32 v104, 4, v134
	v_and_b32_e32 v104, 0xf0f0f0f, v104
	v_dot4c_i32_i8_e32 v149, v104, v8
	v_lshrrev_b32_e32 v104, 4, v135
	v_and_b32_e32 v104, 0xf0f0f0f, v104
	v_dot4c_i32_i8_e32 v149, v104, v9
	s_waitcnt lgkmcnt(0)
	v_bfe_u32 v104, v102, 8, 8
	v_and_b32_e32 v130, 0xf0f0f0f, v134
	v_add_u32_e32 v136, 0x10e0, v89
	v_mul_lo_u32 v104, v149, v104
	v_cvt_f32_i32_e32 v149, v104
	v_and_b32_e32 v104, 0xf0f0f0f, v138
	v_dot4c_i32_i8_e32 v151, v104, v18
	v_and_b32_e32 v18, 0xf0f0f0f, v139
	v_dot4c_i32_i8_e32 v151, v18, v19
	v_add_u32_e32 v18, 0x31c8, v89
	ds_read2_b32 v[18:19], v18 offset1:1
	v_add_u32_e32 v104, 0x31d0, v89
	v_dot4c_i32_i8_e32 v147, v130, v16
	v_and_b32_e32 v130, 0xf0f0f0f, v135
	v_add_u32_e32 v105, 0x31d8, v89
	ds_read2_b32 v[132:133], v104 offset1:1
	ds_read2_b32 v[134:135], v105 offset1:1
	;; [unrolled: 1-line block ×3, first 2 shown]
	s_waitcnt lgkmcnt(3)
	v_and_b32_e32 v104, 0xf0f0f0f, v18
	v_dot4c_i32_i8_e32 v151, v104, v20
	v_and_b32_e32 v20, 0xf0f0f0f, v19
	ds_read2_b32 v[104:105], v123 offset0:1 offset1:3
	v_dot4c_i32_i8_e32 v151, v20, v21
	s_waitcnt lgkmcnt(3)
	v_and_b32_e32 v20, 0xf0f0f0f, v132
	v_dot4c_i32_i8_e32 v151, v20, v14
	v_and_b32_e32 v14, 0xf0f0f0f, v133
	v_dot4c_i32_i8_e32 v151, v14, v15
	s_waitcnt lgkmcnt(2)
	v_and_b32_e32 v14, 0xf0f0f0f, v134
	v_dot4c_i32_i8_e32 v151, v14, v16
	v_and_b32_e32 v14, 0xf0f0f0f, v135
	v_dot4c_i32_i8_e32 v151, v14, v17
	s_waitcnt lgkmcnt(0)
	v_and_b32_e32 v14, 0xff, v104
	v_mov_b32_e32 v15, 0
	v_dot4c_i32_i8_e32 v147, v130, v17
	v_mul_lo_u32 v14, v151, v14
	v_cvt_f32_i32_e32 v151, v14
	v_lshrrev_b32_e32 v14, 4, v138
	v_and_b32_e32 v14, 0xf0f0f0f, v14
	v_dot4c_i32_i8_e32 v15, v14, v10
	v_lshrrev_b32_e32 v10, 4, v139
	v_and_b32_e32 v10, 0xf0f0f0f, v10
	v_dot4c_i32_i8_e32 v15, v10, v11
	v_lshrrev_b32_e32 v10, 4, v18
	v_and_b32_e32 v10, 0xf0f0f0f, v10
	v_dot4c_i32_i8_e32 v15, v10, v12
	v_lshrrev_b32_e32 v10, 4, v19
	v_and_b32_e32 v10, 0xf0f0f0f, v10
	v_dot4c_i32_i8_e32 v15, v10, v13
	v_lshrrev_b32_e32 v10, 4, v132
	v_and_b32_e32 v10, 0xf0f0f0f, v10
	v_dot4c_i32_i8_e32 v15, v10, v6
	v_lshrrev_b32_e32 v6, 4, v133
	v_and_b32_e32 v6, 0xf0f0f0f, v6
	v_dot4c_i32_i8_e32 v15, v6, v7
	v_lshrrev_b32_e32 v6, 4, v134
	v_and_b32_e32 v6, 0xf0f0f0f, v6
	v_dot4c_i32_i8_e32 v15, v6, v8
	v_lshrrev_b32_e32 v6, 4, v135
	v_and_b32_e32 v6, 0xf0f0f0f, v6
	v_dot4c_i32_i8_e32 v15, v6, v9
	v_bfe_u32 v6, v104, 8, 8
	v_and_b32_e32 v132, 0xf0f0f0f, v108
	v_mov_b32_e32 v133, 0
	v_mul_lo_u32 v6, v15, v6
	v_cvt_f32_i32_e32 v138, v6
	ds_read_b128 v[18:21], v83 offset:64
	ds_read_b128 v[14:17], v83 offset:80
	;; [unrolled: 1-line block ×4, first 2 shown]
	v_lshrrev_b32_e32 v108, 4, v108
	s_waitcnt lgkmcnt(3)
	v_dot4c_i32_i8_e32 v133, v132, v18
	v_and_b32_e32 v132, 0xf0f0f0f, v109
	v_dot4c_i32_i8_e32 v133, v132, v19
	v_and_b32_e32 v132, 0xf0f0f0f, v116
	;; [unrolled: 2-line block ×4, first 2 shown]
	s_waitcnt lgkmcnt(2)
	v_dot4c_i32_i8_e32 v133, v132, v14
	v_and_b32_e32 v132, 0xf0f0f0f, v119
	v_dot4c_i32_i8_e32 v133, v132, v15
	v_and_b32_e32 v132, 0xf0f0f0f, v120
	;; [unrolled: 2-line block ×4, first 2 shown]
	v_mov_b32_e32 v132, 0
	s_waitcnt lgkmcnt(1)
	v_dot4c_i32_i8_e32 v132, v108, v10
	v_lshrrev_b32_e32 v108, 4, v109
	v_and_b32_e32 v108, 0xf0f0f0f, v108
	v_dot4c_i32_i8_e32 v132, v108, v11
	v_lshrrev_b32_e32 v108, 4, v116
	v_and_b32_e32 v108, 0xf0f0f0f, v108
	;; [unrolled: 3-line block ×4, first 2 shown]
	s_waitcnt lgkmcnt(0)
	v_dot4c_i32_i8_e32 v132, v108, v6
	v_lshrrev_b32_e32 v108, 4, v119
	v_and_b32_e32 v108, 0xf0f0f0f, v108
	v_dot4c_i32_i8_e32 v132, v108, v7
	v_lshrrev_b32_e32 v108, 4, v120
	v_cvt_f32_f16_e32 v117, v4
	v_cvt_f32_f16_sdwa v109, v4 dst_sel:DWORD dst_unused:UNUSED_PAD src0_sel:WORD_1
	v_and_b32_e32 v4, 0xff, v110
	v_bfe_u32 v118, v110, 16, 8
	v_and_b32_e32 v108, 0xf0f0f0f, v108
	v_mul_lo_u32 v4, v128, v4
	v_mul_lo_u32 v118, v133, v118
	v_dot4c_i32_i8_e32 v132, v108, v8
	v_lshrrev_b32_e32 v108, 4, v121
	v_cvt_f32_f16_e32 v116, v2
	v_cvt_f32_i32_e32 v121, v118
	v_cvt_f32_i32_e32 v120, v4
	v_and_b32_e32 v108, 0xf0f0f0f, v108
	v_lshrrev_b32_e32 v140, 24, v110
	v_dot4c_i32_i8_e32 v132, v108, v9
	v_bfe_u32 v110, v110, 8, 8
	v_pk_fma_f32 v[120:121], v[116:117], v[120:121], 0 op_sel_hi:[1,1,0]
	v_mul_lo_u32 v110, v141, v110
	v_mul_lo_u32 v116, v132, v140
	v_cvt_f32_f16_sdwa v108, v2 dst_sel:DWORD dst_unused:UNUSED_PAD src0_sel:WORD_1
	v_cvt_f32_f16_e32 v119, v5
	v_cvt_f32_f16_e32 v118, v3
	v_cvt_f32_i32_e32 v133, v116
	v_cvt_f32_i32_e32 v132, v110
	v_and_b32_e32 v148, 0xff, v102
	v_cvt_f32_f16_sdwa v5, v5 dst_sel:DWORD dst_unused:UNUSED_PAD src0_sel:WORD_1
	v_cvt_f32_f16_sdwa v4, v3 dst_sel:DWORD dst_unused:UNUSED_PAD src0_sel:WORD_1
	v_cvt_f32_f16_e32 v112, v114
	v_cvt_f32_f16_sdwa v114, v114 dst_sel:DWORD dst_unused:UNUSED_PAD src0_sel:WORD_1
	v_mul_lo_u32 v147, v147, v148
	v_cvt_f32_i32_e32 v147, v147
	v_cvt_f32_ubyte2_e32 v135, v111
	v_cvt_f32_ubyte0_e32 v134, v111
	v_pk_fma_f32 v[134:135], v[108:109], v[134:135], 0 op_sel_hi:[1,1,0]
	v_pk_fma_f32 v[120:121], v[118:119], v[132:133], v[120:121]
	v_cvt_f32_ubyte3_e32 v133, v111
	v_cvt_f32_ubyte1_e32 v132, v111
	v_pk_fma_f32 v[110:111], v[4:5], v[132:133], v[134:135]
	v_cvt_f32_ubyte0_e32 v144, v107
	v_cvt_f32_ubyte0_e32 v148, v103
	;; [unrolled: 1-line block ×3, first 2 shown]
	v_pk_mul_f32 v[110:111], v[110:111], v[114:115] op_sel_hi:[1,0]
	v_cvt_f32_ubyte1_e32 v139, v105
	v_pk_fma_f32 v[110:111], v[120:121], v[112:113], v[110:111] op_sel_hi:[1,0,1] neg_lo:[0,0,1] neg_hi:[0,0,1]
	v_fma_mix_f32 v4, v2, v143, 0 op_sel_hi:[1,0,0]
	v_fma_mix_f32 v108, v2, v144, 0 op_sel:[1,0,0] op_sel_hi:[1,0,0]
	v_fma_mix_f32 v112, v2, v147, 0 op_sel_hi:[1,0,0]
	v_fma_mix_f32 v114, v2, v148, 0 op_sel:[1,0,0] op_sel_hi:[1,0,0]
	;; [unrolled: 2-line block ×4, first 2 shown]
	v_and_b32_e32 v2, 0xf0f0f0f, v136
	v_mov_b32_e32 v116, 0
	v_dot4c_i32_i8_e32 v116, v2, v18
	v_and_b32_e32 v2, 0xf0f0f0f, v137
	v_cvt_f32_ubyte1_e32 v146, v107
	v_cvt_f32_ubyte1_e32 v150, v103
	v_dot4c_i32_i8_e32 v116, v2, v19
	v_add_u32_e32 v2, 0x10e8, v89
	v_fma_mix_f32 v4, v3, v145, v4 op_sel_hi:[1,0,0]
	v_fma_mix_f32 v108, v3, v146, v108 op_sel:[1,0,0] op_sel_hi:[1,0,0]
	v_fma_mix_f32 v112, v3, v149, v112 op_sel_hi:[1,0,0]
	v_fma_mix_f32 v114, v3, v150, v114 op_sel:[1,0,0] op_sel_hi:[1,0,0]
	ds_read2_b32 v[2:3], v2 offset1:1
	v_add_u32_e32 v118, 0x10f0, v89
	v_add_u32_e32 v132, 0x10f8, v89
	;; [unrolled: 1-line block ×3, first 2 shown]
	ds_read2_b32 v[120:121], v118 offset1:1
	ds_read2_b32 v[132:133], v132 offset1:1
	;; [unrolled: 1-line block ×3, first 2 shown]
	s_waitcnt lgkmcnt(3)
	v_and_b32_e32 v118, 0xf0f0f0f, v2
	v_dot4c_i32_i8_e32 v116, v118, v20
	v_and_b32_e32 v118, 0xf0f0f0f, v3
	v_dot4c_i32_i8_e32 v116, v118, v21
	s_waitcnt lgkmcnt(2)
	v_and_b32_e32 v118, 0xf0f0f0f, v120
	v_dot4c_i32_i8_e32 v116, v118, v14
	v_and_b32_e32 v118, 0xf0f0f0f, v121
	v_dot4c_i32_i8_e32 v116, v118, v15
	s_waitcnt lgkmcnt(1)
	v_and_b32_e32 v118, 0xf0f0f0f, v132
	v_dot4c_i32_i8_e32 v116, v118, v16
	v_and_b32_e32 v118, 0xf0f0f0f, v133
	v_lshrrev_b32_e32 v142, 24, v106
	v_dot4c_i32_i8_e32 v116, v118, v17
	v_bfe_u32 v106, v106, 16, 8
	v_lshrrev_b32_e32 v2, 4, v2
	v_and_b32_e32 v2, 0xf0f0f0f, v2
	v_mul_lo_u32 v106, v116, v106
	v_cvt_f32_i32_e32 v138, v106
	v_lshrrev_b32_e32 v106, 4, v136
	v_and_b32_e32 v106, 0xf0f0f0f, v106
	v_mov_b32_e32 v116, 0
	v_dot4c_i32_i8_e32 v116, v106, v10
	v_lshrrev_b32_e32 v106, 4, v137
	v_and_b32_e32 v106, 0xf0f0f0f, v106
	v_dot4c_i32_i8_e32 v116, v106, v11
	v_dot4c_i32_i8_e32 v116, v2, v12
	v_lshrrev_b32_e32 v2, 4, v3
	v_and_b32_e32 v2, 0xf0f0f0f, v2
	v_dot4c_i32_i8_e32 v116, v2, v13
	v_lshrrev_b32_e32 v2, 4, v120
	v_and_b32_e32 v2, 0xf0f0f0f, v2
	;; [unrolled: 3-line block ×5, first 2 shown]
	v_cvt_f32_f16_sdwa v3, v131 dst_sel:DWORD dst_unused:UNUSED_PAD src0_sel:WORD_1
	v_dot4c_i32_i8_e32 v116, v2, v9
	v_cvt_f32_ubyte2_e32 v139, v107
	v_cvt_f32_ubyte3_e32 v107, v107
	v_mul_f32_e32 v108, v108, v3
	v_mul_lo_u32 v2, v116, v142
	v_cvt_f32_i32_e32 v106, v2
	v_cvt_f32_f16_e32 v2, v131
	v_fma_mix_f32 v121, v4, v131, -v108 op_sel_hi:[0,1,0]
	v_mov_b32_e32 v108, v117
	v_pk_fma_f32 v[116:117], v[108:109], v[138:139], 0 op_sel_hi:[1,1,0]
	v_mov_b32_e32 v4, v119
	v_pk_fma_f32 v[106:107], v[4:5], v[106:107], v[116:117]
	v_pk_mul_f32 v[116:117], v[106:107], v[2:3]
	v_mov_b32_e32 v117, v116
	v_mov_b32_e32 v120, v110
	v_pk_fma_f32 v[2:3], v[106:107], v[2:3], v[116:117] neg_lo:[1,0,0] neg_hi:[1,0,0]
	v_pk_add_f32 v[100:101], v[100:101], v[120:121]
	v_mov_b32_e32 v2, v111
	v_pk_add_f32 v[100:101], v[100:101], v[2:3]
	s_waitcnt lgkmcnt(0)
	v_and_b32_e32 v2, 0xf0f0f0f, v134
	v_mov_b32_e32 v118, 0
	v_dot4c_i32_i8_e32 v118, v2, v18
	v_and_b32_e32 v2, 0xf0f0f0f, v135
	v_dot4c_i32_i8_e32 v118, v2, v19
	v_add_u32_e32 v2, 0x2168, v89
	ds_read2_b32 v[2:3], v2 offset1:1
	v_add_u32_e32 v106, 0x2170, v89
	v_add_u32_e32 v110, 0x2178, v89
	v_add_u32_e32 v116, 0x31e0, v89
	ds_read2_b32 v[106:107], v106 offset1:1
	ds_read2_b32 v[110:111], v110 offset1:1
	;; [unrolled: 1-line block ×3, first 2 shown]
	s_waitcnt lgkmcnt(3)
	v_and_b32_e32 v119, 0xf0f0f0f, v2
	v_dot4c_i32_i8_e32 v118, v119, v20
	v_and_b32_e32 v119, 0xf0f0f0f, v3
	v_dot4c_i32_i8_e32 v118, v119, v21
	s_waitcnt lgkmcnt(2)
	v_and_b32_e32 v119, 0xf0f0f0f, v106
	v_dot4c_i32_i8_e32 v118, v119, v14
	v_and_b32_e32 v119, 0xf0f0f0f, v107
	v_dot4c_i32_i8_e32 v118, v119, v15
	s_waitcnt lgkmcnt(1)
	v_and_b32_e32 v119, 0xf0f0f0f, v110
	v_dot4c_i32_i8_e32 v118, v119, v16
	v_and_b32_e32 v119, 0xf0f0f0f, v111
	v_lshrrev_b32_e32 v130, 24, v102
	v_dot4c_i32_i8_e32 v118, v119, v17
	v_bfe_u32 v102, v102, 16, 8
	v_mov_b32_e32 v120, 0
	v_lshrrev_b32_e32 v2, 4, v2
	v_mul_lo_u32 v102, v118, v102
	v_cvt_f32_i32_e32 v118, v102
	v_lshrrev_b32_e32 v102, 4, v134
	v_and_b32_e32 v102, 0xf0f0f0f, v102
	v_dot4c_i32_i8_e32 v120, v102, v10
	v_lshrrev_b32_e32 v102, 4, v135
	v_and_b32_e32 v102, 0xf0f0f0f, v102
	v_dot4c_i32_i8_e32 v120, v102, v11
	v_and_b32_e32 v2, 0xf0f0f0f, v2
	v_dot4c_i32_i8_e32 v120, v2, v12
	v_lshrrev_b32_e32 v2, 4, v3
	v_and_b32_e32 v2, 0xf0f0f0f, v2
	v_dot4c_i32_i8_e32 v120, v2, v13
	v_lshrrev_b32_e32 v2, 4, v106
	;; [unrolled: 3-line block ×5, first 2 shown]
	v_and_b32_e32 v2, 0xf0f0f0f, v2
	v_cvt_f32_f16_sdwa v3, v129 dst_sel:DWORD dst_unused:UNUSED_PAD src0_sel:WORD_1
	v_dot4c_i32_i8_e32 v120, v2, v9
	v_cvt_f32_ubyte2_e32 v119, v103
	v_cvt_f32_ubyte3_e32 v103, v103
	v_mul_f32_e32 v106, v114, v3
	v_mul_lo_u32 v2, v120, v130
	v_cvt_f32_i32_e32 v102, v2
	v_cvt_f32_f16_e32 v2, v129
	v_fma_mix_f32 v106, v112, v129, -v106 op_sel_hi:[0,1,0]
	v_add_f32_e32 v69, v69, v106
	v_pk_fma_f32 v[106:107], v[108:109], v[118:119], 0 op_sel_hi:[1,1,0]
	v_pk_fma_f32 v[102:103], v[4:5], v[102:103], v[106:107]
	v_pk_mul_f32 v[2:3], v[102:103], v[2:3]
	v_sub_f32_e32 v2, v2, v3
	v_add_f32_e32 v69, v69, v2
	s_waitcnt lgkmcnt(0)
	v_and_b32_e32 v2, 0xf0f0f0f, v116
	v_mov_b32_e32 v106, 0
	v_dot4c_i32_i8_e32 v106, v2, v18
	v_and_b32_e32 v2, 0xf0f0f0f, v117
	v_dot4c_i32_i8_e32 v106, v2, v19
	v_add_u32_e32 v2, 0x31e8, v89
	ds_read2_b32 v[2:3], v2 offset1:1
	v_add_u32_e32 v18, 0x31f0, v89
	v_add_u32_e32 v102, 0x31f8, v89
	ds_read2_b32 v[18:19], v18 offset1:1
	ds_read2_b32 v[102:103], v102 offset1:1
	v_lshrrev_b32_e32 v152, 24, v104
	s_waitcnt lgkmcnt(2)
	v_and_b32_e32 v107, 0xf0f0f0f, v2
	v_dot4c_i32_i8_e32 v106, v107, v20
	v_and_b32_e32 v20, 0xf0f0f0f, v3
	v_dot4c_i32_i8_e32 v106, v20, v21
	s_waitcnt lgkmcnt(1)
	v_and_b32_e32 v20, 0xf0f0f0f, v18
	v_dot4c_i32_i8_e32 v106, v20, v14
	v_and_b32_e32 v14, 0xf0f0f0f, v19
	v_dot4c_i32_i8_e32 v106, v14, v15
	s_waitcnt lgkmcnt(0)
	v_and_b32_e32 v14, 0xf0f0f0f, v102
	v_dot4c_i32_i8_e32 v106, v14, v16
	v_and_b32_e32 v14, 0xf0f0f0f, v103
	v_lshrrev_b32_e32 v16, 4, v116
	v_dot4c_i32_i8_e32 v106, v14, v17
	v_and_b32_e32 v16, 0xf0f0f0f, v16
	v_mov_b32_e32 v17, 0
	v_dot4c_i32_i8_e32 v17, v16, v10
	v_lshrrev_b32_e32 v10, 4, v117
	v_and_b32_e32 v10, 0xf0f0f0f, v10
	v_lshrrev_b32_e32 v2, 4, v2
	v_dot4c_i32_i8_e32 v17, v10, v11
	v_and_b32_e32 v2, 0xf0f0f0f, v2
	v_dot4c_i32_i8_e32 v17, v2, v12
	v_lshrrev_b32_e32 v2, 4, v3
	v_and_b32_e32 v2, 0xf0f0f0f, v2
	v_dot4c_i32_i8_e32 v17, v2, v13
	v_lshrrev_b32_e32 v2, 4, v18
	;; [unrolled: 3-line block ×5, first 2 shown]
	v_bfe_u32 v14, v104, 16, 8
	v_and_b32_e32 v2, 0xf0f0f0f, v2
	v_cvt_f32_f16_sdwa v3, v113 dst_sel:DWORD dst_unused:UNUSED_PAD src0_sel:WORD_1
	v_mul_lo_u32 v14, v106, v14
	v_dot4c_i32_i8_e32 v17, v2, v9
	v_cvt_f32_i32_e32 v14, v14
	v_mul_f32_e32 v8, v140, v3
	v_cvt_f32_ubyte2_e32 v15, v105
	v_mul_lo_u32 v2, v17, v152
	v_cvt_f32_i32_e32 v6, v2
	v_cvt_f32_f16_e32 v2, v113
	v_fma_mix_f32 v8, v128, v113, -v8 op_sel_hi:[0,1,0]
	v_cvt_f32_ubyte3_e32 v7, v105
	v_add_f32_e32 v10, v127, v8
	v_pk_fma_f32 v[8:9], v[108:109], v[14:15], 0 op_sel_hi:[1,1,0]
	v_pk_fma_f32 v[4:5], v[4:5], v[6:7], v[8:9]
	v_pk_mul_f32 v[2:3], v[4:5], v[2:3]
	v_sub_f32_e32 v2, v2, v3
	v_add_f32_e32 v127, v10, v2
	s_barrier
.LBB212_5:                              ;   in Loop: Header=BB212_6 Depth=1
	v_add_co_u32_e32 v58, vcc, 0x90, v58
	v_addc_co_u32_e32 v23, vcc, 0, v23, vcc
	v_add_co_u32_e32 v60, vcc, 0x90, v60
	v_addc_co_u32_e32 v25, vcc, 0, v25, vcc
	;; [unrolled: 2-line block ×20, first 2 shown]
	s_add_i32 s26, s26, -1
	s_addk_i32 s10, 0x100
	v_add_co_u32_e32 v98, vcc, 0x90, v98
	v_add_u32_e32 v67, 8, v67
	v_add_u32_e32 v95, 8, v95
	;; [unrolled: 1-line block ×3, first 2 shown]
	s_cmp_eq_u32 s26, 0
	v_addc_co_u32_e32 v63, vcc, 0, v63, vcc
	s_cbranch_scc1 .LBB212_20
.LBB212_6:                              ; =>This Inner Loop Header: Depth=1
	v_mov_b32_e32 v4, s27
	v_add_co_u32_e32 v2, vcc, s8, v58
	v_addc_co_u32_e32 v3, vcc, v23, v4, vcc
	global_load_dword v5, v[2:3], off
	v_add_co_u32_e32 v2, vcc, s8, v60
	v_addc_co_u32_e32 v3, vcc, v25, v4, vcc
	global_load_dword v6, v[2:3], off
	;; [unrolled: 3-line block ×21, first 2 shown]
	s_waitcnt vmcnt(20)
	ds_write_b32 v22, v5
	s_waitcnt vmcnt(19)
	ds_write_b32 v24, v6
	;; [unrolled: 2-line block ×17, first 2 shown]
	s_add_i32 s4, s10, 0xffffff80
	s_cmp_lt_i32 s4, s9
	s_waitcnt vmcnt(3)
	v_ashrrev_i32_e32 v3, v73, v102
	v_and_b32_e32 v3, 0xf0f0f0f, v3
	s_waitcnt vmcnt(2)
	v_ashrrev_i32_e32 v4, v75, v103
	v_and_or_b32 v3, v4, s16, v3
	ds_write_b32 v125, v3
	s_waitcnt vmcnt(1)
	v_ashrrev_i32_e32 v3, v73, v104
	v_and_b32_e32 v3, 0xf0f0f0f, v3
	s_waitcnt vmcnt(0)
	v_ashrrev_i32_e32 v2, v75, v2
	v_and_or_b32 v2, v2, s16, v3
	ds_write_b32 v126, v2
	s_cbranch_scc0 .LBB212_5
; %bb.7:                                ;   in Loop: Header=BB212_6 Depth=1
	v_cmp_gt_i32_e32 vcc, s12, v81
	s_and_b64 s[22:23], s[2:3], vcc
	s_and_saveexec_b64 s[4:5], s[22:23]
	s_cbranch_execz .LBB212_9
; %bb.8:                                ;   in Loop: Header=BB212_6 Depth=1
	v_add_u32_e32 v2, v56, v81
	v_mad_i64_i32 v[2:3], s[22:23], v2, 36, v[54:55]
	global_load_dword v2, v[2:3], off offset:4
	s_waitcnt vmcnt(0)
	ds_write_b32 v77, v2
.LBB212_9:                              ;   in Loop: Header=BB212_6 Depth=1
	s_or_b64 exec, exec, s[4:5]
	s_and_saveexec_b64 s[4:5], s[0:1]
	s_cbranch_execz .LBB212_12
; %bb.10:                               ;   in Loop: Header=BB212_6 Depth=1
	v_cmp_gt_i32_e32 vcc, s12, v67
	s_and_b64 s[22:23], s[2:3], vcc
	s_and_b64 exec, exec, s[22:23]
	s_cbranch_execz .LBB212_12
; %bb.11:                               ;   in Loop: Header=BB212_6 Depth=1
	v_add_u32_e32 v2, v56, v67
	v_mad_i64_i32 v[2:3], s[22:23], v2, 36, s[18:19]
	global_load_dword v2, v[2:3], off
	s_waitcnt vmcnt(0)
	ds_write_b32 v79, v2
.LBB212_12:                             ;   in Loop: Header=BB212_6 Depth=1
	s_or_b64 exec, exec, s[4:5]
	s_waitcnt lgkmcnt(0)
	s_barrier
	ds_read_b128 v[2:5], v85 offset:20560
	ds_read2_b32 v[102:103], v89 offset1:1
	ds_read_b128 v[18:21], v83
	ds_read_b128 v[14:17], v83 offset:16
	ds_read_b128 v[10:13], v83 offset:32
	;; [unrolled: 1-line block ×3, first 2 shown]
	ds_read_b32 v114, v93
	s_waitcnt lgkmcnt(5)
	v_and_b32_e32 v104, 0xf0f0f0f, v102
	v_mov_b32_e32 v128, 0
	s_waitcnt lgkmcnt(4)
	v_dot4c_i32_i8_e32 v128, v104, v18
	ds_read2_b32 v[104:105], v89 offset0:2 offset1:3
	v_lshrrev_b32_e32 v102, 4, v102
	v_and_b32_e32 v102, 0xf0f0f0f, v102
	v_mov_b32_e32 v141, 0
	s_waitcnt lgkmcnt(3)
	v_dot4c_i32_i8_e32 v141, v102, v10
	v_lshrrev_b32_e32 v102, 4, v103
	v_and_b32_e32 v102, 0xf0f0f0f, v102
	v_and_b32_e32 v106, 0xf0f0f0f, v103
	v_dot4c_i32_i8_e32 v141, v102, v11
	s_waitcnt lgkmcnt(0)
	v_lshrrev_b32_e32 v102, 4, v104
	v_dot4c_i32_i8_e32 v128, v106, v19
	ds_read2_b32 v[106:107], v89 offset0:4 offset1:5
	ds_read2_b32 v[112:113], v89 offset0:6 offset1:7
	;; [unrolled: 1-line block ×3, first 2 shown]
	v_and_b32_e32 v102, 0xf0f0f0f, v102
	v_dot4c_i32_i8_e32 v141, v102, v12
	v_lshrrev_b32_e32 v102, 4, v105
	v_and_b32_e32 v102, 0xf0f0f0f, v102
	v_dot4c_i32_i8_e32 v141, v102, v13
	s_waitcnt lgkmcnt(2)
	v_lshrrev_b32_e32 v102, 4, v106
	v_and_b32_e32 v102, 0xf0f0f0f, v102
	v_dot4c_i32_i8_e32 v141, v102, v6
	v_lshrrev_b32_e32 v102, 4, v107
	v_and_b32_e32 v110, 0xf0f0f0f, v104
	v_and_b32_e32 v102, 0xf0f0f0f, v102
	v_dot4c_i32_i8_e32 v128, v110, v20
	v_and_b32_e32 v110, 0xf0f0f0f, v105
	v_dot4c_i32_i8_e32 v141, v102, v7
	s_waitcnt lgkmcnt(1)
	v_lshrrev_b32_e32 v102, 4, v112
	v_dot4c_i32_i8_e32 v128, v110, v21
	v_and_b32_e32 v110, 0xf0f0f0f, v106
	v_and_b32_e32 v102, 0xf0f0f0f, v102
	v_dot4c_i32_i8_e32 v128, v110, v14
	v_and_b32_e32 v110, 0xf0f0f0f, v107
	v_dot4c_i32_i8_e32 v141, v102, v8
	v_lshrrev_b32_e32 v102, 4, v113
	v_dot4c_i32_i8_e32 v128, v110, v15
	v_and_b32_e32 v116, 0xf0f0f0f, v112
	v_and_b32_e32 v102, 0xf0f0f0f, v102
	v_dot4c_i32_i8_e32 v128, v116, v16
	v_and_b32_e32 v116, 0xf0f0f0f, v113
	v_dot4c_i32_i8_e32 v141, v102, v9
	v_add_u32_e32 v102, 0x1080, v89
	ds_read2_b32 v[110:111], v87 offset1:2
	v_dot4c_i32_i8_e32 v128, v116, v17
	ds_read2_b32 v[116:117], v89 offset0:10 offset1:11
	ds_read2_b32 v[118:119], v89 offset0:12 offset1:13
	;; [unrolled: 1-line block ×3, first 2 shown]
	ds_read2_b32 v[102:103], v102 offset1:1
	v_mov_b32_e32 v130, 0
	ds_read_b32 v131, v99 offset:128
	ds_read_b32 v129, v122 offset:256
	;; [unrolled: 1-line block ×3, first 2 shown]
	v_add_u32_e32 v106, 0x1090, v89
	v_add_u32_e32 v136, 0x2100, v89
	s_waitcnt lgkmcnt(3)
	v_and_b32_e32 v104, 0xf0f0f0f, v102
	v_dot4c_i32_i8_e32 v130, v104, v18
	v_and_b32_e32 v104, 0xf0f0f0f, v103
	v_dot4c_i32_i8_e32 v130, v104, v19
	v_add_u32_e32 v104, 0x1088, v89
	ds_read2_b32 v[104:105], v104 offset1:1
	v_add_u32_e32 v107, 0x1098, v89
	ds_read2_b32 v[132:133], v106 offset1:1
	ds_read2_b32 v[134:135], v107 offset1:1
	ds_read2_b32 v[136:137], v136 offset1:1
	v_lshrrev_b32_e32 v102, 4, v102
	v_and_b32_e32 v102, 0xf0f0f0f, v102
	s_waitcnt lgkmcnt(3)
	v_and_b32_e32 v106, 0xf0f0f0f, v104
	v_dot4c_i32_i8_e32 v130, v106, v20
	v_and_b32_e32 v106, 0xf0f0f0f, v105
	v_dot4c_i32_i8_e32 v130, v106, v21
	s_waitcnt lgkmcnt(2)
	v_and_b32_e32 v106, 0xf0f0f0f, v132
	v_dot4c_i32_i8_e32 v130, v106, v14
	v_and_b32_e32 v106, 0xf0f0f0f, v133
	v_dot4c_i32_i8_e32 v130, v106, v15
	ds_read2_b32 v[106:107], v97 offset1:2
	s_waitcnt lgkmcnt(2)
	v_and_b32_e32 v138, 0xf0f0f0f, v134
	v_dot4c_i32_i8_e32 v130, v138, v16
	v_and_b32_e32 v138, 0xf0f0f0f, v135
	v_dot4c_i32_i8_e32 v130, v138, v17
	s_waitcnt lgkmcnt(0)
	v_and_b32_e32 v138, 0xff, v106
	v_mov_b32_e32 v147, 0
	v_mov_b32_e32 v149, 0
	v_mul_lo_u32 v130, v130, v138
	v_cvt_f32_i32_e32 v143, v130
	v_mov_b32_e32 v130, 0
	v_dot4c_i32_i8_e32 v130, v102, v10
	v_lshrrev_b32_e32 v102, 4, v103
	v_and_b32_e32 v102, 0xf0f0f0f, v102
	v_dot4c_i32_i8_e32 v130, v102, v11
	v_lshrrev_b32_e32 v102, 4, v104
	v_and_b32_e32 v102, 0xf0f0f0f, v102
	;; [unrolled: 3-line block ×7, first 2 shown]
	v_dot4c_i32_i8_e32 v130, v102, v9
	v_bfe_u32 v102, v106, 8, 8
	v_add_u32_e32 v103, 0x2110, v89
	v_mov_b32_e32 v151, 0
	v_mul_lo_u32 v102, v130, v102
	v_cvt_f32_i32_e32 v145, v102
	v_and_b32_e32 v102, 0xf0f0f0f, v136
	v_dot4c_i32_i8_e32 v147, v102, v18
	v_and_b32_e32 v102, 0xf0f0f0f, v137
	v_dot4c_i32_i8_e32 v147, v102, v19
	v_add_u32_e32 v102, 0x2108, v89
	ds_read2_b32 v[104:105], v102 offset1:1
	v_lshrrev_b32_e32 v136, 4, v136
	v_and_b32_e32 v136, 0xf0f0f0f, v136
	v_add_u32_e32 v102, 0x3180, v89
	v_dot4c_i32_i8_e32 v149, v136, v10
	v_lshrrev_b32_e32 v136, 4, v137
	v_add_u32_e32 v130, 0x2118, v89
	ds_read2_b32 v[132:133], v103 offset1:1
	ds_read2_b32 v[134:135], v130 offset1:1
	;; [unrolled: 1-line block ×3, first 2 shown]
	s_waitcnt lgkmcnt(3)
	v_and_b32_e32 v102, 0xf0f0f0f, v104
	v_and_b32_e32 v136, 0xf0f0f0f, v136
	v_lshrrev_b32_e32 v104, 4, v104
	v_dot4c_i32_i8_e32 v149, v136, v11
	v_and_b32_e32 v104, 0xf0f0f0f, v104
	v_dot4c_i32_i8_e32 v149, v104, v12
	v_lshrrev_b32_e32 v104, 4, v105
	v_and_b32_e32 v104, 0xf0f0f0f, v104
	v_dot4c_i32_i8_e32 v147, v102, v20
	v_and_b32_e32 v102, 0xf0f0f0f, v105
	v_dot4c_i32_i8_e32 v149, v104, v13
	s_waitcnt lgkmcnt(2)
	v_lshrrev_b32_e32 v104, 4, v132
	v_dot4c_i32_i8_e32 v147, v102, v21
	v_and_b32_e32 v102, 0xf0f0f0f, v132
	v_and_b32_e32 v104, 0xf0f0f0f, v104
	v_dot4c_i32_i8_e32 v147, v102, v14
	v_and_b32_e32 v102, 0xf0f0f0f, v133
	v_dot4c_i32_i8_e32 v149, v104, v6
	v_lshrrev_b32_e32 v104, 4, v133
	v_dot4c_i32_i8_e32 v147, v102, v15
	ds_read2_b32 v[102:103], v115 offset1:2
	v_and_b32_e32 v104, 0xf0f0f0f, v104
	v_dot4c_i32_i8_e32 v149, v104, v7
	s_waitcnt lgkmcnt(2)
	v_lshrrev_b32_e32 v104, 4, v134
	v_and_b32_e32 v104, 0xf0f0f0f, v104
	v_dot4c_i32_i8_e32 v149, v104, v8
	v_lshrrev_b32_e32 v104, 4, v135
	v_and_b32_e32 v104, 0xf0f0f0f, v104
	v_dot4c_i32_i8_e32 v149, v104, v9
	s_waitcnt lgkmcnt(0)
	v_bfe_u32 v104, v102, 8, 8
	v_and_b32_e32 v130, 0xf0f0f0f, v134
	v_add_u32_e32 v136, 0x10a0, v89
	v_mul_lo_u32 v104, v149, v104
	v_cvt_f32_i32_e32 v149, v104
	v_and_b32_e32 v104, 0xf0f0f0f, v138
	v_dot4c_i32_i8_e32 v151, v104, v18
	v_and_b32_e32 v18, 0xf0f0f0f, v139
	v_dot4c_i32_i8_e32 v151, v18, v19
	v_add_u32_e32 v18, 0x3188, v89
	ds_read2_b32 v[18:19], v18 offset1:1
	v_add_u32_e32 v104, 0x3190, v89
	v_dot4c_i32_i8_e32 v147, v130, v16
	v_and_b32_e32 v130, 0xf0f0f0f, v135
	v_add_u32_e32 v105, 0x3198, v89
	ds_read2_b32 v[132:133], v104 offset1:1
	ds_read2_b32 v[134:135], v105 offset1:1
	;; [unrolled: 1-line block ×3, first 2 shown]
	s_waitcnt lgkmcnt(3)
	v_and_b32_e32 v104, 0xf0f0f0f, v18
	v_dot4c_i32_i8_e32 v151, v104, v20
	v_and_b32_e32 v20, 0xf0f0f0f, v19
	ds_read2_b32 v[104:105], v123 offset1:2
	v_dot4c_i32_i8_e32 v151, v20, v21
	s_waitcnt lgkmcnt(3)
	v_and_b32_e32 v20, 0xf0f0f0f, v132
	v_dot4c_i32_i8_e32 v151, v20, v14
	v_and_b32_e32 v14, 0xf0f0f0f, v133
	v_dot4c_i32_i8_e32 v151, v14, v15
	s_waitcnt lgkmcnt(2)
	v_and_b32_e32 v14, 0xf0f0f0f, v134
	v_dot4c_i32_i8_e32 v151, v14, v16
	v_and_b32_e32 v14, 0xf0f0f0f, v135
	v_dot4c_i32_i8_e32 v151, v14, v17
	s_waitcnt lgkmcnt(0)
	v_and_b32_e32 v14, 0xff, v104
	v_mov_b32_e32 v15, 0
	v_dot4c_i32_i8_e32 v147, v130, v17
	v_mul_lo_u32 v14, v151, v14
	v_cvt_f32_i32_e32 v151, v14
	v_lshrrev_b32_e32 v14, 4, v138
	v_and_b32_e32 v14, 0xf0f0f0f, v14
	v_dot4c_i32_i8_e32 v15, v14, v10
	v_lshrrev_b32_e32 v10, 4, v139
	v_and_b32_e32 v10, 0xf0f0f0f, v10
	v_dot4c_i32_i8_e32 v15, v10, v11
	;; [unrolled: 3-line block ×8, first 2 shown]
	v_bfe_u32 v6, v104, 8, 8
	v_and_b32_e32 v132, 0xf0f0f0f, v108
	v_mov_b32_e32 v133, 0
	v_mul_lo_u32 v6, v15, v6
	v_cvt_f32_i32_e32 v138, v6
	ds_read_b128 v[18:21], v83 offset:64
	ds_read_b128 v[14:17], v83 offset:80
	;; [unrolled: 1-line block ×4, first 2 shown]
	v_lshrrev_b32_e32 v108, 4, v108
	s_waitcnt lgkmcnt(3)
	v_dot4c_i32_i8_e32 v133, v132, v18
	v_and_b32_e32 v132, 0xf0f0f0f, v109
	v_dot4c_i32_i8_e32 v133, v132, v19
	v_and_b32_e32 v132, 0xf0f0f0f, v116
	;; [unrolled: 2-line block ×4, first 2 shown]
	s_waitcnt lgkmcnt(2)
	v_dot4c_i32_i8_e32 v133, v132, v14
	v_and_b32_e32 v132, 0xf0f0f0f, v119
	v_dot4c_i32_i8_e32 v133, v132, v15
	v_and_b32_e32 v132, 0xf0f0f0f, v120
	v_dot4c_i32_i8_e32 v133, v132, v16
	v_and_b32_e32 v132, 0xf0f0f0f, v121
	v_dot4c_i32_i8_e32 v133, v132, v17
	v_and_b32_e32 v108, 0xf0f0f0f, v108
	v_mov_b32_e32 v132, 0
	s_waitcnt lgkmcnt(1)
	v_dot4c_i32_i8_e32 v132, v108, v10
	v_lshrrev_b32_e32 v108, 4, v109
	v_and_b32_e32 v108, 0xf0f0f0f, v108
	v_dot4c_i32_i8_e32 v132, v108, v11
	v_lshrrev_b32_e32 v108, 4, v116
	v_and_b32_e32 v108, 0xf0f0f0f, v108
	v_dot4c_i32_i8_e32 v132, v108, v12
	v_lshrrev_b32_e32 v108, 4, v117
	v_and_b32_e32 v108, 0xf0f0f0f, v108
	v_dot4c_i32_i8_e32 v132, v108, v13
	v_lshrrev_b32_e32 v108, 4, v118
	v_and_b32_e32 v108, 0xf0f0f0f, v108
	s_waitcnt lgkmcnt(0)
	v_dot4c_i32_i8_e32 v132, v108, v6
	v_lshrrev_b32_e32 v108, 4, v119
	v_and_b32_e32 v108, 0xf0f0f0f, v108
	v_dot4c_i32_i8_e32 v132, v108, v7
	v_lshrrev_b32_e32 v108, 4, v120
	v_cvt_f32_f16_e32 v117, v4
	v_cvt_f32_f16_sdwa v109, v4 dst_sel:DWORD dst_unused:UNUSED_PAD src0_sel:WORD_1
	v_and_b32_e32 v4, 0xff, v110
	v_bfe_u32 v118, v110, 16, 8
	v_and_b32_e32 v108, 0xf0f0f0f, v108
	v_mul_lo_u32 v4, v128, v4
	v_mul_lo_u32 v118, v133, v118
	v_dot4c_i32_i8_e32 v132, v108, v8
	v_lshrrev_b32_e32 v108, 4, v121
	v_cvt_f32_f16_e32 v116, v2
	v_cvt_f32_i32_e32 v121, v118
	v_cvt_f32_i32_e32 v120, v4
	v_and_b32_e32 v108, 0xf0f0f0f, v108
	v_lshrrev_b32_e32 v140, 24, v110
	v_dot4c_i32_i8_e32 v132, v108, v9
	v_bfe_u32 v110, v110, 8, 8
	v_pk_fma_f32 v[120:121], v[116:117], v[120:121], 0 op_sel_hi:[1,1,0]
	v_mul_lo_u32 v110, v141, v110
	v_mul_lo_u32 v116, v132, v140
	v_cvt_f32_f16_sdwa v108, v2 dst_sel:DWORD dst_unused:UNUSED_PAD src0_sel:WORD_1
	v_cvt_f32_f16_e32 v119, v5
	v_cvt_f32_f16_e32 v118, v3
	v_cvt_f32_i32_e32 v133, v116
	v_cvt_f32_i32_e32 v132, v110
	v_and_b32_e32 v148, 0xff, v102
	v_cvt_f32_f16_sdwa v5, v5 dst_sel:DWORD dst_unused:UNUSED_PAD src0_sel:WORD_1
	v_cvt_f32_f16_sdwa v4, v3 dst_sel:DWORD dst_unused:UNUSED_PAD src0_sel:WORD_1
	v_cvt_f32_f16_e32 v112, v114
	v_cvt_f32_f16_sdwa v114, v114 dst_sel:DWORD dst_unused:UNUSED_PAD src0_sel:WORD_1
	v_mul_lo_u32 v147, v147, v148
	v_cvt_f32_i32_e32 v147, v147
	v_cvt_f32_ubyte2_e32 v135, v111
	v_cvt_f32_ubyte0_e32 v134, v111
	v_pk_fma_f32 v[134:135], v[108:109], v[134:135], 0 op_sel_hi:[1,1,0]
	v_pk_fma_f32 v[120:121], v[118:119], v[132:133], v[120:121]
	v_cvt_f32_ubyte3_e32 v133, v111
	v_cvt_f32_ubyte1_e32 v132, v111
	v_pk_fma_f32 v[110:111], v[4:5], v[132:133], v[134:135]
	v_cvt_f32_ubyte0_e32 v144, v107
	v_cvt_f32_ubyte0_e32 v148, v103
	v_cvt_f32_ubyte0_e32 v153, v105
	v_pk_mul_f32 v[110:111], v[110:111], v[114:115] op_sel_hi:[1,0]
	v_cvt_f32_ubyte1_e32 v139, v105
	v_pk_fma_f32 v[110:111], v[120:121], v[112:113], v[110:111] op_sel_hi:[1,0,1] neg_lo:[0,0,1] neg_hi:[0,0,1]
	v_fma_mix_f32 v4, v2, v143, 0 op_sel_hi:[1,0,0]
	v_fma_mix_f32 v108, v2, v144, 0 op_sel:[1,0,0] op_sel_hi:[1,0,0]
	v_fma_mix_f32 v112, v2, v147, 0 op_sel_hi:[1,0,0]
	v_fma_mix_f32 v114, v2, v148, 0 op_sel:[1,0,0] op_sel_hi:[1,0,0]
	;; [unrolled: 2-line block ×4, first 2 shown]
	v_and_b32_e32 v2, 0xf0f0f0f, v136
	v_mov_b32_e32 v116, 0
	v_dot4c_i32_i8_e32 v116, v2, v18
	v_and_b32_e32 v2, 0xf0f0f0f, v137
	v_cvt_f32_ubyte1_e32 v146, v107
	v_cvt_f32_ubyte1_e32 v150, v103
	v_dot4c_i32_i8_e32 v116, v2, v19
	v_add_u32_e32 v2, 0x10a8, v89
	v_fma_mix_f32 v4, v3, v145, v4 op_sel_hi:[1,0,0]
	v_fma_mix_f32 v108, v3, v146, v108 op_sel:[1,0,0] op_sel_hi:[1,0,0]
	v_fma_mix_f32 v112, v3, v149, v112 op_sel_hi:[1,0,0]
	v_fma_mix_f32 v114, v3, v150, v114 op_sel:[1,0,0] op_sel_hi:[1,0,0]
	ds_read2_b32 v[2:3], v2 offset1:1
	v_add_u32_e32 v118, 0x10b0, v89
	v_add_u32_e32 v132, 0x10b8, v89
	;; [unrolled: 1-line block ×3, first 2 shown]
	ds_read2_b32 v[120:121], v118 offset1:1
	ds_read2_b32 v[132:133], v132 offset1:1
	;; [unrolled: 1-line block ×3, first 2 shown]
	s_waitcnt lgkmcnt(3)
	v_and_b32_e32 v118, 0xf0f0f0f, v2
	v_dot4c_i32_i8_e32 v116, v118, v20
	v_and_b32_e32 v118, 0xf0f0f0f, v3
	v_dot4c_i32_i8_e32 v116, v118, v21
	s_waitcnt lgkmcnt(2)
	v_and_b32_e32 v118, 0xf0f0f0f, v120
	v_dot4c_i32_i8_e32 v116, v118, v14
	v_and_b32_e32 v118, 0xf0f0f0f, v121
	v_dot4c_i32_i8_e32 v116, v118, v15
	s_waitcnt lgkmcnt(1)
	v_and_b32_e32 v118, 0xf0f0f0f, v132
	v_dot4c_i32_i8_e32 v116, v118, v16
	v_and_b32_e32 v118, 0xf0f0f0f, v133
	v_lshrrev_b32_e32 v142, 24, v106
	v_dot4c_i32_i8_e32 v116, v118, v17
	v_bfe_u32 v106, v106, 16, 8
	v_lshrrev_b32_e32 v2, 4, v2
	v_and_b32_e32 v2, 0xf0f0f0f, v2
	v_mul_lo_u32 v106, v116, v106
	v_cvt_f32_i32_e32 v138, v106
	v_lshrrev_b32_e32 v106, 4, v136
	v_and_b32_e32 v106, 0xf0f0f0f, v106
	v_mov_b32_e32 v116, 0
	v_dot4c_i32_i8_e32 v116, v106, v10
	v_lshrrev_b32_e32 v106, 4, v137
	v_and_b32_e32 v106, 0xf0f0f0f, v106
	v_dot4c_i32_i8_e32 v116, v106, v11
	v_dot4c_i32_i8_e32 v116, v2, v12
	v_lshrrev_b32_e32 v2, 4, v3
	v_and_b32_e32 v2, 0xf0f0f0f, v2
	v_dot4c_i32_i8_e32 v116, v2, v13
	v_lshrrev_b32_e32 v2, 4, v120
	v_and_b32_e32 v2, 0xf0f0f0f, v2
	;; [unrolled: 3-line block ×5, first 2 shown]
	v_cvt_f32_f16_sdwa v3, v131 dst_sel:DWORD dst_unused:UNUSED_PAD src0_sel:WORD_1
	v_dot4c_i32_i8_e32 v116, v2, v9
	v_cvt_f32_ubyte2_e32 v139, v107
	v_cvt_f32_ubyte3_e32 v107, v107
	v_mul_f32_e32 v108, v108, v3
	v_mul_lo_u32 v2, v116, v142
	v_cvt_f32_i32_e32 v106, v2
	v_cvt_f32_f16_e32 v2, v131
	v_fma_mix_f32 v121, v4, v131, -v108 op_sel_hi:[0,1,0]
	v_mov_b32_e32 v108, v117
	v_pk_fma_f32 v[116:117], v[108:109], v[138:139], 0 op_sel_hi:[1,1,0]
	v_mov_b32_e32 v4, v119
	v_pk_fma_f32 v[106:107], v[4:5], v[106:107], v[116:117]
	v_pk_mul_f32 v[116:117], v[106:107], v[2:3]
	v_mov_b32_e32 v117, v116
	v_mov_b32_e32 v120, v110
	v_pk_fma_f32 v[2:3], v[106:107], v[2:3], v[116:117] neg_lo:[1,0,0] neg_hi:[1,0,0]
	v_pk_add_f32 v[100:101], v[100:101], v[120:121]
	v_mov_b32_e32 v2, v111
	v_pk_add_f32 v[100:101], v[100:101], v[2:3]
	s_waitcnt lgkmcnt(0)
	v_and_b32_e32 v2, 0xf0f0f0f, v134
	v_mov_b32_e32 v118, 0
	v_dot4c_i32_i8_e32 v118, v2, v18
	v_and_b32_e32 v2, 0xf0f0f0f, v135
	v_dot4c_i32_i8_e32 v118, v2, v19
	v_add_u32_e32 v2, 0x2128, v89
	ds_read2_b32 v[2:3], v2 offset1:1
	v_add_u32_e32 v106, 0x2130, v89
	v_add_u32_e32 v110, 0x2138, v89
	;; [unrolled: 1-line block ×3, first 2 shown]
	ds_read2_b32 v[106:107], v106 offset1:1
	ds_read2_b32 v[110:111], v110 offset1:1
	;; [unrolled: 1-line block ×3, first 2 shown]
	s_waitcnt lgkmcnt(3)
	v_and_b32_e32 v119, 0xf0f0f0f, v2
	v_dot4c_i32_i8_e32 v118, v119, v20
	v_and_b32_e32 v119, 0xf0f0f0f, v3
	v_dot4c_i32_i8_e32 v118, v119, v21
	s_waitcnt lgkmcnt(2)
	v_and_b32_e32 v119, 0xf0f0f0f, v106
	v_dot4c_i32_i8_e32 v118, v119, v14
	v_and_b32_e32 v119, 0xf0f0f0f, v107
	v_dot4c_i32_i8_e32 v118, v119, v15
	s_waitcnt lgkmcnt(1)
	v_and_b32_e32 v119, 0xf0f0f0f, v110
	v_dot4c_i32_i8_e32 v118, v119, v16
	v_and_b32_e32 v119, 0xf0f0f0f, v111
	v_lshrrev_b32_e32 v130, 24, v102
	v_dot4c_i32_i8_e32 v118, v119, v17
	v_bfe_u32 v102, v102, 16, 8
	v_mov_b32_e32 v120, 0
	v_lshrrev_b32_e32 v2, 4, v2
	v_mul_lo_u32 v102, v118, v102
	v_cvt_f32_i32_e32 v118, v102
	v_lshrrev_b32_e32 v102, 4, v134
	v_and_b32_e32 v102, 0xf0f0f0f, v102
	v_dot4c_i32_i8_e32 v120, v102, v10
	v_lshrrev_b32_e32 v102, 4, v135
	v_and_b32_e32 v102, 0xf0f0f0f, v102
	v_dot4c_i32_i8_e32 v120, v102, v11
	v_and_b32_e32 v2, 0xf0f0f0f, v2
	v_dot4c_i32_i8_e32 v120, v2, v12
	v_lshrrev_b32_e32 v2, 4, v3
	v_and_b32_e32 v2, 0xf0f0f0f, v2
	v_dot4c_i32_i8_e32 v120, v2, v13
	v_lshrrev_b32_e32 v2, 4, v106
	;; [unrolled: 3-line block ×5, first 2 shown]
	v_and_b32_e32 v2, 0xf0f0f0f, v2
	v_cvt_f32_f16_sdwa v3, v129 dst_sel:DWORD dst_unused:UNUSED_PAD src0_sel:WORD_1
	v_dot4c_i32_i8_e32 v120, v2, v9
	v_cvt_f32_ubyte2_e32 v119, v103
	v_cvt_f32_ubyte3_e32 v103, v103
	v_mul_f32_e32 v106, v114, v3
	v_mul_lo_u32 v2, v120, v130
	v_cvt_f32_i32_e32 v102, v2
	v_cvt_f32_f16_e32 v2, v129
	v_fma_mix_f32 v106, v112, v129, -v106 op_sel_hi:[0,1,0]
	v_add_f32_e32 v69, v69, v106
	v_pk_fma_f32 v[106:107], v[108:109], v[118:119], 0 op_sel_hi:[1,1,0]
	v_pk_fma_f32 v[102:103], v[4:5], v[102:103], v[106:107]
	v_pk_mul_f32 v[2:3], v[102:103], v[2:3]
	v_sub_f32_e32 v2, v2, v3
	v_add_f32_e32 v69, v69, v2
	s_waitcnt lgkmcnt(0)
	v_and_b32_e32 v2, 0xf0f0f0f, v116
	v_mov_b32_e32 v106, 0
	v_dot4c_i32_i8_e32 v106, v2, v18
	v_and_b32_e32 v2, 0xf0f0f0f, v117
	v_dot4c_i32_i8_e32 v106, v2, v19
	v_add_u32_e32 v2, 0x31a8, v89
	ds_read2_b32 v[2:3], v2 offset1:1
	v_add_u32_e32 v18, 0x31b0, v89
	v_add_u32_e32 v102, 0x31b8, v89
	ds_read2_b32 v[18:19], v18 offset1:1
	ds_read2_b32 v[102:103], v102 offset1:1
	v_lshrrev_b32_e32 v152, 24, v104
	s_waitcnt lgkmcnt(2)
	v_and_b32_e32 v107, 0xf0f0f0f, v2
	v_dot4c_i32_i8_e32 v106, v107, v20
	v_and_b32_e32 v20, 0xf0f0f0f, v3
	v_dot4c_i32_i8_e32 v106, v20, v21
	s_waitcnt lgkmcnt(1)
	v_and_b32_e32 v20, 0xf0f0f0f, v18
	v_dot4c_i32_i8_e32 v106, v20, v14
	v_and_b32_e32 v14, 0xf0f0f0f, v19
	v_dot4c_i32_i8_e32 v106, v14, v15
	s_waitcnt lgkmcnt(0)
	v_and_b32_e32 v14, 0xf0f0f0f, v102
	v_dot4c_i32_i8_e32 v106, v14, v16
	v_and_b32_e32 v14, 0xf0f0f0f, v103
	v_lshrrev_b32_e32 v16, 4, v116
	v_dot4c_i32_i8_e32 v106, v14, v17
	v_and_b32_e32 v16, 0xf0f0f0f, v16
	v_mov_b32_e32 v17, 0
	v_dot4c_i32_i8_e32 v17, v16, v10
	v_lshrrev_b32_e32 v10, 4, v117
	v_and_b32_e32 v10, 0xf0f0f0f, v10
	v_lshrrev_b32_e32 v2, 4, v2
	v_dot4c_i32_i8_e32 v17, v10, v11
	v_and_b32_e32 v2, 0xf0f0f0f, v2
	v_dot4c_i32_i8_e32 v17, v2, v12
	v_lshrrev_b32_e32 v2, 4, v3
	v_and_b32_e32 v2, 0xf0f0f0f, v2
	v_dot4c_i32_i8_e32 v17, v2, v13
	v_lshrrev_b32_e32 v2, 4, v18
	;; [unrolled: 3-line block ×5, first 2 shown]
	v_bfe_u32 v14, v104, 16, 8
	v_and_b32_e32 v2, 0xf0f0f0f, v2
	v_cvt_f32_f16_sdwa v3, v113 dst_sel:DWORD dst_unused:UNUSED_PAD src0_sel:WORD_1
	v_mul_lo_u32 v14, v106, v14
	v_dot4c_i32_i8_e32 v17, v2, v9
	v_cvt_f32_i32_e32 v14, v14
	v_mul_f32_e32 v8, v140, v3
	v_cvt_f32_ubyte2_e32 v15, v105
	v_mul_lo_u32 v2, v17, v152
	v_cvt_f32_i32_e32 v6, v2
	v_cvt_f32_f16_e32 v2, v113
	v_fma_mix_f32 v8, v128, v113, -v8 op_sel_hi:[0,1,0]
	v_cvt_f32_ubyte3_e32 v7, v105
	v_add_f32_e32 v10, v127, v8
	v_pk_fma_f32 v[8:9], v[108:109], v[14:15], 0 op_sel_hi:[1,1,0]
	v_pk_fma_f32 v[4:5], v[4:5], v[6:7], v[8:9]
	v_pk_mul_f32 v[2:3], v[4:5], v[2:3]
	v_sub_f32_e32 v2, v2, v3
	v_add_f32_e32 v127, v10, v2
	s_cmp_ge_i32 s10, s9
	s_barrier
	s_cbranch_scc1 .LBB212_5
; %bb.13:                               ;   in Loop: Header=BB212_6 Depth=1
	v_cmp_gt_i32_e32 vcc, s12, v95
	s_and_b64 s[22:23], s[2:3], vcc
	s_and_saveexec_b64 s[4:5], s[22:23]
	s_cbranch_execz .LBB212_15
; %bb.14:                               ;   in Loop: Header=BB212_6 Depth=1
	v_add_u32_e32 v2, v56, v95
	v_mad_i64_i32 v[2:3], s[22:23], v2, 36, v[54:55]
	global_load_dword v2, v[2:3], off offset:4
	s_waitcnt vmcnt(0)
	ds_write_b32 v77, v2
.LBB212_15:                             ;   in Loop: Header=BB212_6 Depth=1
	s_or_b64 exec, exec, s[4:5]
	s_and_saveexec_b64 s[4:5], s[0:1]
	s_cbranch_execz .LBB212_4
; %bb.16:                               ;   in Loop: Header=BB212_6 Depth=1
	v_add_u32_e32 v2, 4, v67
	v_cmp_gt_i32_e32 vcc, s12, v2
	s_and_b64 s[22:23], s[2:3], vcc
	s_and_b64 exec, exec, s[22:23]
	s_cbranch_execz .LBB212_4
; %bb.17:                               ;   in Loop: Header=BB212_6 Depth=1
	v_ashrrev_i32_e32 v2, 31, v67
	v_add_co_u32_e32 v3, vcc, v56, v67
	v_addc_co_u32_e32 v4, vcc, v1, v2, vcc
	v_mad_u64_u32 v[2:3], s[22:23], v3, 36, s[6:7]
	v_mad_i32_i24 v3, v4, 36, v3
	global_load_dword v2, v[2:3], off
	s_waitcnt vmcnt(0)
	ds_write_b32 v79, v2
	s_branch .LBB212_4
.LBB212_18:
	v_mov_b32_e32 v1, 0
	v_mov_b32_e32 v2, 0
	;; [unrolled: 1-line block ×3, first 2 shown]
	s_mul_i32 s0, s14, s11
	s_waitcnt vmcnt(0)
	v_cmp_gt_i32_e32 vcc, s0, v65
	s_and_saveexec_b64 s[0:1], vcc
	s_cbranch_execnz .LBB212_21
.LBB212_19:
	s_endpgm
.LBB212_20:
	v_cvt_f16_f32_e32 v5, v100
	v_cvt_f16_f32_e32 v2, v101
	;; [unrolled: 1-line block ×4, first 2 shown]
	s_mul_i32 s0, s14, s11
	v_cmp_gt_i32_e32 vcc, s0, v65
	s_and_saveexec_b64 s[0:1], vcc
	s_cbranch_execz .LBB212_19
.LBB212_21:
	v_and_b32_e32 v0, 0x3ff, v0
	v_add_u32_e32 v4, s15, v0
	v_mul_lo_u32 v0, v65, s13
	v_cmp_gt_u32_e32 vcc, s13, v4
	s_and_saveexec_b64 s[0:1], vcc
	s_cbranch_execz .LBB212_23
; %bb.22:
	v_add_u32_e32 v6, v0, v4
	v_mov_b32_e32 v7, 0
	v_lshlrev_b64 v[6:7], 1, v[6:7]
	v_mov_b32_e32 v8, s21
	v_add_co_u32_e32 v6, vcc, s20, v6
	v_addc_co_u32_e32 v7, vcc, v8, v7, vcc
	global_store_short v[6:7], v5, off
.LBB212_23:
	s_or_b64 exec, exec, s[0:1]
	v_add_u32_e32 v5, 32, v4
	v_cmp_gt_u32_e32 vcc, s13, v5
	s_and_saveexec_b64 s[0:1], vcc
	s_cbranch_execz .LBB212_25
; %bb.24:
	v_add_u32_e32 v6, v0, v5
	v_mov_b32_e32 v7, 0
	v_lshlrev_b64 v[6:7], 1, v[6:7]
	v_mov_b32_e32 v5, s21
	v_add_co_u32_e32 v6, vcc, s20, v6
	v_addc_co_u32_e32 v7, vcc, v5, v7, vcc
	global_store_short v[6:7], v2, off
.LBB212_25:
	s_or_b64 exec, exec, s[0:1]
	v_add_u32_e32 v2, 64, v4
	;; [unrolled: 14-line block ×3, first 2 shown]
	v_cmp_gt_u32_e32 vcc, s13, v1
	s_and_b64 exec, exec, vcc
	s_cbranch_execz .LBB212_19
; %bb.28:
	v_add_u32_e32 v0, v0, v1
	v_mov_b32_e32 v1, 0
	v_lshlrev_b64 v[0:1], 1, v[0:1]
	v_mov_b32_e32 v2, s21
	v_add_co_u32_e32 v0, vcc, s20, v0
	v_addc_co_u32_e32 v1, vcc, v2, v1, vcc
	global_store_short v[0:1], v3, off
	s_endpgm
	.section	.rodata,"a",@progbits
	.p2align	6, 0x0
	.amdhsa_kernel _ZL8moe_q4_KIN3c104HalfELb1EEvPKvS3_PT_PKiS7_S7_iiiiiii
		.amdhsa_group_segment_fixed_size 20688
		.amdhsa_private_segment_fixed_size 0
		.amdhsa_kernarg_size 76
		.amdhsa_user_sgpr_count 6
		.amdhsa_user_sgpr_private_segment_buffer 1
		.amdhsa_user_sgpr_dispatch_ptr 0
		.amdhsa_user_sgpr_queue_ptr 0
		.amdhsa_user_sgpr_kernarg_segment_ptr 1
		.amdhsa_user_sgpr_dispatch_id 0
		.amdhsa_user_sgpr_flat_scratch_init 0
		.amdhsa_user_sgpr_kernarg_preload_length 0
		.amdhsa_user_sgpr_kernarg_preload_offset 0
		.amdhsa_user_sgpr_private_segment_size 0
		.amdhsa_uses_dynamic_stack 0
		.amdhsa_system_sgpr_private_segment_wavefront_offset 0
		.amdhsa_system_sgpr_workgroup_id_x 1
		.amdhsa_system_sgpr_workgroup_id_y 1
		.amdhsa_system_sgpr_workgroup_id_z 0
		.amdhsa_system_sgpr_workgroup_info 0
		.amdhsa_system_vgpr_workitem_id 1
		.amdhsa_next_free_vgpr 154
		.amdhsa_next_free_sgpr 28
		.amdhsa_accum_offset 156
		.amdhsa_reserve_vcc 1
		.amdhsa_reserve_flat_scratch 0
		.amdhsa_float_round_mode_32 0
		.amdhsa_float_round_mode_16_64 0
		.amdhsa_float_denorm_mode_32 3
		.amdhsa_float_denorm_mode_16_64 3
		.amdhsa_dx10_clamp 1
		.amdhsa_ieee_mode 1
		.amdhsa_fp16_overflow 0
		.amdhsa_tg_split 0
		.amdhsa_exception_fp_ieee_invalid_op 0
		.amdhsa_exception_fp_denorm_src 0
		.amdhsa_exception_fp_ieee_div_zero 0
		.amdhsa_exception_fp_ieee_overflow 0
		.amdhsa_exception_fp_ieee_underflow 0
		.amdhsa_exception_fp_ieee_inexact 0
		.amdhsa_exception_int_div_zero 0
	.end_amdhsa_kernel
	.section	.text._ZL8moe_q4_KIN3c104HalfELb1EEvPKvS3_PT_PKiS7_S7_iiiiiii,"axG",@progbits,_ZL8moe_q4_KIN3c104HalfELb1EEvPKvS3_PT_PKiS7_S7_iiiiiii,comdat
.Lfunc_end212:
	.size	_ZL8moe_q4_KIN3c104HalfELb1EEvPKvS3_PT_PKiS7_S7_iiiiiii, .Lfunc_end212-_ZL8moe_q4_KIN3c104HalfELb1EEvPKvS3_PT_PKiS7_S7_iiiiiii
                                        ; -- End function
	.section	.AMDGPU.csdata,"",@progbits
; Kernel info:
; codeLenInByte = 10740
; NumSgprs: 32
; NumVgprs: 154
; NumAgprs: 0
; TotalNumVgprs: 154
; ScratchSize: 0
; MemoryBound: 0
; FloatMode: 240
; IeeeMode: 1
; LDSByteSize: 20688 bytes/workgroup (compile time only)
; SGPRBlocks: 3
; VGPRBlocks: 19
; NumSGPRsForWavesPerEU: 32
; NumVGPRsForWavesPerEU: 154
; AccumOffset: 156
; Occupancy: 3
; WaveLimiterHint : 1
; COMPUTE_PGM_RSRC2:SCRATCH_EN: 0
; COMPUTE_PGM_RSRC2:USER_SGPR: 6
; COMPUTE_PGM_RSRC2:TRAP_HANDLER: 0
; COMPUTE_PGM_RSRC2:TGID_X_EN: 1
; COMPUTE_PGM_RSRC2:TGID_Y_EN: 1
; COMPUTE_PGM_RSRC2:TGID_Z_EN: 0
; COMPUTE_PGM_RSRC2:TIDIG_COMP_CNT: 1
; COMPUTE_PGM_RSRC3_GFX90A:ACCUM_OFFSET: 38
; COMPUTE_PGM_RSRC3_GFX90A:TG_SPLIT: 0
	.section	.text._ZL8moe_q5_KIN3c104HalfELb0EEvPKvS3_PT_PKiS7_S7_iiiiiii,"axG",@progbits,_ZL8moe_q5_KIN3c104HalfELb0EEvPKvS3_PT_PKiS7_S7_iiiiiii,comdat
	.globl	_ZL8moe_q5_KIN3c104HalfELb0EEvPKvS3_PT_PKiS7_S7_iiiiiii ; -- Begin function _ZL8moe_q5_KIN3c104HalfELb0EEvPKvS3_PT_PKiS7_S7_iiiiiii
	.p2align	8
	.type	_ZL8moe_q5_KIN3c104HalfELb0EEvPKvS3_PT_PKiS7_S7_iiiiiii,@function
_ZL8moe_q5_KIN3c104HalfELb0EEvPKvS3_PT_PKiS7_S7_iiiiiii: ; @_ZL8moe_q5_KIN3c104HalfELb0EEvPKvS3_PT_PKiS7_S7_iiiiiii
; %bb.0:
	s_load_dwordx4 s[0:3], s[4:5], 0x18
	s_mov_b32 s8, s7
	s_mov_b32 s9, 0
	s_lshl_b64 s[10:11], s[8:9], 2
	s_waitcnt lgkmcnt(0)
	s_add_u32 s2, s2, s10
	s_addc_u32 s3, s3, s11
	s_load_dword s2, s[2:3], 0x0
	s_waitcnt lgkmcnt(0)
	s_cmpk_gt_u32 s2, 0xff
	s_cbranch_scc1 .LBB213_19
; %bb.1:
	s_load_dwordx2 s[10:11], s[4:5], 0x28
	s_lshl_b32 s3, s8, 3
	s_waitcnt lgkmcnt(0)
	s_load_dword s7, s[10:11], 0x0
	s_waitcnt lgkmcnt(0)
	s_cmp_gt_u32 s3, s7
	s_cbranch_scc1 .LBB213_19
; %bb.2:
	v_bfe_u32 v4, v0, 10, 10
	v_add_u32_e32 v2, s3, v4
	v_mov_b32_e32 v3, 0
	v_lshlrev_b64 v[6:7], 2, v[2:3]
	v_mov_b32_e32 v1, s1
	v_add_co_u32_e32 v6, vcc, s0, v6
	v_addc_co_u32_e32 v7, vcc, v1, v7, vcc
	global_load_dword v99, v[6:7], off
	s_load_dwordx2 s[18:19], s[4:5], 0x30
	s_load_dwordx2 s[16:17], s[4:5], 0x10
	s_load_dwordx4 s[8:11], s[4:5], 0x3c
	s_lshl_b32 s24, s6, 7
	s_mov_b32 s20, 0
	s_waitcnt lgkmcnt(0)
	s_cmpk_lt_i32 s19, 0x100
	s_cbranch_scc1 .LBB213_18
; %bb.3:
	s_ashr_i32 s0, s19, 31
	s_lshr_b32 s0, s0, 24
	s_add_i32 s0, s19, s0
	s_ashr_i32 s25, s0, 8
	s_ashr_i32 s0, s9, 31
	s_lshr_b32 s0, s0, 27
	v_and_b32_e32 v112, 0x3ff, v0
	s_add_i32 s0, s9, s0
	v_lshlrev_b32_e32 v1, 1, v112
	v_and_b32_e32 v6, 7, v112
	s_ashr_i32 s9, s0, 5
	v_and_or_b32 v1, v1, 48, v6
	v_mul_u32_u24_e32 v7, 0x41, v4
	s_lshl_b32 s0, s25, 3
	v_add_lshl_u32 v116, v1, v7, 2
	v_mov_b32_e32 v1, s0
	v_mad_i32_i24 v10, s25, v4, v1
	v_add_u32_e32 v11, s0, v10
	v_add_u32_e32 v12, s0, v11
	;; [unrolled: 1-line block ×6, first 2 shown]
	v_lshlrev_b32_e32 v1, 5, v4
	v_add_u32_e32 v17, s0, v16
	v_add_u32_e32 v7, v1, v112
	v_and_b32_e32 v24, 3, v112
	v_add_u32_e32 v18, s0, v17
	v_and_b32_e32 v22, 0x7f, v7
	v_lshrrev_b32_e32 v23, 3, v7
	v_add_u32_e32 v25, 0xfe, v24
	v_cmp_gt_u32_e32 vcc, 2, v24
	s_mul_i32 s18, s2, s18
	v_add_u32_e32 v19, s0, v18
	v_mul_i32_i24_e32 v89, s25, v22
	v_and_b32_e32 v23, 12, v23
	v_lshlrev_b32_e32 v22, 2, v22
	s_mov_b32 s2, 0x8e40
	v_cndmask_b32_e32 v25, v25, v24, vcc
	v_lshrrev_b32_e32 v3, 2, v112
	v_add_u32_e32 v20, s0, v19
	v_add3_u32 v132, v22, v23, s2
	v_lshlrev_b32_e32 v22, 3, v4
	v_and_b32_e32 v25, 0xff, v25
	v_cmp_ne_u32_e32 vcc, 0, v24
	v_and_b32_e32 v113, 6, v3
	v_add_u32_e32 v21, s0, v20
	v_add_u32_e32 v23, v3, v22
	v_addc_co_u32_e32 v92, vcc, 0, v25, vcc
	v_add_u16_e32 v3, v3, v22
	s_load_dwordx4 s[12:15], s[4:5], 0x0
	v_add_u32_e32 v77, s0, v21
	v_cmp_lt_u32_e32 vcc, 1, v24
	v_and_b32_e32 v23, 0x7f, v23
	v_lshlrev_b32_e32 v24, 2, v24
	v_lshrrev_b16_e32 v3, 1, v3
	v_add_u32_e32 v81, s0, v77
	v_lshlrev_b32_e32 v134, 1, v25
	v_lshl_or_b32 v25, v23, 4, v24
	v_and_b32_e32 v3, 60, v3
	s_mov_b32 s0, 0x8200
	v_add3_u32 v135, v25, v3, s0
	v_xor_b32_e32 v3, 64, v23
	v_lshlrev_b32_e32 v2, 2, v112
	v_mul_i32_i24_e32 v95, s25, v3
	v_lshl_or_b32 v22, v3, 4, v24
	v_lshrrev_b32_e32 v3, 1, v3
	v_and_b32_e32 v9, 28, v2
	v_and_b32_e32 v3, 60, v3
	v_add3_u32 v136, v22, v3, s0
	s_waitcnt lgkmcnt(0)
	v_mov_b32_e32 v3, s15
	v_add_co_u32_e64 v22, s[0:1], s14, v9
	v_mul_i32_i24_e32 v93, s25, v23
	v_and_or_b32 v1, v112, 31, v1
	v_addc_co_u32_e64 v23, s[0:1], 0, v3, s[0:1]
	v_mov_b32_e32 v3, 0x8a40
	s_movk_i32 s3, 0xffe4
	v_lshl_add_u32 v137, v1, 2, v3
	v_mad_i32_i24 v1, v4, s3, v7
	v_mov_b32_e32 v7, 0x9050
	v_lshrrev_b32_e32 v139, 3, v112
	v_lshrrev_b32_e32 v5, 5, v112
	v_lshl_add_u32 v138, v1, 2, v7
	v_lshl_add_u32 v140, v4, 7, v3
	v_add_u32_e32 v1, v139, v2
	v_mov_b32_e32 v3, 0x8200
	v_lshl_add_u32 v142, v1, 2, v3
	v_lshlrev_b32_e32 v1, 2, v5
	v_add3_u32 v144, v1, v2, s2
	v_add_u32_e32 v1, 32, v112
	v_lshrrev_b32_e32 v145, 3, v1
	v_lshl_add_u32 v1, v1, 2, v145
	v_lshl_add_u32 v146, v1, 2, v3
	v_and_b32_e32 v1, 60, v145
	v_add3_u32 v147, v2, v1, s2
	v_add_u32_e32 v1, 64, v112
	v_lshrrev_b32_e32 v7, 3, v1
	v_lshl_add_u32 v1, v1, 2, v7
	s_abs_i32 s4, s11
	v_lshl_add_u32 v148, v1, 2, v3
	v_and_b32_e32 v1, 60, v7
	v_cvt_f32_u32_e32 v24, s4
	v_add3_u32 v149, v2, v1, s2
	v_add_u32_e32 v1, 0x60, v112
	v_lshrrev_b32_e32 v7, 3, v1
	v_lshl_add_u32 v1, v1, 2, v7
	v_lshl_add_u32 v150, v1, 2, v3
	v_rcp_iflag_f32_e32 v3, v24
	v_and_b32_e32 v1, 60, v7
	v_and_b32_e32 v8, 0x7c, v2
	;; [unrolled: 1-line block ×3, first 2 shown]
	v_add3_u32 v151, v2, v1, s2
	v_mul_f32_e32 v2, 0x4f7ffffe, v3
	v_cvt_u32_f32_e32 v2, v2
	s_sub_i32 s2, 0, s4
	s_waitcnt vmcnt(0)
	v_sub_u32_e32 v3, 0, v99
	v_max_i32_e32 v3, v99, v3
	v_mul_lo_u32 v7, s2, v2
	v_mul_hi_u32 v7, v2, v7
	v_add_u32_e32 v2, v2, v7
	v_mul_hi_u32 v2, v3, v2
	v_mul_lo_u32 v7, v2, s4
	v_sub_u32_e32 v3, v3, v7
	v_add_u32_e32 v7, 1, v2
	v_cmp_le_u32_e64 s[2:3], s4, v3
	v_cndmask_b32_e64 v2, v2, v7, s[2:3]
	v_subrev_u32_e32 v7, s4, v3
	v_cndmask_b32_e64 v3, v3, v7, s[2:3]
	v_xor_b32_e32 v1, s11, v99
	v_add_u32_e32 v7, 1, v2
	v_cmp_le_u32_e64 s[2:3], s4, v3
	s_mul_i32 s21, s25, s24
	v_ashrrev_i32_e32 v1, 31, v1
	v_cndmask_b32_e64 v2, v2, v7, s[2:3]
	v_xor_b32_e32 v2, v2, v1
	s_mul_hi_i32 s23, s21, 0xb0
	s_mul_i32 s22, s21, 0xb0
	v_sub_u32_e32 v1, v2, v1
	s_movk_i32 s27, 0xb0
	v_pk_mov_b32 v[2:3], s[22:23], s[22:23] op_sel:[0,1]
	v_mul_i32_i24_e32 v6, s25, v4
	v_mad_u64_u32 v[2:3], s[4:5], v5, s27, v[2:3]
	v_mad_u64_u32 v[6:7], s[4:5], v6, s27, v[2:3]
	v_add_co_u32_e64 v5, s[4:5], v6, v9
	v_addc_co_u32_e64 v25, s[4:5], 0, v7, s[4:5]
	v_mov_b32_e32 v97, s13
	v_add_co_u32_e64 v5, s[4:5], s12, v5
	v_addc_co_u32_e64 v25, s[4:5], v25, v97, s[4:5]
	v_cndmask_b32_e32 v133, 0, v26, vcc
	v_add_co_u32_e64 v26, s[4:5], 16, v5
	v_addc_co_u32_e64 v25, s[4:5], 0, v25, s[4:5]
	v_add_co_u32_e64 v5, s[4:5], v6, v8
	v_addc_co_u32_e64 v6, s[4:5], 0, v7, s[4:5]
	v_add_co_u32_e64 v5, s[4:5], s12, v5
	v_addc_co_u32_e64 v6, s[4:5], v6, v97, s[4:5]
	v_add_co_u32_e64 v28, s[4:5], 48, v5
	v_addc_co_u32_e64 v27, s[4:5], 0, v6, s[4:5]
	v_mad_u64_u32 v[6:7], s[4:5], v10, s27, v[2:3]
	v_add_co_u32_e64 v5, s[4:5], v6, v9
	v_addc_co_u32_e64 v10, s[4:5], 0, v7, s[4:5]
	v_add_co_u32_e64 v5, s[4:5], s12, v5
	v_addc_co_u32_e64 v10, s[4:5], v10, v97, s[4:5]
	v_add_co_u32_e64 v30, s[4:5], 16, v5
	v_addc_co_u32_e64 v29, s[4:5], 0, v10, s[4:5]
	v_add_co_u32_e64 v5, s[4:5], v6, v8
	v_addc_co_u32_e64 v6, s[4:5], 0, v7, s[4:5]
	v_add_co_u32_e64 v5, s[4:5], s12, v5
	v_addc_co_u32_e64 v6, s[4:5], v6, v97, s[4:5]
	v_add_co_u32_e64 v32, s[4:5], 48, v5
	v_addc_co_u32_e64 v31, s[4:5], 0, v6, s[4:5]
	v_mad_u64_u32 v[6:7], s[4:5], v11, s27, v[2:3]
	v_add_co_u32_e64 v5, s[4:5], v6, v9
	v_addc_co_u32_e64 v10, s[4:5], 0, v7, s[4:5]
	v_add_co_u32_e64 v5, s[4:5], s12, v5
	v_addc_co_u32_e64 v10, s[4:5], v10, v97, s[4:5]
	;; [unrolled: 13-line block ×14, first 2 shown]
	v_add_co_u32_e64 v82, s[4:5], 16, v5
	v_addc_co_u32_e64 v81, s[4:5], 0, v10, s[4:5]
	v_add_co_u32_e64 v5, s[4:5], v6, v8
	v_addc_co_u32_e64 v6, s[4:5], 0, v7, s[4:5]
	;; [unrolled: 2-line block ×4, first 2 shown]
	s_mul_i32 s4, s25, 0x78
	v_mov_b32_e32 v5, s4
	v_lshlrev_b32_e32 v141, 4, v4
	v_mad_i32_i24 v4, s25, v4, v5
	v_mad_u64_u32 v[2:3], s[4:5], v4, s27, v[2:3]
	v_add_co_u32_e64 v4, s[4:5], v2, v9
	v_addc_co_u32_e64 v5, s[4:5], 0, v3, s[4:5]
	v_add_co_u32_e64 v4, s[4:5], s12, v4
	v_addc_co_u32_e64 v5, s[4:5], v5, v97, s[4:5]
	;; [unrolled: 2-line block ×4, first 2 shown]
	v_add_co_u32_e64 v2, s[4:5], s12, v2
	s_ashr_i32 s26, s18, 31
	v_addc_co_u32_e64 v3, s[4:5], v3, v97, s[4:5]
	s_add_u32 s6, s14, 0x90
	v_add_co_u32_e64 v88, s[4:5], 48, v2
	s_addc_u32 s7, s15, 0
	v_addc_co_u32_e64 v87, s[4:5], 0, v3, s[4:5]
	s_add_u32 s4, s12, s22
	s_addc_u32 s5, s13, s23
	v_pk_mov_b32 v[2:3], s[4:5], s[4:5] op_sel:[0,1]
	v_mad_u64_u32 v[90:91], s[4:5], v89, s27, v[2:3]
	v_mad_u64_u32 v[2:3], s[4:5], v93, s27, 0
	v_mov_b32_e32 v4, 0xb0
	v_mad_i64_i32 v[2:3], s[4:5], s21, v4, v[2:3]
	v_lshlrev_b32_e32 v5, 2, v92
	v_add_co_u32_e64 v6, s[4:5], v2, v5
	v_addc_co_u32_e64 v7, s[4:5], 0, v3, s[4:5]
	v_add_co_u32_e64 v6, s[4:5], s12, v6
	v_addc_co_u32_e64 v7, s[4:5], v7, v97, s[4:5]
	v_add_co_u32_e64 v92, s[4:5], 4, v6
	v_cndmask_b32_e64 v6, 0, 1, vcc
	v_lshlrev_b32_e32 v6, 2, v6
	v_or_b32_e32 v2, v2, v6
	v_add_co_u32_e32 v2, vcc, s12, v2
	v_addc_co_u32_e32 v3, vcc, v3, v97, vcc
	v_add_co_u32_e32 v94, vcc, 4, v2
	v_addc_co_u32_e64 v89, s[4:5], 0, v7, s[4:5]
	v_addc_co_u32_e32 v93, vcc, 0, v3, vcc
	v_mad_u64_u32 v[2:3], s[4:5], v95, s27, 0
	v_mad_i64_i32 v[2:3], s[4:5], s21, v4, v[2:3]
	v_add_co_u32_e32 v4, vcc, v2, v5
	v_addc_co_u32_e32 v5, vcc, 0, v3, vcc
	v_add_co_u32_e32 v4, vcc, s12, v4
	v_addc_co_u32_e32 v5, vcc, v5, v97, vcc
	v_add_co_u32_e32 v96, vcc, 4, v4
	v_addc_co_u32_e32 v95, vcc, 0, v5, vcc
	v_or_b32_e32 v2, v2, v6
	v_add_co_u32_e32 v2, vcc, s12, v2
	v_addc_co_u32_e32 v3, vcc, v3, v97, vcc
	v_mul_lo_u32 v24, v1, s9
	v_add_co_u32_e32 v98, vcc, 4, v2
	s_mov_b32 s21, s20
	v_mov_b32_e32 v115, 0
	v_or_b32_e32 v114, 1, v113
	v_add_u32_e32 v117, 0x820, v116
	v_add_u32_e32 v118, 0x1040, v116
	;; [unrolled: 1-line block ×15, first 2 shown]
	v_cmp_gt_u32_e64 s[0:1], 4, v112
	v_mul_u32_u24_e32 v143, 0x104, v112
	v_cmp_gt_i32_e64 s[2:3], s8, v1
	v_ashrrev_i32_e32 v1, 31, v24
	v_addc_co_u32_e32 v97, vcc, 0, v3, vcc
	s_movk_i32 s12, 0x80
	v_pk_mov_b32 v[100:101], s[20:21], s[20:21] op_sel:[0,1]
	s_mov_b32 s13, 0x10101010
	s_mov_b32 s20, 0x30303030
	v_mov_b32_e32 v152, 0
	s_branch .LBB213_6
.LBB213_4:                              ;   in Loop: Header=BB213_6 Depth=1
	s_or_b64 exec, exec, s[4:5]
	s_waitcnt lgkmcnt(0)
	s_barrier
	ds_read_b128 v[18:21], v140
	ds_read_b128 v[14:17], v140 offset:16
	ds_read_b128 v[2:5], v141 offset:36944
	ds_read2_b32 v[102:103], v143 offset0:32 offset1:33
	ds_read_b128 v[10:13], v140 offset:32
	ds_read_b128 v[6:9], v140 offset:48
	ds_read_b32 v153, v144
	ds_read2_b32 v[104:105], v143 offset0:34 offset1:35
	v_mov_b32_e32 v161, 0
	s_waitcnt lgkmcnt(4)
	v_dot4c_i32_i8_e32 v161, v102, v18
	v_dot4c_i32_i8_e32 v161, v103, v19
	ds_read2_b32 v[106:107], v143 offset0:36 offset1:37
	ds_read2_b32 v[108:109], v143 offset0:38 offset1:39
	;; [unrolled: 1-line block ×3, first 2 shown]
	s_waitcnt lgkmcnt(3)
	v_dot4c_i32_i8_e32 v161, v104, v20
	v_dot4c_i32_i8_e32 v161, v105, v21
	ds_read2_b32 v[104:105], v143 offset0:42 offset1:43
	v_mov_b32_e32 v172, 0
	s_waitcnt lgkmcnt(3)
	v_dot4c_i32_i8_e32 v161, v106, v14
	s_waitcnt lgkmcnt(1)
	v_dot4c_i32_i8_e32 v172, v110, v10
	v_dot4c_i32_i8_e32 v161, v107, v15
	v_dot4c_i32_i8_e32 v172, v111, v11
	v_dot4c_i32_i8_e32 v161, v108, v16
	s_waitcnt lgkmcnt(0)
	v_dot4c_i32_i8_e32 v172, v104, v12
	v_add_u32_e32 v104, 0x2100, v143
	ds_read2_b32 v[102:103], v142 offset0:1 offset1:3
	v_dot4c_i32_i8_e32 v161, v109, v17
	ds_read2_b32 v[106:107], v143 offset0:44 offset1:45
	ds_read2_b32 v[108:109], v143 offset0:46 offset1:47
	;; [unrolled: 1-line block ×3, first 2 shown]
	v_dot4c_i32_i8_e32 v172, v105, v13
	ds_read2_b32 v[154:155], v143 offset0:58 offset1:59
	ds_read2_b32 v[156:157], v143 offset0:60 offset1:61
	;; [unrolled: 1-line block ×3, first 2 shown]
	ds_read2_b32 v[104:105], v104 offset1:1
	v_mov_b32_e32 v168, 0
	v_cvt_f32_f16_e32 v160, v153
	v_cvt_f32_f16_sdwa v162, v153 dst_sel:DWORD dst_unused:UNUSED_PAD src0_sel:WORD_1
	ds_read_b32 v173, v147 offset:128
	ds_read_b32 v174, v149 offset:256
	;; [unrolled: 1-line block ×3, first 2 shown]
	s_waitcnt lgkmcnt(3)
	v_dot4c_i32_i8_e32 v168, v104, v18
	v_add_u32_e32 v104, 0x2108, v143
	v_dot4c_i32_i8_e32 v168, v105, v19
	ds_read2_b32 v[104:105], v104 offset1:1
	v_dot4c_i32_i8_e32 v172, v106, v6
	v_dot4c_i32_i8_e32 v172, v107, v7
	;; [unrolled: 1-line block ×3, first 2 shown]
	v_add_u32_e32 v106, 0x2110, v143
	v_dot4c_i32_i8_e32 v172, v109, v9
	v_add_u32_e32 v108, 0x2118, v143
	v_add_u32_e32 v109, 0x2120, v143
	ds_read2_b32 v[106:107], v106 offset1:1
	ds_read2_b32 v[164:165], v108 offset1:1
	;; [unrolled: 1-line block ×3, first 2 shown]
	s_waitcnt lgkmcnt(3)
	v_dot4c_i32_i8_e32 v168, v104, v20
	ds_read2_b32 v[108:109], v146 offset0:1 offset1:3
	v_dot4c_i32_i8_e32 v168, v105, v21
	s_waitcnt lgkmcnt(3)
	v_dot4c_i32_i8_e32 v168, v106, v14
	v_dot4c_i32_i8_e32 v168, v107, v15
	s_waitcnt lgkmcnt(2)
	v_dot4c_i32_i8_e32 v168, v164, v16
	v_dot4c_i32_i8_e32 v168, v165, v17
	s_waitcnt lgkmcnt(0)
	v_and_b32_e32 v104, 0xff, v108
	v_add_u32_e32 v106, 0x2130, v143
	v_add_u32_e32 v164, 0x2138, v143
	v_mul_lo_u32 v104, v168, v104
	v_cvt_f32_i32_e32 v176, v104
	v_add_u32_e32 v104, 0x2128, v143
	ds_read2_b32 v[104:105], v104 offset1:1
	v_mov_b32_e32 v168, 0
	v_dot4c_i32_i8_e32 v168, v166, v10
	v_add_u32_e32 v166, 0x4180, v143
	v_dot4c_i32_i8_e32 v168, v167, v11
	ds_read2_b32 v[106:107], v106 offset1:1
	ds_read2_b32 v[164:165], v164 offset1:1
	;; [unrolled: 1-line block ×3, first 2 shown]
	s_waitcnt lgkmcnt(3)
	v_dot4c_i32_i8_e32 v168, v104, v12
	v_dot4c_i32_i8_e32 v168, v105, v13
	s_waitcnt lgkmcnt(2)
	v_dot4c_i32_i8_e32 v168, v106, v6
	v_dot4c_i32_i8_e32 v168, v107, v7
	;; [unrolled: 3-line block ×3, first 2 shown]
	v_bfe_u32 v104, v108, 8, 8
	v_mov_b32_e32 v170, 0
	s_waitcnt lgkmcnt(0)
	v_dot4c_i32_i8_e32 v170, v166, v18
	v_mul_lo_u32 v104, v168, v104
	v_cvt_f32_i32_e32 v178, v104
	v_add_u32_e32 v104, 0x4188, v143
	ds_read2_b32 v[104:105], v104 offset1:1
	v_add_u32_e32 v106, 0x4190, v143
	v_add_u32_e32 v168, 0x41a0, v143
	v_dot4c_i32_i8_e32 v170, v167, v19
	v_add_u32_e32 v107, 0x4198, v143
	ds_read2_b32 v[164:165], v106 offset1:1
	ds_read2_b32 v[166:167], v107 offset1:1
	;; [unrolled: 1-line block ×3, first 2 shown]
	s_waitcnt lgkmcnt(3)
	v_dot4c_i32_i8_e32 v170, v104, v20
	ds_read2_b32 v[106:107], v148 offset0:1 offset1:3
	v_dot4c_i32_i8_e32 v170, v105, v21
	s_waitcnt lgkmcnt(3)
	v_dot4c_i32_i8_e32 v170, v164, v14
	v_dot4c_i32_i8_e32 v170, v165, v15
	s_waitcnt lgkmcnt(2)
	v_dot4c_i32_i8_e32 v170, v166, v16
	v_dot4c_i32_i8_e32 v170, v167, v17
	s_waitcnt lgkmcnt(0)
	v_and_b32_e32 v104, 0xff, v106
	v_add_u32_e32 v164, 0x41b0, v143
	v_add_u32_e32 v166, 0x41b8, v143
	v_mul_lo_u32 v104, v170, v104
	v_cvt_f32_i32_e32 v181, v104
	v_add_u32_e32 v104, 0x41a8, v143
	ds_read2_b32 v[104:105], v104 offset1:1
	v_mov_b32_e32 v170, 0
	v_dot4c_i32_i8_e32 v170, v168, v10
	v_add_u32_e32 v168, 0x6200, v143
	v_dot4c_i32_i8_e32 v170, v169, v11
	ds_read2_b32 v[164:165], v164 offset1:1
	ds_read2_b32 v[166:167], v166 offset1:1
	;; [unrolled: 1-line block ×3, first 2 shown]
	s_waitcnt lgkmcnt(3)
	v_dot4c_i32_i8_e32 v170, v104, v12
	v_dot4c_i32_i8_e32 v170, v105, v13
	s_waitcnt lgkmcnt(2)
	v_dot4c_i32_i8_e32 v170, v164, v6
	v_dot4c_i32_i8_e32 v170, v165, v7
	s_waitcnt lgkmcnt(1)
	v_dot4c_i32_i8_e32 v170, v166, v8
	v_dot4c_i32_i8_e32 v170, v167, v9
	v_bfe_u32 v104, v106, 8, 8
	v_add_u32_e32 v105, 0x6218, v143
	v_mov_b32_e32 v190, 0
	v_mul_lo_u32 v104, v170, v104
	v_mov_b32_e32 v170, 0
	s_waitcnt lgkmcnt(0)
	v_dot4c_i32_i8_e32 v170, v168, v18
	v_add_u32_e32 v18, 0x6208, v143
	v_dot4c_i32_i8_e32 v170, v169, v19
	ds_read2_b32 v[18:19], v18 offset1:1
	v_cvt_f32_i32_e32 v183, v104
	v_add_u32_e32 v104, 0x6210, v143
	v_add_u32_e32 v168, 0x6220, v143
	ds_read2_b32 v[164:165], v104 offset1:1
	ds_read2_b32 v[166:167], v105 offset1:1
	;; [unrolled: 1-line block ×3, first 2 shown]
	s_waitcnt lgkmcnt(3)
	v_dot4c_i32_i8_e32 v170, v18, v20
	ds_read2_b32 v[104:105], v150 offset0:1 offset1:3
	v_dot4c_i32_i8_e32 v170, v19, v21
	s_waitcnt lgkmcnt(3)
	v_dot4c_i32_i8_e32 v170, v164, v14
	v_mov_b32_e32 v18, 0
	v_dot4c_i32_i8_e32 v170, v165, v15
	s_waitcnt lgkmcnt(1)
	v_dot4c_i32_i8_e32 v18, v168, v10
	v_add_u32_e32 v10, 0x6228, v143
	v_dot4c_i32_i8_e32 v170, v166, v16
	v_dot4c_i32_i8_e32 v18, v169, v11
	ds_read2_b32 v[10:11], v10 offset1:1
	v_dot4c_i32_i8_e32 v170, v167, v17
	s_waitcnt lgkmcnt(1)
	v_and_b32_e32 v14, 0xff, v104
	v_add_u32_e32 v16, 0x6238, v143
	v_add_u32_e32 v19, 0x2140, v143
	v_mul_lo_u32 v14, v170, v14
	v_cvt_f32_i32_e32 v186, v14
	v_add_u32_e32 v14, 0x6230, v143
	ds_read2_b32 v[14:15], v14 offset1:1
	ds_read2_b32 v[16:17], v16 offset1:1
	;; [unrolled: 1-line block ×3, first 2 shown]
	s_waitcnt lgkmcnt(3)
	v_dot4c_i32_i8_e32 v18, v10, v12
	v_dot4c_i32_i8_e32 v18, v11, v13
	s_waitcnt lgkmcnt(2)
	v_dot4c_i32_i8_e32 v18, v14, v6
	v_dot4c_i32_i8_e32 v18, v15, v7
	;; [unrolled: 3-line block ×3, first 2 shown]
	v_bfe_u32 v6, v104, 8, 8
	v_lshrrev_b32_e32 v163, 24, v102
	v_cvt_f32_ubyte0_e32 v177, v109
	v_mul_lo_u32 v6, v18, v6
	v_cvt_f32_i32_e32 v188, v6
	ds_read_b128 v[18:21], v140 offset:64
	ds_read_b128 v[14:17], v140 offset:80
	;; [unrolled: 1-line block ×4, first 2 shown]
	ds_read2_b32 v[166:167], v143 offset0:50 offset1:51
	s_waitcnt lgkmcnt(4)
	v_dot4c_i32_i8_e32 v190, v110, v18
	v_dot4c_i32_i8_e32 v190, v111, v19
	ds_read2_b32 v[110:111], v143 offset0:52 offset1:53
	ds_read2_b32 v[168:169], v143 offset0:54 offset1:55
	;; [unrolled: 1-line block ×3, first 2 shown]
	v_cvt_f32_ubyte0_e32 v182, v107
	s_waitcnt lgkmcnt(3)
	v_dot4c_i32_i8_e32 v190, v166, v20
	v_mov_b32_e32 v166, 0
	v_dot4c_i32_i8_e32 v190, v167, v21
	s_waitcnt lgkmcnt(0)
	v_dot4c_i32_i8_e32 v166, v170, v10
	v_dot4c_i32_i8_e32 v166, v171, v11
	v_dot4c_i32_i8_e32 v190, v110, v14
	v_dot4c_i32_i8_e32 v166, v154, v12
	v_dot4c_i32_i8_e32 v190, v111, v15
	v_dot4c_i32_i8_e32 v166, v155, v13
	v_dot4c_i32_i8_e32 v190, v168, v16
	v_dot4c_i32_i8_e32 v166, v156, v6
	v_dot4c_i32_i8_e32 v190, v169, v17
	v_dot4c_i32_i8_e32 v166, v157, v7
	v_cvt_f32_f16_e32 v155, v4
	v_cvt_f32_f16_sdwa v111, v4 dst_sel:DWORD dst_unused:UNUSED_PAD src0_sel:WORD_1
	v_and_b32_e32 v4, 0xff, v102
	v_bfe_u32 v156, v102, 16, 8
	v_dot4c_i32_i8_e32 v166, v158, v8
	v_mul_lo_u32 v4, v161, v4
	v_mul_lo_u32 v156, v190, v156
	v_dot4c_i32_i8_e32 v166, v159, v9
	v_cvt_f32_f16_e32 v154, v2
	v_cvt_f32_i32_e32 v159, v156
	v_cvt_f32_i32_e32 v158, v4
	v_bfe_u32 v102, v102, 8, 8
	v_mul_lo_u32 v102, v172, v102
	v_cvt_f32_f16_sdwa v110, v2 dst_sel:DWORD dst_unused:UNUSED_PAD src0_sel:WORD_1
	v_pk_fma_f32 v[158:159], v[154:155], v[158:159], 0 op_sel_hi:[1,1,0]
	v_mul_lo_u32 v154, v166, v163
	v_cvt_f32_f16_e32 v157, v5
	v_cvt_f32_f16_e32 v156, v3
	v_cvt_f32_i32_e32 v167, v154
	v_cvt_f32_i32_e32 v166, v102
	v_cvt_f32_f16_sdwa v5, v5 dst_sel:DWORD dst_unused:UNUSED_PAD src0_sel:WORD_1
	v_cvt_f32_f16_sdwa v4, v3 dst_sel:DWORD dst_unused:UNUSED_PAD src0_sel:WORD_1
	v_cvt_f32_ubyte2_e32 v169, v103
	v_cvt_f32_ubyte0_e32 v168, v103
	v_cvt_f32_ubyte0_e32 v187, v105
	v_pk_fma_f32 v[168:169], v[110:111], v[168:169], 0 op_sel_hi:[1,1,0]
	v_pk_fma_f32 v[158:159], v[156:157], v[166:167], v[158:159]
	v_cvt_f32_ubyte3_e32 v167, v103
	v_cvt_f32_ubyte1_e32 v166, v103
	v_fma_mix_f32 v154, v2, v181, 0 op_sel_hi:[1,0,0]
	v_cvt_f32_ubyte1_e32 v189, v105
	v_pk_fma_f32 v[102:103], v[4:5], v[166:167], v[168:169]
	v_fma_mix_f32 v4, v2, v176, 0 op_sel_hi:[1,0,0]
	v_fma_mix_f32 v110, v2, v177, 0 op_sel:[1,0,0] op_sel_hi:[1,0,0]
	v_fma_mix_f32 v156, v2, v182, 0 op_sel:[1,0,0] op_sel_hi:[1,0,0]
	v_fma_mix_f32 v166, v3, v183, v154 op_sel_hi:[1,0,0]
	v_fma_mix_f32 v154, v2, v186, 0 op_sel_hi:[1,0,0]
	v_fma_mix_f32 v2, v2, v187, 0 op_sel:[1,0,0] op_sel_hi:[1,0,0]
	v_cvt_f32_ubyte1_e32 v179, v109
	v_cvt_f32_ubyte1_e32 v184, v107
	v_fma_mix_f32 v169, v3, v189, v2 op_sel:[1,0,0] op_sel_hi:[1,0,0]
	v_add_u32_e32 v2, 0x2148, v143
	v_fma_mix_f32 v4, v3, v178, v4 op_sel_hi:[1,0,0]
	v_fma_mix_f32 v110, v3, v179, v110 op_sel:[1,0,0] op_sel_hi:[1,0,0]
	v_fma_mix_f32 v167, v3, v184, v156 op_sel:[1,0,0] op_sel_hi:[1,0,0]
	v_fma_mix_f32 v168, v3, v188, v154 op_sel_hi:[1,0,0]
	ds_read2_b32 v[2:3], v2 offset1:1
	v_pk_mul_f32 v[102:103], v[102:103], v[162:163] op_sel_hi:[1,0]
	v_mov_b32_e32 v154, 0
	v_pk_fma_f32 v[102:103], v[158:159], v[160:161], v[102:103] op_sel_hi:[1,0,1] neg_lo:[0,0,1] neg_hi:[0,0,1]
	v_dot4c_i32_i8_e32 v154, v164, v18
	v_add_u32_e32 v156, 0x2150, v143
	v_add_u32_e32 v160, 0x2158, v143
	;; [unrolled: 1-line block ×3, first 2 shown]
	v_dot4c_i32_i8_e32 v154, v165, v19
	ds_read2_b32 v[158:159], v156 offset1:1
	ds_read2_b32 v[160:161], v160 offset1:1
	;; [unrolled: 1-line block ×3, first 2 shown]
	s_waitcnt lgkmcnt(3)
	v_dot4c_i32_i8_e32 v154, v2, v20
	v_dot4c_i32_i8_e32 v154, v3, v21
	s_waitcnt lgkmcnt(2)
	v_dot4c_i32_i8_e32 v154, v158, v14
	v_dot4c_i32_i8_e32 v154, v159, v15
	;; [unrolled: 3-line block ×3, first 2 shown]
	v_bfe_u32 v2, v108, 16, 8
	v_lshrrev_b32_e32 v175, 24, v108
	v_mov_b32_e32 v108, 0
	v_mul_lo_u32 v2, v154, v2
	v_add_u32_e32 v154, 0x2168, v143
	ds_read2_b32 v[158:159], v154 offset1:1
	s_waitcnt lgkmcnt(1)
	v_dot4c_i32_i8_e32 v108, v162, v10
	v_add_u32_e32 v156, 0x2170, v143
	v_add_u32_e32 v162, 0x2178, v143
	v_dot4c_i32_i8_e32 v108, v163, v11
	v_add_u32_e32 v154, 0x41c0, v143
	ds_read2_b32 v[160:161], v156 offset1:1
	ds_read2_b32 v[162:163], v162 offset1:1
	;; [unrolled: 1-line block ×3, first 2 shown]
	s_waitcnt lgkmcnt(3)
	v_dot4c_i32_i8_e32 v108, v158, v12
	v_dot4c_i32_i8_e32 v108, v159, v13
	s_waitcnt lgkmcnt(2)
	v_dot4c_i32_i8_e32 v108, v160, v6
	v_dot4c_i32_i8_e32 v108, v161, v7
	s_waitcnt lgkmcnt(1)
	v_dot4c_i32_i8_e32 v108, v162, v8
	v_cvt_f32_f16_sdwa v159, v173 dst_sel:DWORD dst_unused:UNUSED_PAD src0_sel:WORD_1
	v_dot4c_i32_i8_e32 v108, v163, v9
	v_cvt_f32_i32_e32 v2, v2
	v_cvt_f32_f16_e32 v158, v173
	v_mul_f32_e32 v110, v110, v159
	v_mul_lo_u32 v108, v108, v175
	v_cvt_f32_i32_e32 v108, v108
	v_cvt_f32_ubyte2_e32 v3, v109
	v_fma_mix_f32 v161, v4, v173, -v110 op_sel_hi:[0,1,0]
	v_mov_b32_e32 v110, v155
	v_cvt_f32_ubyte3_e32 v109, v109
	v_pk_fma_f32 v[2:3], v[110:111], v[2:3], 0 op_sel_hi:[1,1,0]
	v_mov_b32_e32 v4, v157
	v_pk_fma_f32 v[2:3], v[4:5], v[108:109], v[2:3]
	v_pk_mul_f32 v[108:109], v[2:3], v[158:159]
	v_mov_b32_e32 v109, v108
	v_mov_b32_e32 v160, v102
	v_pk_fma_f32 v[2:3], v[2:3], v[158:159], v[108:109] neg_lo:[1,0,0] neg_hi:[1,0,0]
	v_pk_add_f32 v[100:101], v[100:101], v[160:161]
	v_mov_b32_e32 v2, v103
	v_pk_add_f32 v[100:101], v[100:101], v[2:3]
	v_add_u32_e32 v2, 0x41c8, v143
	ds_read2_b32 v[2:3], v2 offset1:1
	v_mov_b32_e32 v156, 0
	s_waitcnt lgkmcnt(1)
	v_dot4c_i32_i8_e32 v156, v164, v18
	v_add_u32_e32 v102, 0x41d0, v143
	v_add_u32_e32 v108, 0x41d8, v143
	;; [unrolled: 1-line block ×3, first 2 shown]
	v_dot4c_i32_i8_e32 v156, v165, v19
	ds_read2_b32 v[102:103], v102 offset1:1
	ds_read2_b32 v[108:109], v108 offset1:1
	;; [unrolled: 1-line block ×3, first 2 shown]
	s_waitcnt lgkmcnt(3)
	v_dot4c_i32_i8_e32 v156, v2, v20
	v_dot4c_i32_i8_e32 v156, v3, v21
	s_waitcnt lgkmcnt(2)
	v_dot4c_i32_i8_e32 v156, v102, v14
	v_add_u32_e32 v102, 0x41e8, v143
	v_dot4c_i32_i8_e32 v156, v103, v15
	ds_read2_b32 v[102:103], v102 offset1:1
	s_waitcnt lgkmcnt(2)
	v_dot4c_i32_i8_e32 v156, v108, v16
	v_lshrrev_b32_e32 v180, 24, v106
	v_dot4c_i32_i8_e32 v156, v109, v17
	v_bfe_u32 v2, v106, 16, 8
	v_mov_b32_e32 v106, 0
	s_waitcnt lgkmcnt(1)
	v_dot4c_i32_i8_e32 v106, v154, v10
	v_mul_lo_u32 v2, v156, v2
	v_add_u32_e32 v108, 0x41f0, v143
	v_add_u32_e32 v154, 0x41f8, v143
	;; [unrolled: 1-line block ×3, first 2 shown]
	v_dot4c_i32_i8_e32 v106, v155, v11
	ds_read2_b32 v[108:109], v108 offset1:1
	ds_read2_b32 v[154:155], v154 offset1:1
	;; [unrolled: 1-line block ×3, first 2 shown]
	s_waitcnt lgkmcnt(3)
	v_dot4c_i32_i8_e32 v106, v102, v12
	v_dot4c_i32_i8_e32 v106, v103, v13
	s_waitcnt lgkmcnt(2)
	v_dot4c_i32_i8_e32 v106, v108, v6
	v_dot4c_i32_i8_e32 v106, v109, v7
	;; [unrolled: 3-line block ×3, first 2 shown]
	v_cvt_f32_i32_e32 v2, v2
	v_cvt_f32_f16_sdwa v103, v174 dst_sel:DWORD dst_unused:UNUSED_PAD src0_sel:WORD_1
	v_cvt_f32_ubyte2_e32 v3, v107
	v_mul_lo_u32 v102, v106, v180
	v_cvt_f32_i32_e32 v106, v102
	v_cvt_f32_f16_e32 v102, v174
	v_cvt_f32_ubyte3_e32 v107, v107
	v_pk_fma_f32 v[2:3], v[110:111], v[2:3], 0 op_sel_hi:[1,1,0]
	v_mul_f32_e32 v108, v167, v103
	v_pk_fma_f32 v[2:3], v[4:5], v[106:107], v[2:3]
	v_fma_mix_f32 v108, v166, v174, -v108 op_sel_hi:[0,1,0]
	v_pk_mul_f32 v[2:3], v[2:3], v[102:103]
	v_add_f32_e32 v108, v115, v108
	v_sub_f32_e32 v2, v2, v3
	v_add_f32_e32 v115, v108, v2
	v_add_u32_e32 v2, 0x6248, v143
	ds_read2_b32 v[2:3], v2 offset1:1
	v_mov_b32_e32 v108, 0
	s_waitcnt lgkmcnt(1)
	v_dot4c_i32_i8_e32 v108, v156, v18
	v_add_u32_e32 v18, 0x6250, v143
	v_add_u32_e32 v102, 0x6258, v143
	v_add_u32_e32 v106, 0x6260, v143
	v_dot4c_i32_i8_e32 v108, v157, v19
	ds_read2_b32 v[18:19], v18 offset1:1
	ds_read2_b32 v[102:103], v102 offset1:1
	ds_read2_b32 v[106:107], v106 offset1:1
	s_waitcnt lgkmcnt(3)
	v_dot4c_i32_i8_e32 v108, v2, v20
	v_dot4c_i32_i8_e32 v108, v3, v21
	s_waitcnt lgkmcnt(2)
	v_dot4c_i32_i8_e32 v108, v18, v14
	v_mov_b32_e32 v18, 0
	s_waitcnt lgkmcnt(0)
	v_dot4c_i32_i8_e32 v18, v106, v10
	v_add_u32_e32 v10, 0x6268, v143
	v_dot4c_i32_i8_e32 v18, v107, v11
	ds_read2_b32 v[10:11], v10 offset1:1
	v_add_u32_e32 v14, 0x6270, v143
	v_dot4c_i32_i8_e32 v108, v19, v15
	ds_read2_b32 v[14:15], v14 offset1:1
	v_dot4c_i32_i8_e32 v108, v102, v16
	v_add_u32_e32 v16, 0x6278, v143
	v_dot4c_i32_i8_e32 v108, v103, v17
	ds_read2_b32 v[16:17], v16 offset1:1
	s_waitcnt lgkmcnt(2)
	v_dot4c_i32_i8_e32 v18, v10, v12
	v_dot4c_i32_i8_e32 v18, v11, v13
	s_waitcnt lgkmcnt(1)
	v_dot4c_i32_i8_e32 v18, v14, v6
	v_dot4c_i32_i8_e32 v18, v15, v7
	v_bfe_u32 v2, v104, 16, 8
	s_waitcnt lgkmcnt(0)
	v_dot4c_i32_i8_e32 v18, v16, v8
	v_lshrrev_b32_e32 v185, 24, v104
	v_mul_lo_u32 v2, v108, v2
	v_dot4c_i32_i8_e32 v18, v17, v9
	v_cvt_f32_i32_e32 v2, v2
	v_cvt_f32_f16_sdwa v7, v153 dst_sel:DWORD dst_unused:UNUSED_PAD src0_sel:WORD_1
	v_cvt_f32_ubyte2_e32 v3, v105
	v_mul_lo_u32 v6, v18, v185
	v_cvt_f32_i32_e32 v8, v6
	v_cvt_f32_f16_e32 v6, v153
	v_cvt_f32_ubyte3_e32 v9, v105
	v_pk_fma_f32 v[2:3], v[110:111], v[2:3], 0 op_sel_hi:[1,1,0]
	v_mul_f32_e32 v10, v169, v7
	v_pk_fma_f32 v[2:3], v[4:5], v[8:9], v[2:3]
	v_fma_mix_f32 v10, v168, v153, -v10 op_sel_hi:[0,1,0]
	v_pk_mul_f32 v[2:3], v[2:3], v[6:7]
	v_add_f32_e32 v10, v152, v10
	v_sub_f32_e32 v2, v2, v3
	v_add_f32_e32 v152, v10, v2
	s_barrier
.LBB213_5:                              ;   in Loop: Header=BB213_6 Depth=1
	v_add_co_u32_e32 v26, vcc, 0xb0, v26
	v_addc_co_u32_e32 v25, vcc, 0, v25, vcc
	v_add_co_u32_e32 v28, vcc, 0xb0, v28
	v_addc_co_u32_e32 v27, vcc, 0, v27, vcc
	;; [unrolled: 2-line block ×36, first 2 shown]
	s_add_i32 s25, s25, -1
	s_addk_i32 s12, 0x100
	v_add_co_u32_e32 v98, vcc, 0xb0, v98
	v_add_u32_e32 v112, 8, v112
	v_add_u32_e32 v145, 8, v145
	;; [unrolled: 1-line block ×3, first 2 shown]
	s_cmp_eq_u32 s25, 0
	v_addc_co_u32_e32 v97, vcc, 0, v97, vcc
	s_cbranch_scc1 .LBB213_20
.LBB213_6:                              ; =>This Inner Loop Header: Depth=1
	v_mov_b32_e32 v6, s26
	v_add_co_u32_e32 v2, vcc, s18, v28
	v_addc_co_u32_e32 v3, vcc, v27, v6, vcc
	global_load_dword v7, v[2:3], off
	v_add_co_u32_e32 v2, vcc, s18, v26
	v_addc_co_u32_e32 v3, vcc, v25, v6, vcc
	global_load_dword v8, v[2:3], off
	v_add_co_u32_e32 v2, vcc, s18, v32
	v_addc_co_u32_e32 v3, vcc, v31, v6, vcc
	v_add_co_u32_e32 v4, vcc, s18, v30
	v_addc_co_u32_e32 v5, vcc, v29, v6, vcc
	global_load_dword v9, v[2:3], off
	v_add_co_u32_e32 v2, vcc, s18, v36
	v_addc_co_u32_e32 v3, vcc, v35, v6, vcc
	global_load_dword v10, v[4:5], off
	;; [unrolled: 3-line block ×13, first 2 shown]
	s_add_i32 s4, s12, 0xffffff80
	global_load_dword v4, v[4:5], off
	s_cmp_lt_i32 s4, s19
	s_waitcnt vmcnt(15)
	v_lshrrev_b32_e32 v2, 4, v7
	v_and_b32_e32 v103, 0xf0f0f0f, v2
	v_add_co_u32_e32 v2, vcc, s18, v60
	v_addc_co_u32_e32 v3, vcc, v59, v6, vcc
	global_load_dword v5, v[2:3], off
	v_add_co_u32_e32 v2, vcc, s18, v58
	v_addc_co_u32_e32 v3, vcc, v57, v6, vcc
	global_load_dword v2, v[2:3], off
	v_and_b32_e32 v102, 0xf0f0f0f, v7
	s_waitcnt vmcnt(16)
	v_ashrrev_i32_e32 v7, v113, v8
	v_lshlrev_b32_e32 v3, 4, v7
	v_ashrrev_i32_e32 v7, v114, v8
	v_lshlrev_b32_e32 v7, 4, v7
	v_and_or_b32 v3, v3, s13, v102
	v_and_or_b32 v7, v7, s13, v103
	ds_write2_b32 v116, v3, v7 offset1:8
	s_waitcnt vmcnt(15)
	v_and_b32_e32 v3, 0xf0f0f0f, v9
	v_lshrrev_b32_e32 v7, 4, v9
	s_waitcnt vmcnt(14)
	v_ashrrev_i32_e32 v8, v113, v10
	v_ashrrev_i32_e32 v9, v114, v10
	v_and_b32_e32 v7, 0xf0f0f0f, v7
	v_lshlrev_b32_e32 v8, 4, v8
	v_lshlrev_b32_e32 v9, 4, v9
	v_and_or_b32 v3, v8, s13, v3
	v_and_or_b32 v7, v9, s13, v7
	ds_write2_b32 v117, v3, v7 offset1:8
	s_waitcnt vmcnt(13)
	v_lshrrev_b32_e32 v7, 4, v11
	s_waitcnt vmcnt(12)
	v_ashrrev_i32_e32 v8, v113, v12
	v_ashrrev_i32_e32 v9, v114, v12
	v_and_b32_e32 v3, 0xf0f0f0f, v11
	v_and_b32_e32 v7, 0xf0f0f0f, v7
	v_lshlrev_b32_e32 v8, 4, v8
	v_lshlrev_b32_e32 v9, 4, v9
	v_and_or_b32 v3, v8, s13, v3
	v_and_or_b32 v7, v9, s13, v7
	ds_write2_b32 v118, v3, v7 offset1:8
	s_waitcnt vmcnt(11)
	v_lshrrev_b32_e32 v7, 4, v13
	s_waitcnt vmcnt(10)
	v_ashrrev_i32_e32 v8, v113, v14
	v_ashrrev_i32_e32 v9, v114, v14
	v_and_b32_e32 v3, 0xf0f0f0f, v13
	v_and_b32_e32 v7, 0xf0f0f0f, v7
	v_lshlrev_b32_e32 v8, 4, v8
	v_lshlrev_b32_e32 v9, 4, v9
	v_and_or_b32 v3, v8, s13, v3
	v_and_or_b32 v7, v9, s13, v7
	ds_write2_b32 v119, v3, v7 offset1:8
	s_waitcnt vmcnt(9)
	v_lshrrev_b32_e32 v7, 4, v15
	s_waitcnt vmcnt(8)
	v_ashrrev_i32_e32 v8, v113, v16
	v_ashrrev_i32_e32 v9, v114, v16
	v_and_b32_e32 v3, 0xf0f0f0f, v15
	v_and_b32_e32 v7, 0xf0f0f0f, v7
	v_lshlrev_b32_e32 v8, 4, v8
	v_lshlrev_b32_e32 v9, 4, v9
	v_and_or_b32 v3, v8, s13, v3
	v_and_or_b32 v7, v9, s13, v7
	ds_write2_b32 v120, v3, v7 offset1:8
	s_waitcnt vmcnt(7)
	v_lshrrev_b32_e32 v7, 4, v17
	s_waitcnt vmcnt(6)
	v_ashrrev_i32_e32 v8, v113, v18
	v_ashrrev_i32_e32 v9, v114, v18
	v_and_b32_e32 v3, 0xf0f0f0f, v17
	v_and_b32_e32 v7, 0xf0f0f0f, v7
	v_lshlrev_b32_e32 v8, 4, v8
	v_lshlrev_b32_e32 v9, 4, v9
	v_and_or_b32 v3, v8, s13, v3
	v_and_or_b32 v7, v9, s13, v7
	ds_write2_b32 v121, v3, v7 offset1:8
	s_waitcnt vmcnt(5)
	v_lshrrev_b32_e32 v7, 4, v19
	s_waitcnt vmcnt(4)
	v_ashrrev_i32_e32 v8, v113, v20
	v_ashrrev_i32_e32 v9, v114, v20
	v_and_b32_e32 v3, 0xf0f0f0f, v19
	v_and_b32_e32 v7, 0xf0f0f0f, v7
	v_lshlrev_b32_e32 v8, 4, v8
	v_lshlrev_b32_e32 v9, 4, v9
	v_and_or_b32 v3, v8, s13, v3
	v_and_or_b32 v7, v9, s13, v7
	ds_write2_b32 v122, v3, v7 offset1:8
	s_waitcnt vmcnt(3)
	v_lshrrev_b32_e32 v7, 4, v21
	s_waitcnt vmcnt(2)
	v_ashrrev_i32_e32 v8, v113, v4
	v_ashrrev_i32_e32 v4, v114, v4
	v_and_b32_e32 v3, 0xf0f0f0f, v21
	v_and_b32_e32 v7, 0xf0f0f0f, v7
	v_lshlrev_b32_e32 v8, 4, v8
	v_lshlrev_b32_e32 v4, 4, v4
	v_and_or_b32 v3, v8, s13, v3
	v_and_or_b32 v4, v4, s13, v7
	ds_write2_b32 v123, v3, v4 offset1:8
	s_waitcnt vmcnt(1)
	v_and_b32_e32 v3, 0xf0f0f0f, v5
	v_lshrrev_b32_e32 v4, 4, v5
	s_waitcnt vmcnt(0)
	v_ashrrev_i32_e32 v5, v113, v2
	v_ashrrev_i32_e32 v2, v114, v2
	v_and_b32_e32 v4, 0xf0f0f0f, v4
	v_lshlrev_b32_e32 v2, 4, v2
	v_lshlrev_b32_e32 v5, 4, v5
	v_and_or_b32 v4, v2, s13, v4
	v_add_co_u32_e32 v2, vcc, s18, v64
	v_and_or_b32 v5, v5, s13, v3
	v_addc_co_u32_e32 v3, vcc, v63, v6, vcc
	global_load_dword v7, v[2:3], off
	v_add_co_u32_e32 v2, vcc, s18, v62
	v_addc_co_u32_e32 v3, vcc, v61, v6, vcc
	global_load_dword v8, v[2:3], off
	v_add_co_u32_e32 v2, vcc, s18, v68
	;; [unrolled: 3-line block ×18, first 2 shown]
	v_addc_co_u32_e32 v3, vcc, v97, v6, vcc
	global_load_dword v2, v[2:3], off
	ds_write2_b32 v124, v5, v4 offset1:8
	s_waitcnt vmcnt(18)
	v_lshrrev_b32_e32 v4, 4, v7
	s_waitcnt vmcnt(17)
	v_ashrrev_i32_e32 v5, v113, v8
	v_ashrrev_i32_e32 v6, v114, v8
	v_and_b32_e32 v3, 0xf0f0f0f, v7
	v_and_b32_e32 v4, 0xf0f0f0f, v4
	v_lshlrev_b32_e32 v5, 4, v5
	v_lshlrev_b32_e32 v6, 4, v6
	v_and_or_b32 v3, v5, s13, v3
	v_and_or_b32 v4, v6, s13, v4
	ds_write2_b32 v125, v3, v4 offset1:8
	s_waitcnt vmcnt(16)
	v_lshrrev_b32_e32 v4, 4, v9
	s_waitcnt vmcnt(15)
	v_ashrrev_i32_e32 v5, v113, v10
	v_ashrrev_i32_e32 v6, v114, v10
	v_and_b32_e32 v3, 0xf0f0f0f, v9
	v_and_b32_e32 v4, 0xf0f0f0f, v4
	v_lshlrev_b32_e32 v5, 4, v5
	v_lshlrev_b32_e32 v6, 4, v6
	v_and_or_b32 v3, v5, s13, v3
	v_and_or_b32 v4, v6, s13, v4
	;; [unrolled: 12-line block ×7, first 2 shown]
	ds_write2_b32 v131, v3, v4 offset1:8
	s_waitcnt vmcnt(4)
	ds_write_b32 v132, v21
	s_waitcnt vmcnt(3)
	v_ashrrev_i32_e32 v3, v133, v102
	v_and_b32_e32 v3, 0xf0f0f0f, v3
	s_waitcnt vmcnt(2)
	v_ashrrev_i32_e32 v4, v134, v103
	v_and_or_b32 v3, v4, s20, v3
	ds_write_b32 v135, v3
	s_waitcnt vmcnt(1)
	v_ashrrev_i32_e32 v3, v133, v104
	v_and_b32_e32 v3, 0xf0f0f0f, v3
	s_waitcnt vmcnt(0)
	v_ashrrev_i32_e32 v2, v134, v2
	v_and_or_b32 v2, v2, s20, v3
	ds_write_b32 v136, v2
	s_cbranch_scc0 .LBB213_5
; %bb.7:                                ;   in Loop: Header=BB213_6 Depth=1
	v_cmp_gt_i32_e32 vcc, s9, v139
	s_and_b64 s[22:23], s[2:3], vcc
	s_and_saveexec_b64 s[4:5], s[22:23]
	s_cbranch_execz .LBB213_9
; %bb.8:                                ;   in Loop: Header=BB213_6 Depth=1
	v_add_u32_e32 v2, v24, v139
	v_mad_i64_i32 v[2:3], s[22:23], v2, 36, v[22:23]
	global_load_dword v2, v[2:3], off offset:4
	s_waitcnt vmcnt(0)
	ds_write_b32 v137, v2
.LBB213_9:                              ;   in Loop: Header=BB213_6 Depth=1
	s_or_b64 exec, exec, s[4:5]
	s_and_saveexec_b64 s[4:5], s[0:1]
	s_cbranch_execz .LBB213_12
; %bb.10:                               ;   in Loop: Header=BB213_6 Depth=1
	v_cmp_gt_i32_e32 vcc, s9, v112
	s_and_b64 s[22:23], s[2:3], vcc
	s_and_b64 exec, exec, s[22:23]
	s_cbranch_execz .LBB213_12
; %bb.11:                               ;   in Loop: Header=BB213_6 Depth=1
	v_add_u32_e32 v2, v24, v112
	v_mad_i64_i32 v[2:3], s[22:23], v2, 36, s[14:15]
	global_load_dword v2, v[2:3], off
	s_waitcnt vmcnt(0)
	ds_write_b32 v138, v2
.LBB213_12:                             ;   in Loop: Header=BB213_6 Depth=1
	s_or_b64 exec, exec, s[4:5]
	s_waitcnt lgkmcnt(0)
	s_barrier
	ds_read_b128 v[18:21], v140
	ds_read_b128 v[14:17], v140 offset:16
	ds_read_b128 v[2:5], v141 offset:36944
	ds_read2_b32 v[102:103], v143 offset1:1
	ds_read_b128 v[10:13], v140 offset:32
	ds_read_b128 v[6:9], v140 offset:48
	ds_read_b32 v153, v144
	ds_read2_b32 v[104:105], v143 offset0:2 offset1:3
	v_mov_b32_e32 v161, 0
	s_waitcnt lgkmcnt(4)
	v_dot4c_i32_i8_e32 v161, v102, v18
	v_dot4c_i32_i8_e32 v161, v103, v19
	ds_read2_b32 v[106:107], v143 offset0:4 offset1:5
	ds_read2_b32 v[108:109], v143 offset0:6 offset1:7
	ds_read2_b32 v[110:111], v143 offset0:8 offset1:9
	s_waitcnt lgkmcnt(3)
	v_dot4c_i32_i8_e32 v161, v104, v20
	v_dot4c_i32_i8_e32 v161, v105, v21
	ds_read2_b32 v[104:105], v143 offset0:10 offset1:11
	v_mov_b32_e32 v172, 0
	s_waitcnt lgkmcnt(3)
	v_dot4c_i32_i8_e32 v161, v106, v14
	s_waitcnt lgkmcnt(1)
	v_dot4c_i32_i8_e32 v172, v110, v10
	v_dot4c_i32_i8_e32 v161, v107, v15
	v_dot4c_i32_i8_e32 v172, v111, v11
	v_dot4c_i32_i8_e32 v161, v108, v16
	s_waitcnt lgkmcnt(0)
	v_dot4c_i32_i8_e32 v172, v104, v12
	v_add_u32_e32 v104, 0x2080, v143
	ds_read2_b32 v[102:103], v142 offset1:2
	v_dot4c_i32_i8_e32 v161, v109, v17
	ds_read2_b32 v[106:107], v143 offset0:12 offset1:13
	ds_read2_b32 v[108:109], v143 offset0:14 offset1:15
	;; [unrolled: 1-line block ×3, first 2 shown]
	v_dot4c_i32_i8_e32 v172, v105, v13
	ds_read2_b32 v[154:155], v143 offset0:26 offset1:27
	ds_read2_b32 v[156:157], v143 offset0:28 offset1:29
	;; [unrolled: 1-line block ×3, first 2 shown]
	ds_read2_b32 v[104:105], v104 offset1:1
	v_mov_b32_e32 v168, 0
	v_cvt_f32_f16_e32 v160, v153
	v_cvt_f32_f16_sdwa v162, v153 dst_sel:DWORD dst_unused:UNUSED_PAD src0_sel:WORD_1
	ds_read_b32 v173, v147 offset:128
	ds_read_b32 v174, v149 offset:256
	;; [unrolled: 1-line block ×3, first 2 shown]
	s_waitcnt lgkmcnt(3)
	v_dot4c_i32_i8_e32 v168, v104, v18
	v_add_u32_e32 v104, 0x2088, v143
	v_dot4c_i32_i8_e32 v168, v105, v19
	ds_read2_b32 v[104:105], v104 offset1:1
	v_dot4c_i32_i8_e32 v172, v106, v6
	v_dot4c_i32_i8_e32 v172, v107, v7
	;; [unrolled: 1-line block ×3, first 2 shown]
	v_add_u32_e32 v106, 0x2090, v143
	v_dot4c_i32_i8_e32 v172, v109, v9
	v_add_u32_e32 v108, 0x2098, v143
	v_add_u32_e32 v109, 0x20a0, v143
	ds_read2_b32 v[106:107], v106 offset1:1
	ds_read2_b32 v[164:165], v108 offset1:1
	;; [unrolled: 1-line block ×3, first 2 shown]
	s_waitcnt lgkmcnt(3)
	v_dot4c_i32_i8_e32 v168, v104, v20
	ds_read2_b32 v[108:109], v146 offset1:2
	v_dot4c_i32_i8_e32 v168, v105, v21
	s_waitcnt lgkmcnt(3)
	v_dot4c_i32_i8_e32 v168, v106, v14
	v_dot4c_i32_i8_e32 v168, v107, v15
	s_waitcnt lgkmcnt(2)
	v_dot4c_i32_i8_e32 v168, v164, v16
	v_dot4c_i32_i8_e32 v168, v165, v17
	s_waitcnt lgkmcnt(0)
	v_and_b32_e32 v104, 0xff, v108
	v_add_u32_e32 v106, 0x20b0, v143
	v_add_u32_e32 v164, 0x20b8, v143
	v_mul_lo_u32 v104, v168, v104
	v_cvt_f32_i32_e32 v176, v104
	v_add_u32_e32 v104, 0x20a8, v143
	ds_read2_b32 v[104:105], v104 offset1:1
	v_mov_b32_e32 v168, 0
	v_dot4c_i32_i8_e32 v168, v166, v10
	v_add_u32_e32 v166, 0x4100, v143
	v_dot4c_i32_i8_e32 v168, v167, v11
	ds_read2_b32 v[106:107], v106 offset1:1
	ds_read2_b32 v[164:165], v164 offset1:1
	;; [unrolled: 1-line block ×3, first 2 shown]
	s_waitcnt lgkmcnt(3)
	v_dot4c_i32_i8_e32 v168, v104, v12
	v_dot4c_i32_i8_e32 v168, v105, v13
	s_waitcnt lgkmcnt(2)
	v_dot4c_i32_i8_e32 v168, v106, v6
	v_dot4c_i32_i8_e32 v168, v107, v7
	;; [unrolled: 3-line block ×3, first 2 shown]
	v_bfe_u32 v104, v108, 8, 8
	v_mov_b32_e32 v170, 0
	s_waitcnt lgkmcnt(0)
	v_dot4c_i32_i8_e32 v170, v166, v18
	v_mul_lo_u32 v104, v168, v104
	v_cvt_f32_i32_e32 v178, v104
	v_add_u32_e32 v104, 0x4108, v143
	ds_read2_b32 v[104:105], v104 offset1:1
	v_add_u32_e32 v106, 0x4110, v143
	v_add_u32_e32 v168, 0x4120, v143
	v_dot4c_i32_i8_e32 v170, v167, v19
	v_add_u32_e32 v107, 0x4118, v143
	ds_read2_b32 v[164:165], v106 offset1:1
	ds_read2_b32 v[166:167], v107 offset1:1
	;; [unrolled: 1-line block ×3, first 2 shown]
	s_waitcnt lgkmcnt(3)
	v_dot4c_i32_i8_e32 v170, v104, v20
	ds_read2_b32 v[106:107], v148 offset1:2
	v_dot4c_i32_i8_e32 v170, v105, v21
	s_waitcnt lgkmcnt(3)
	v_dot4c_i32_i8_e32 v170, v164, v14
	v_dot4c_i32_i8_e32 v170, v165, v15
	s_waitcnt lgkmcnt(2)
	v_dot4c_i32_i8_e32 v170, v166, v16
	v_dot4c_i32_i8_e32 v170, v167, v17
	s_waitcnt lgkmcnt(0)
	v_and_b32_e32 v104, 0xff, v106
	v_add_u32_e32 v164, 0x4130, v143
	v_add_u32_e32 v166, 0x4138, v143
	v_mul_lo_u32 v104, v170, v104
	v_cvt_f32_i32_e32 v181, v104
	v_add_u32_e32 v104, 0x4128, v143
	ds_read2_b32 v[104:105], v104 offset1:1
	v_mov_b32_e32 v170, 0
	v_dot4c_i32_i8_e32 v170, v168, v10
	v_add_u32_e32 v168, 0x6180, v143
	v_dot4c_i32_i8_e32 v170, v169, v11
	ds_read2_b32 v[164:165], v164 offset1:1
	ds_read2_b32 v[166:167], v166 offset1:1
	;; [unrolled: 1-line block ×3, first 2 shown]
	s_waitcnt lgkmcnt(3)
	v_dot4c_i32_i8_e32 v170, v104, v12
	v_dot4c_i32_i8_e32 v170, v105, v13
	s_waitcnt lgkmcnt(2)
	v_dot4c_i32_i8_e32 v170, v164, v6
	v_dot4c_i32_i8_e32 v170, v165, v7
	;; [unrolled: 3-line block ×3, first 2 shown]
	v_bfe_u32 v104, v106, 8, 8
	v_add_u32_e32 v105, 0x6198, v143
	v_mov_b32_e32 v190, 0
	v_mul_lo_u32 v104, v170, v104
	v_mov_b32_e32 v170, 0
	s_waitcnt lgkmcnt(0)
	v_dot4c_i32_i8_e32 v170, v168, v18
	v_add_u32_e32 v18, 0x6188, v143
	v_dot4c_i32_i8_e32 v170, v169, v19
	ds_read2_b32 v[18:19], v18 offset1:1
	v_cvt_f32_i32_e32 v183, v104
	v_add_u32_e32 v104, 0x6190, v143
	v_add_u32_e32 v168, 0x61a0, v143
	ds_read2_b32 v[164:165], v104 offset1:1
	ds_read2_b32 v[166:167], v105 offset1:1
	;; [unrolled: 1-line block ×3, first 2 shown]
	s_waitcnt lgkmcnt(3)
	v_dot4c_i32_i8_e32 v170, v18, v20
	ds_read2_b32 v[104:105], v150 offset1:2
	v_dot4c_i32_i8_e32 v170, v19, v21
	s_waitcnt lgkmcnt(3)
	v_dot4c_i32_i8_e32 v170, v164, v14
	v_mov_b32_e32 v18, 0
	v_dot4c_i32_i8_e32 v170, v165, v15
	s_waitcnt lgkmcnt(1)
	v_dot4c_i32_i8_e32 v18, v168, v10
	v_add_u32_e32 v10, 0x61a8, v143
	v_dot4c_i32_i8_e32 v170, v166, v16
	v_dot4c_i32_i8_e32 v18, v169, v11
	ds_read2_b32 v[10:11], v10 offset1:1
	v_dot4c_i32_i8_e32 v170, v167, v17
	s_waitcnt lgkmcnt(1)
	v_and_b32_e32 v14, 0xff, v104
	v_add_u32_e32 v16, 0x61b8, v143
	v_add_u32_e32 v19, 0x20c0, v143
	v_mul_lo_u32 v14, v170, v14
	v_cvt_f32_i32_e32 v186, v14
	v_add_u32_e32 v14, 0x61b0, v143
	ds_read2_b32 v[14:15], v14 offset1:1
	ds_read2_b32 v[16:17], v16 offset1:1
	;; [unrolled: 1-line block ×3, first 2 shown]
	s_waitcnt lgkmcnt(3)
	v_dot4c_i32_i8_e32 v18, v10, v12
	v_dot4c_i32_i8_e32 v18, v11, v13
	s_waitcnt lgkmcnt(2)
	v_dot4c_i32_i8_e32 v18, v14, v6
	v_dot4c_i32_i8_e32 v18, v15, v7
	;; [unrolled: 3-line block ×3, first 2 shown]
	v_bfe_u32 v6, v104, 8, 8
	v_lshrrev_b32_e32 v163, 24, v102
	v_cvt_f32_ubyte0_e32 v177, v109
	v_mul_lo_u32 v6, v18, v6
	v_cvt_f32_i32_e32 v188, v6
	ds_read_b128 v[18:21], v140 offset:64
	ds_read_b128 v[14:17], v140 offset:80
	ds_read_b128 v[10:13], v140 offset:96
	ds_read_b128 v[6:9], v140 offset:112
	ds_read2_b32 v[166:167], v143 offset0:18 offset1:19
	s_waitcnt lgkmcnt(4)
	v_dot4c_i32_i8_e32 v190, v110, v18
	v_dot4c_i32_i8_e32 v190, v111, v19
	ds_read2_b32 v[110:111], v143 offset0:20 offset1:21
	ds_read2_b32 v[168:169], v143 offset0:22 offset1:23
	;; [unrolled: 1-line block ×3, first 2 shown]
	v_cvt_f32_ubyte0_e32 v182, v107
	s_waitcnt lgkmcnt(3)
	v_dot4c_i32_i8_e32 v190, v166, v20
	v_mov_b32_e32 v166, 0
	v_dot4c_i32_i8_e32 v190, v167, v21
	s_waitcnt lgkmcnt(0)
	v_dot4c_i32_i8_e32 v166, v170, v10
	v_dot4c_i32_i8_e32 v166, v171, v11
	;; [unrolled: 1-line block ×10, first 2 shown]
	v_cvt_f32_f16_e32 v155, v4
	v_cvt_f32_f16_sdwa v111, v4 dst_sel:DWORD dst_unused:UNUSED_PAD src0_sel:WORD_1
	v_and_b32_e32 v4, 0xff, v102
	v_bfe_u32 v156, v102, 16, 8
	v_dot4c_i32_i8_e32 v166, v158, v8
	v_mul_lo_u32 v4, v161, v4
	v_mul_lo_u32 v156, v190, v156
	v_dot4c_i32_i8_e32 v166, v159, v9
	v_cvt_f32_f16_e32 v154, v2
	v_cvt_f32_i32_e32 v159, v156
	v_cvt_f32_i32_e32 v158, v4
	v_bfe_u32 v102, v102, 8, 8
	v_mul_lo_u32 v102, v172, v102
	v_cvt_f32_f16_sdwa v110, v2 dst_sel:DWORD dst_unused:UNUSED_PAD src0_sel:WORD_1
	v_pk_fma_f32 v[158:159], v[154:155], v[158:159], 0 op_sel_hi:[1,1,0]
	v_mul_lo_u32 v154, v166, v163
	v_cvt_f32_f16_e32 v157, v5
	v_cvt_f32_f16_e32 v156, v3
	v_cvt_f32_i32_e32 v167, v154
	v_cvt_f32_i32_e32 v166, v102
	v_cvt_f32_f16_sdwa v5, v5 dst_sel:DWORD dst_unused:UNUSED_PAD src0_sel:WORD_1
	v_cvt_f32_f16_sdwa v4, v3 dst_sel:DWORD dst_unused:UNUSED_PAD src0_sel:WORD_1
	v_cvt_f32_ubyte2_e32 v169, v103
	v_cvt_f32_ubyte0_e32 v168, v103
	v_cvt_f32_ubyte0_e32 v187, v105
	v_pk_fma_f32 v[168:169], v[110:111], v[168:169], 0 op_sel_hi:[1,1,0]
	v_pk_fma_f32 v[158:159], v[156:157], v[166:167], v[158:159]
	v_cvt_f32_ubyte3_e32 v167, v103
	v_cvt_f32_ubyte1_e32 v166, v103
	v_fma_mix_f32 v154, v2, v181, 0 op_sel_hi:[1,0,0]
	v_cvt_f32_ubyte1_e32 v189, v105
	v_pk_fma_f32 v[102:103], v[4:5], v[166:167], v[168:169]
	v_fma_mix_f32 v4, v2, v176, 0 op_sel_hi:[1,0,0]
	v_fma_mix_f32 v110, v2, v177, 0 op_sel:[1,0,0] op_sel_hi:[1,0,0]
	v_fma_mix_f32 v156, v2, v182, 0 op_sel:[1,0,0] op_sel_hi:[1,0,0]
	v_fma_mix_f32 v166, v3, v183, v154 op_sel_hi:[1,0,0]
	v_fma_mix_f32 v154, v2, v186, 0 op_sel_hi:[1,0,0]
	v_fma_mix_f32 v2, v2, v187, 0 op_sel:[1,0,0] op_sel_hi:[1,0,0]
	v_cvt_f32_ubyte1_e32 v179, v109
	v_cvt_f32_ubyte1_e32 v184, v107
	v_fma_mix_f32 v169, v3, v189, v2 op_sel:[1,0,0] op_sel_hi:[1,0,0]
	v_add_u32_e32 v2, 0x20c8, v143
	v_fma_mix_f32 v4, v3, v178, v4 op_sel_hi:[1,0,0]
	v_fma_mix_f32 v110, v3, v179, v110 op_sel:[1,0,0] op_sel_hi:[1,0,0]
	v_fma_mix_f32 v167, v3, v184, v156 op_sel:[1,0,0] op_sel_hi:[1,0,0]
	v_fma_mix_f32 v168, v3, v188, v154 op_sel_hi:[1,0,0]
	ds_read2_b32 v[2:3], v2 offset1:1
	v_pk_mul_f32 v[102:103], v[102:103], v[162:163] op_sel_hi:[1,0]
	v_mov_b32_e32 v154, 0
	v_pk_fma_f32 v[102:103], v[158:159], v[160:161], v[102:103] op_sel_hi:[1,0,1] neg_lo:[0,0,1] neg_hi:[0,0,1]
	v_dot4c_i32_i8_e32 v154, v164, v18
	v_add_u32_e32 v156, 0x20d0, v143
	v_add_u32_e32 v160, 0x20d8, v143
	;; [unrolled: 1-line block ×3, first 2 shown]
	v_dot4c_i32_i8_e32 v154, v165, v19
	ds_read2_b32 v[158:159], v156 offset1:1
	ds_read2_b32 v[160:161], v160 offset1:1
	;; [unrolled: 1-line block ×3, first 2 shown]
	s_waitcnt lgkmcnt(3)
	v_dot4c_i32_i8_e32 v154, v2, v20
	v_dot4c_i32_i8_e32 v154, v3, v21
	s_waitcnt lgkmcnt(2)
	v_dot4c_i32_i8_e32 v154, v158, v14
	v_dot4c_i32_i8_e32 v154, v159, v15
	;; [unrolled: 3-line block ×3, first 2 shown]
	v_bfe_u32 v2, v108, 16, 8
	v_lshrrev_b32_e32 v175, 24, v108
	v_mov_b32_e32 v108, 0
	v_mul_lo_u32 v2, v154, v2
	v_add_u32_e32 v154, 0x20e8, v143
	ds_read2_b32 v[158:159], v154 offset1:1
	s_waitcnt lgkmcnt(1)
	v_dot4c_i32_i8_e32 v108, v162, v10
	v_add_u32_e32 v156, 0x20f0, v143
	v_add_u32_e32 v162, 0x20f8, v143
	v_dot4c_i32_i8_e32 v108, v163, v11
	v_add_u32_e32 v154, 0x4140, v143
	ds_read2_b32 v[160:161], v156 offset1:1
	ds_read2_b32 v[162:163], v162 offset1:1
	;; [unrolled: 1-line block ×3, first 2 shown]
	s_waitcnt lgkmcnt(3)
	v_dot4c_i32_i8_e32 v108, v158, v12
	v_dot4c_i32_i8_e32 v108, v159, v13
	s_waitcnt lgkmcnt(2)
	v_dot4c_i32_i8_e32 v108, v160, v6
	v_dot4c_i32_i8_e32 v108, v161, v7
	s_waitcnt lgkmcnt(1)
	v_dot4c_i32_i8_e32 v108, v162, v8
	v_cvt_f32_f16_sdwa v159, v173 dst_sel:DWORD dst_unused:UNUSED_PAD src0_sel:WORD_1
	v_dot4c_i32_i8_e32 v108, v163, v9
	v_cvt_f32_i32_e32 v2, v2
	v_cvt_f32_f16_e32 v158, v173
	v_mul_f32_e32 v110, v110, v159
	v_mul_lo_u32 v108, v108, v175
	v_cvt_f32_i32_e32 v108, v108
	v_cvt_f32_ubyte2_e32 v3, v109
	v_fma_mix_f32 v161, v4, v173, -v110 op_sel_hi:[0,1,0]
	v_mov_b32_e32 v110, v155
	v_cvt_f32_ubyte3_e32 v109, v109
	v_pk_fma_f32 v[2:3], v[110:111], v[2:3], 0 op_sel_hi:[1,1,0]
	v_mov_b32_e32 v4, v157
	v_pk_fma_f32 v[2:3], v[4:5], v[108:109], v[2:3]
	v_pk_mul_f32 v[108:109], v[2:3], v[158:159]
	v_mov_b32_e32 v109, v108
	v_mov_b32_e32 v160, v102
	v_pk_fma_f32 v[2:3], v[2:3], v[158:159], v[108:109] neg_lo:[1,0,0] neg_hi:[1,0,0]
	v_pk_add_f32 v[100:101], v[100:101], v[160:161]
	v_mov_b32_e32 v2, v103
	v_pk_add_f32 v[100:101], v[100:101], v[2:3]
	v_add_u32_e32 v2, 0x4148, v143
	ds_read2_b32 v[2:3], v2 offset1:1
	v_mov_b32_e32 v156, 0
	s_waitcnt lgkmcnt(1)
	v_dot4c_i32_i8_e32 v156, v164, v18
	v_add_u32_e32 v102, 0x4150, v143
	v_add_u32_e32 v108, 0x4158, v143
	v_add_u32_e32 v154, 0x4160, v143
	v_dot4c_i32_i8_e32 v156, v165, v19
	ds_read2_b32 v[102:103], v102 offset1:1
	ds_read2_b32 v[108:109], v108 offset1:1
	;; [unrolled: 1-line block ×3, first 2 shown]
	s_waitcnt lgkmcnt(3)
	v_dot4c_i32_i8_e32 v156, v2, v20
	v_dot4c_i32_i8_e32 v156, v3, v21
	s_waitcnt lgkmcnt(2)
	v_dot4c_i32_i8_e32 v156, v102, v14
	v_add_u32_e32 v102, 0x4168, v143
	v_dot4c_i32_i8_e32 v156, v103, v15
	ds_read2_b32 v[102:103], v102 offset1:1
	s_waitcnt lgkmcnt(2)
	v_dot4c_i32_i8_e32 v156, v108, v16
	v_lshrrev_b32_e32 v180, 24, v106
	v_dot4c_i32_i8_e32 v156, v109, v17
	v_bfe_u32 v2, v106, 16, 8
	v_mov_b32_e32 v106, 0
	s_waitcnt lgkmcnt(1)
	v_dot4c_i32_i8_e32 v106, v154, v10
	v_mul_lo_u32 v2, v156, v2
	v_add_u32_e32 v108, 0x4170, v143
	v_add_u32_e32 v154, 0x4178, v143
	;; [unrolled: 1-line block ×3, first 2 shown]
	v_dot4c_i32_i8_e32 v106, v155, v11
	ds_read2_b32 v[108:109], v108 offset1:1
	ds_read2_b32 v[154:155], v154 offset1:1
	;; [unrolled: 1-line block ×3, first 2 shown]
	s_waitcnt lgkmcnt(3)
	v_dot4c_i32_i8_e32 v106, v102, v12
	v_dot4c_i32_i8_e32 v106, v103, v13
	s_waitcnt lgkmcnt(2)
	v_dot4c_i32_i8_e32 v106, v108, v6
	v_dot4c_i32_i8_e32 v106, v109, v7
	;; [unrolled: 3-line block ×3, first 2 shown]
	v_cvt_f32_i32_e32 v2, v2
	v_cvt_f32_f16_sdwa v103, v174 dst_sel:DWORD dst_unused:UNUSED_PAD src0_sel:WORD_1
	v_cvt_f32_ubyte2_e32 v3, v107
	v_mul_lo_u32 v102, v106, v180
	v_cvt_f32_i32_e32 v106, v102
	v_cvt_f32_f16_e32 v102, v174
	v_cvt_f32_ubyte3_e32 v107, v107
	v_pk_fma_f32 v[2:3], v[110:111], v[2:3], 0 op_sel_hi:[1,1,0]
	v_mul_f32_e32 v108, v167, v103
	v_pk_fma_f32 v[2:3], v[4:5], v[106:107], v[2:3]
	v_fma_mix_f32 v108, v166, v174, -v108 op_sel_hi:[0,1,0]
	v_pk_mul_f32 v[2:3], v[2:3], v[102:103]
	v_add_f32_e32 v108, v115, v108
	v_sub_f32_e32 v2, v2, v3
	v_add_f32_e32 v115, v108, v2
	v_add_u32_e32 v2, 0x61c8, v143
	ds_read2_b32 v[2:3], v2 offset1:1
	v_mov_b32_e32 v108, 0
	s_waitcnt lgkmcnt(1)
	v_dot4c_i32_i8_e32 v108, v156, v18
	v_add_u32_e32 v18, 0x61d0, v143
	v_add_u32_e32 v102, 0x61d8, v143
	;; [unrolled: 1-line block ×3, first 2 shown]
	v_dot4c_i32_i8_e32 v108, v157, v19
	ds_read2_b32 v[18:19], v18 offset1:1
	ds_read2_b32 v[102:103], v102 offset1:1
	;; [unrolled: 1-line block ×3, first 2 shown]
	s_waitcnt lgkmcnt(3)
	v_dot4c_i32_i8_e32 v108, v2, v20
	v_dot4c_i32_i8_e32 v108, v3, v21
	s_waitcnt lgkmcnt(2)
	v_dot4c_i32_i8_e32 v108, v18, v14
	v_mov_b32_e32 v18, 0
	s_waitcnt lgkmcnt(0)
	v_dot4c_i32_i8_e32 v18, v106, v10
	v_add_u32_e32 v10, 0x61e8, v143
	v_dot4c_i32_i8_e32 v18, v107, v11
	ds_read2_b32 v[10:11], v10 offset1:1
	v_add_u32_e32 v14, 0x61f0, v143
	v_dot4c_i32_i8_e32 v108, v19, v15
	ds_read2_b32 v[14:15], v14 offset1:1
	v_dot4c_i32_i8_e32 v108, v102, v16
	v_add_u32_e32 v16, 0x61f8, v143
	v_dot4c_i32_i8_e32 v108, v103, v17
	ds_read2_b32 v[16:17], v16 offset1:1
	s_waitcnt lgkmcnt(2)
	v_dot4c_i32_i8_e32 v18, v10, v12
	v_dot4c_i32_i8_e32 v18, v11, v13
	s_waitcnt lgkmcnt(1)
	v_dot4c_i32_i8_e32 v18, v14, v6
	v_dot4c_i32_i8_e32 v18, v15, v7
	v_bfe_u32 v2, v104, 16, 8
	s_waitcnt lgkmcnt(0)
	v_dot4c_i32_i8_e32 v18, v16, v8
	v_lshrrev_b32_e32 v185, 24, v104
	v_mul_lo_u32 v2, v108, v2
	v_dot4c_i32_i8_e32 v18, v17, v9
	v_cvt_f32_i32_e32 v2, v2
	v_cvt_f32_f16_sdwa v7, v153 dst_sel:DWORD dst_unused:UNUSED_PAD src0_sel:WORD_1
	v_cvt_f32_ubyte2_e32 v3, v105
	v_mul_lo_u32 v6, v18, v185
	v_cvt_f32_i32_e32 v8, v6
	v_cvt_f32_f16_e32 v6, v153
	v_cvt_f32_ubyte3_e32 v9, v105
	v_pk_fma_f32 v[2:3], v[110:111], v[2:3], 0 op_sel_hi:[1,1,0]
	v_mul_f32_e32 v10, v169, v7
	v_pk_fma_f32 v[2:3], v[4:5], v[8:9], v[2:3]
	v_fma_mix_f32 v10, v168, v153, -v10 op_sel_hi:[0,1,0]
	v_pk_mul_f32 v[2:3], v[2:3], v[6:7]
	v_add_f32_e32 v10, v152, v10
	v_sub_f32_e32 v2, v2, v3
	v_add_f32_e32 v152, v10, v2
	s_cmp_ge_i32 s12, s19
	s_barrier
	s_cbranch_scc1 .LBB213_5
; %bb.13:                               ;   in Loop: Header=BB213_6 Depth=1
	v_cmp_gt_i32_e32 vcc, s9, v145
	s_and_b64 s[22:23], s[2:3], vcc
	s_and_saveexec_b64 s[4:5], s[22:23]
	s_cbranch_execz .LBB213_15
; %bb.14:                               ;   in Loop: Header=BB213_6 Depth=1
	v_add_u32_e32 v2, v24, v145
	v_mad_i64_i32 v[2:3], s[22:23], v2, 36, v[22:23]
	global_load_dword v2, v[2:3], off offset:4
	s_waitcnt vmcnt(0)
	ds_write_b32 v137, v2
.LBB213_15:                             ;   in Loop: Header=BB213_6 Depth=1
	s_or_b64 exec, exec, s[4:5]
	s_and_saveexec_b64 s[4:5], s[0:1]
	s_cbranch_execz .LBB213_4
; %bb.16:                               ;   in Loop: Header=BB213_6 Depth=1
	v_add_u32_e32 v2, 4, v112
	v_cmp_gt_i32_e32 vcc, s9, v2
	s_and_b64 s[22:23], s[2:3], vcc
	s_and_b64 exec, exec, s[22:23]
	s_cbranch_execz .LBB213_4
; %bb.17:                               ;   in Loop: Header=BB213_6 Depth=1
	v_ashrrev_i32_e32 v2, 31, v112
	v_add_co_u32_e32 v3, vcc, v24, v112
	v_addc_co_u32_e32 v4, vcc, v1, v2, vcc
	v_mad_u64_u32 v[2:3], s[22:23], v3, 36, s[6:7]
	v_mad_i32_i24 v3, v4, 36, v3
	global_load_dword v2, v[2:3], off
	s_waitcnt vmcnt(0)
	ds_write_b32 v138, v2
	s_branch .LBB213_4
.LBB213_18:
	v_mov_b32_e32 v1, 0
	v_mov_b32_e32 v2, 0
	;; [unrolled: 1-line block ×3, first 2 shown]
	s_mul_i32 s0, s11, s8
	s_waitcnt vmcnt(0)
	v_cmp_gt_i32_e32 vcc, s0, v99
	s_and_saveexec_b64 s[0:1], vcc
	s_cbranch_execnz .LBB213_21
.LBB213_19:
	s_endpgm
.LBB213_20:
	v_cvt_f16_f32_e32 v5, v100
	v_cvt_f16_f32_e32 v2, v101
	;; [unrolled: 1-line block ×4, first 2 shown]
	s_mul_i32 s0, s11, s8
	v_cmp_gt_i32_e32 vcc, s0, v99
	s_and_saveexec_b64 s[0:1], vcc
	s_cbranch_execz .LBB213_19
.LBB213_21:
	v_and_b32_e32 v0, 0x3ff, v0
	v_add_u32_e32 v4, s24, v0
	v_mul_lo_u32 v0, v99, s10
	v_cmp_gt_u32_e32 vcc, s10, v4
	s_and_saveexec_b64 s[0:1], vcc
	s_cbranch_execz .LBB213_23
; %bb.22:
	v_add_u32_e32 v6, v0, v4
	v_mov_b32_e32 v7, 0
	v_lshlrev_b64 v[6:7], 1, v[6:7]
	v_mov_b32_e32 v8, s17
	v_add_co_u32_e32 v6, vcc, s16, v6
	v_addc_co_u32_e32 v7, vcc, v8, v7, vcc
	global_store_short v[6:7], v5, off
.LBB213_23:
	s_or_b64 exec, exec, s[0:1]
	v_add_u32_e32 v5, 32, v4
	v_cmp_gt_u32_e32 vcc, s10, v5
	s_and_saveexec_b64 s[0:1], vcc
	s_cbranch_execz .LBB213_25
; %bb.24:
	v_add_u32_e32 v6, v0, v5
	v_mov_b32_e32 v7, 0
	v_lshlrev_b64 v[6:7], 1, v[6:7]
	v_mov_b32_e32 v5, s17
	v_add_co_u32_e32 v6, vcc, s16, v6
	v_addc_co_u32_e32 v7, vcc, v5, v7, vcc
	global_store_short v[6:7], v2, off
.LBB213_25:
	s_or_b64 exec, exec, s[0:1]
	v_add_u32_e32 v2, 64, v4
	v_cmp_gt_u32_e32 vcc, s10, v2
	s_and_saveexec_b64 s[0:1], vcc
	s_cbranch_execz .LBB213_27
; %bb.26:
	v_add_u32_e32 v6, v0, v2
	v_mov_b32_e32 v7, 0
	v_lshlrev_b64 v[6:7], 1, v[6:7]
	v_mov_b32_e32 v2, s17
	v_add_co_u32_e32 v6, vcc, s16, v6
	v_addc_co_u32_e32 v7, vcc, v2, v7, vcc
	global_store_short v[6:7], v1, off
.LBB213_27:
	s_or_b64 exec, exec, s[0:1]
	v_add_u32_e32 v1, 0x60, v4
	v_cmp_gt_u32_e32 vcc, s10, v1
	s_and_b64 exec, exec, vcc
	s_cbranch_execz .LBB213_19
; %bb.28:
	v_add_u32_e32 v0, v0, v1
	v_mov_b32_e32 v1, 0
	v_lshlrev_b64 v[0:1], 1, v[0:1]
	v_mov_b32_e32 v2, s17
	v_add_co_u32_e32 v0, vcc, s16, v0
	v_addc_co_u32_e32 v1, vcc, v2, v1, vcc
	global_store_short v[0:1], v3, off
	s_endpgm
	.section	.rodata,"a",@progbits
	.p2align	6, 0x0
	.amdhsa_kernel _ZL8moe_q5_KIN3c104HalfELb0EEvPKvS3_PT_PKiS7_S7_iiiiiii
		.amdhsa_group_segment_fixed_size 37072
		.amdhsa_private_segment_fixed_size 0
		.amdhsa_kernarg_size 76
		.amdhsa_user_sgpr_count 6
		.amdhsa_user_sgpr_private_segment_buffer 1
		.amdhsa_user_sgpr_dispatch_ptr 0
		.amdhsa_user_sgpr_queue_ptr 0
		.amdhsa_user_sgpr_kernarg_segment_ptr 1
		.amdhsa_user_sgpr_dispatch_id 0
		.amdhsa_user_sgpr_flat_scratch_init 0
		.amdhsa_user_sgpr_kernarg_preload_length 0
		.amdhsa_user_sgpr_kernarg_preload_offset 0
		.amdhsa_user_sgpr_private_segment_size 0
		.amdhsa_uses_dynamic_stack 0
		.amdhsa_system_sgpr_private_segment_wavefront_offset 0
		.amdhsa_system_sgpr_workgroup_id_x 1
		.amdhsa_system_sgpr_workgroup_id_y 1
		.amdhsa_system_sgpr_workgroup_id_z 0
		.amdhsa_system_sgpr_workgroup_info 0
		.amdhsa_system_vgpr_workitem_id 1
		.amdhsa_next_free_vgpr 191
		.amdhsa_next_free_sgpr 28
		.amdhsa_accum_offset 192
		.amdhsa_reserve_vcc 1
		.amdhsa_reserve_flat_scratch 0
		.amdhsa_float_round_mode_32 0
		.amdhsa_float_round_mode_16_64 0
		.amdhsa_float_denorm_mode_32 3
		.amdhsa_float_denorm_mode_16_64 3
		.amdhsa_dx10_clamp 1
		.amdhsa_ieee_mode 1
		.amdhsa_fp16_overflow 0
		.amdhsa_tg_split 0
		.amdhsa_exception_fp_ieee_invalid_op 0
		.amdhsa_exception_fp_denorm_src 0
		.amdhsa_exception_fp_ieee_div_zero 0
		.amdhsa_exception_fp_ieee_overflow 0
		.amdhsa_exception_fp_ieee_underflow 0
		.amdhsa_exception_fp_ieee_inexact 0
		.amdhsa_exception_int_div_zero 0
	.end_amdhsa_kernel
	.section	.text._ZL8moe_q5_KIN3c104HalfELb0EEvPKvS3_PT_PKiS7_S7_iiiiiii,"axG",@progbits,_ZL8moe_q5_KIN3c104HalfELb0EEvPKvS3_PT_PKiS7_S7_iiiiiii,comdat
.Lfunc_end213:
	.size	_ZL8moe_q5_KIN3c104HalfELb0EEvPKvS3_PT_PKiS7_S7_iiiiiii, .Lfunc_end213-_ZL8moe_q5_KIN3c104HalfELb0EEvPKvS3_PT_PKiS7_S7_iiiiiii
                                        ; -- End function
	.section	.AMDGPU.csdata,"",@progbits
; Kernel info:
; codeLenInByte = 11148
; NumSgprs: 32
; NumVgprs: 191
; NumAgprs: 0
; TotalNumVgprs: 191
; ScratchSize: 0
; MemoryBound: 0
; FloatMode: 240
; IeeeMode: 1
; LDSByteSize: 37072 bytes/workgroup (compile time only)
; SGPRBlocks: 3
; VGPRBlocks: 23
; NumSGPRsForWavesPerEU: 32
; NumVGPRsForWavesPerEU: 191
; AccumOffset: 192
; Occupancy: 1
; WaveLimiterHint : 1
; COMPUTE_PGM_RSRC2:SCRATCH_EN: 0
; COMPUTE_PGM_RSRC2:USER_SGPR: 6
; COMPUTE_PGM_RSRC2:TRAP_HANDLER: 0
; COMPUTE_PGM_RSRC2:TGID_X_EN: 1
; COMPUTE_PGM_RSRC2:TGID_Y_EN: 1
; COMPUTE_PGM_RSRC2:TGID_Z_EN: 0
; COMPUTE_PGM_RSRC2:TIDIG_COMP_CNT: 1
; COMPUTE_PGM_RSRC3_GFX90A:ACCUM_OFFSET: 47
; COMPUTE_PGM_RSRC3_GFX90A:TG_SPLIT: 0
	.section	.text._ZL8moe_q5_KIN3c104HalfELb1EEvPKvS3_PT_PKiS7_S7_iiiiiii,"axG",@progbits,_ZL8moe_q5_KIN3c104HalfELb1EEvPKvS3_PT_PKiS7_S7_iiiiiii,comdat
	.globl	_ZL8moe_q5_KIN3c104HalfELb1EEvPKvS3_PT_PKiS7_S7_iiiiiii ; -- Begin function _ZL8moe_q5_KIN3c104HalfELb1EEvPKvS3_PT_PKiS7_S7_iiiiiii
	.p2align	8
	.type	_ZL8moe_q5_KIN3c104HalfELb1EEvPKvS3_PT_PKiS7_S7_iiiiiii,@function
_ZL8moe_q5_KIN3c104HalfELb1EEvPKvS3_PT_PKiS7_S7_iiiiiii: ; @_ZL8moe_q5_KIN3c104HalfELb1EEvPKvS3_PT_PKiS7_S7_iiiiiii
; %bb.0:
	s_load_dwordx4 s[0:3], s[4:5], 0x18
	s_mov_b32 s8, s7
	s_mov_b32 s9, 0
	s_lshl_b64 s[10:11], s[8:9], 2
	s_waitcnt lgkmcnt(0)
	s_add_u32 s2, s2, s10
	s_addc_u32 s3, s3, s11
	s_load_dword s2, s[2:3], 0x0
	s_waitcnt lgkmcnt(0)
	s_cmpk_gt_u32 s2, 0xff
	s_cbranch_scc1 .LBB214_19
; %bb.1:
	s_load_dwordx2 s[10:11], s[4:5], 0x28
	s_lshl_b32 s3, s8, 3
	s_waitcnt lgkmcnt(0)
	s_load_dword s7, s[10:11], 0x0
	s_waitcnt lgkmcnt(0)
	s_cmp_gt_u32 s3, s7
	s_cbranch_scc1 .LBB214_19
; %bb.2:
	v_bfe_u32 v1, v0, 10, 10
	v_add_u32_e32 v2, s3, v1
	v_mov_b32_e32 v3, 0
	v_lshlrev_b64 v[4:5], 2, v[2:3]
	v_mov_b32_e32 v2, s1
	v_add_co_u32_e32 v4, vcc, s0, v4
	v_addc_co_u32_e32 v5, vcc, v2, v5, vcc
	global_load_dword v97, v[4:5], off
	s_load_dwordx8 s[8:15], s[4:5], 0x30
	s_load_dwordx2 s[20:21], s[4:5], 0x10
	s_waitcnt lgkmcnt(0)
	s_lshl_b32 s15, s6, 7
	s_mov_b32 s22, 0
	s_cmpk_lt_i32 s9, 0x100
	s_cbranch_scc1 .LBB214_18
; %bb.3:
	s_ashr_i32 s0, s9, 31
	s_lshr_b32 s0, s0, 24
	s_add_i32 s0, s9, s0
	s_ashr_i32 s26, s0, 8
	s_ashr_i32 s0, s12, 31
	s_lshr_b32 s0, s0, 27
	s_add_i32 s0, s12, s0
	v_and_b32_e32 v99, 0x3ff, v0
	s_ashr_i32 s12, s0, 5
	s_not_b32 s0, s15
	v_lshlrev_b32_e32 v2, 1, v99
	v_and_b32_e32 v8, 7, v99
	s_mul_i32 s8, s2, s8
	s_add_i32 s2, s0, s10
	v_and_or_b32 v2, v2, 48, v8
	v_lshlrev_b32_e32 v3, 2, v99
	v_min_i32_e32 v8, s2, v1
	v_lshlrev_b32_e32 v2, 2, v2
	s_movk_i32 s3, 0x104
	v_mul_lo_u32 v9, v8, s26
	v_mad_u64_u32 v[22:23], s[0:1], v8, s3, v[2:3]
	v_add_u32_e32 v8, 8, v1
	v_min_i32_e32 v8, s2, v8
	v_mul_lo_u32 v10, v8, s26
	v_mad_u64_u32 v[24:25], s[0:1], v8, s3, v[2:3]
	v_add_u32_e32 v8, 16, v1
	v_min_i32_e32 v8, s2, v8
	;; [unrolled: 4-line block ×15, first 2 shown]
	v_mad_u64_u32 v[52:53], s[0:1], v8, s3, v[2:3]
	v_lshlrev_b32_e32 v2, 5, v1
	v_mul_lo_u32 v85, v8, s26
	v_add_u32_e32 v8, v2, v99
	v_and_b32_e32 v23, 0x7f, v8
	v_min_i32_e32 v23, s2, v23
	v_ashrrev_i32_e32 v25, 31, v23
	v_lshrrev_b32_e32 v25, 27, v25
	v_add_u32_e32 v25, v23, v25
	v_ashrrev_i32_e32 v25, 5, v25
	v_mul_lo_u32 v89, v23, s26
	v_lshlrev_b32_e32 v25, 2, v25
	v_lshlrev_b32_e32 v23, 2, v23
	s_mov_b32 s3, 0x8e40
	v_add3_u32 v107, v25, v23, s3
	v_and_b32_e32 v23, 3, v99
	v_add_u32_e32 v25, 0xfe, v23
	v_cmp_gt_u32_e32 vcc, 2, v23
	v_lshrrev_b32_e32 v5, 2, v99
	v_cndmask_b32_e32 v25, v25, v23, vcc
	v_and_b32_e32 v101, 6, v5
	v_lshl_add_u32 v5, v1, 3, v5
	v_and_b32_e32 v25, 0xff, v25
	v_cmp_ne_u32_e32 vcc, 0, v23
	v_addc_co_u32_e32 v91, vcc, 0, v25, vcc
	v_and_b32_e32 v5, 0x7f, v5
	v_and_b32_e32 v27, 4, v3
	v_cmp_lt_u32_e32 vcc, 1, v23
	v_lshlrev_b32_e32 v111, 1, v25
	v_min_i32_e32 v25, s2, v5
	v_cndmask_b32_e32 v109, 0, v27, vcc
	v_ashrrev_i32_e32 v27, 31, v25
	v_xor_b32_e32 v5, 64, v5
	v_lshrrev_b32_e32 v27, 29, v27
	v_min_i32_e32 v5, s2, v5
	s_load_dwordx4 s[16:19], s[4:5], 0x0
	v_mul_lo_u32 v93, v25, s26
	v_add_u32_e32 v27, v25, v27
	v_lshlrev_b32_e32 v135, 4, v25
	v_ashrrev_i32_e32 v25, 31, v5
	v_lshrrev_b32_e32 v25, 29, v25
	v_add_u32_e32 v25, v5, v25
	v_ashrrev_i32_e32 v27, 3, v27
	v_ashrrev_i32_e32 v25, 3, v25
	v_and_b32_e32 v7, 28, v3
	v_lshlrev_b32_e32 v27, 2, v27
	v_lshlrev_b32_e32 v23, 2, v23
	s_mov_b32 s0, 0x8200
	v_lshlrev_b32_e32 v25, 2, v25
	v_add3_u32 v134, v27, v23, s0
	v_mul_lo_u32 v95, v5, s26
	v_add3_u32 v136, v25, v23, s0
	v_lshlrev_b32_e32 v137, 4, v5
	s_waitcnt lgkmcnt(0)
	v_mov_b32_e32 v5, s19
	v_add_co_u32_e64 v54, s[0:1], s18, v7
	v_and_or_b32 v2, v99, 31, v2
	v_addc_co_u32_e64 v55, s[0:1], 0, v5, s[0:1]
	v_mov_b32_e32 v5, 0x8a40
	s_movk_i32 s2, 0xffe4
	v_lshl_add_u32 v113, v2, 2, v5
	v_mad_i32_i24 v2, v1, s2, v8
	v_mov_b32_e32 v8, 0x9050
	v_lshrrev_b32_e32 v117, 3, v99
	v_lshrrev_b32_e32 v4, 5, v99
	v_lshl_add_u32 v115, v2, 2, v8
	v_lshl_add_u32 v119, v1, 7, v5
	v_lshlrev_b32_e32 v121, 4, v1
	v_add_u32_e32 v1, v117, v3
	v_mov_b32_e32 v2, 0x8200
	v_lshl_add_u32 v125, v1, 2, v2
	v_lshlrev_b32_e32 v1, 2, v4
	v_add3_u32 v129, v1, v3, s3
	v_add_u32_e32 v1, 32, v99
	v_lshrrev_b32_e32 v131, 3, v1
	v_lshl_add_u32 v1, v1, 2, v131
	v_lshl_add_u32 v144, v1, 2, v2
	v_and_b32_e32 v1, 60, v131
	v_add3_u32 v145, v3, v1, s3
	v_add_u32_e32 v1, 64, v99
	v_lshrrev_b32_e32 v5, 3, v1
	v_lshl_add_u32 v1, v1, 2, v5
	s_abs_i32 s4, s14
	v_lshl_add_u32 v146, v1, 2, v2
	v_and_b32_e32 v1, 60, v5
	v_cvt_f32_u32_e32 v8, s4
	v_add3_u32 v147, v3, v1, s3
	v_add_u32_e32 v1, 0x60, v99
	v_lshrrev_b32_e32 v5, 3, v1
	v_lshl_add_u32 v1, v1, 2, v5
	v_lshl_add_u32 v148, v1, 2, v2
	v_rcp_iflag_f32_e32 v2, v8
	s_sub_i32 s2, 0, s4
	v_and_b32_e32 v1, 60, v5
	v_and_b32_e32 v6, 0x7c, v3
	v_mul_f32_e32 v2, 0x4f7ffffe, v2
	v_cvt_u32_f32_e32 v2, v2
	v_add3_u32 v149, v3, v1, s3
	s_waitcnt vmcnt(0)
	v_sub_u32_e32 v3, 0, v97
	v_max_i32_e32 v3, v97, v3
	v_mul_lo_u32 v5, s2, v2
	v_mul_hi_u32 v5, v2, v5
	v_add_u32_e32 v2, v2, v5
	v_mul_hi_u32 v2, v3, v2
	v_mul_lo_u32 v5, v2, s4
	v_sub_u32_e32 v3, v3, v5
	v_add_u32_e32 v5, 1, v2
	v_cmp_le_u32_e64 s[2:3], s4, v3
	v_cndmask_b32_e64 v2, v2, v5, s[2:3]
	v_subrev_u32_e32 v5, s4, v3
	v_cndmask_b32_e64 v3, v3, v5, s[2:3]
	v_xor_b32_e32 v1, s14, v97
	v_add_u32_e32 v5, 1, v2
	v_cmp_le_u32_e64 s[2:3], s4, v3
	s_mul_i32 s23, s26, s15
	v_ashrrev_i32_e32 v1, 31, v1
	v_cndmask_b32_e64 v2, v2, v5, s[2:3]
	v_xor_b32_e32 v2, v2, v1
	s_mul_hi_i32 s25, s23, 0xb0
	s_mul_i32 s24, s23, 0xb0
	v_sub_u32_e32 v1, v2, v1
	s_movk_i32 s10, 0xb0
	v_pk_mov_b32 v[2:3], s[24:25], s[24:25] op_sel:[0,1]
	v_mad_u64_u32 v[2:3], s[4:5], v4, s10, v[2:3]
	v_mad_i64_i32 v[4:5], s[4:5], v9, s10, v[2:3]
	v_add_co_u32_e64 v8, s[4:5], v4, v7
	v_addc_co_u32_e64 v9, s[4:5], 0, v5, s[4:5]
	v_mov_b32_e32 v130, s17
	v_add_co_u32_e64 v8, s[4:5], s16, v8
	v_addc_co_u32_e64 v9, s[4:5], v9, v130, s[4:5]
	v_add_co_u32_e64 v58, s[4:5], 16, v8
	v_addc_co_u32_e64 v23, s[4:5], 0, v9, s[4:5]
	v_add_co_u32_e64 v4, s[4:5], v4, v6
	v_addc_co_u32_e64 v5, s[4:5], 0, v5, s[4:5]
	v_add_co_u32_e64 v4, s[4:5], s16, v4
	v_addc_co_u32_e64 v5, s[4:5], v5, v130, s[4:5]
	v_add_co_u32_e64 v60, s[4:5], 48, v4
	v_addc_co_u32_e64 v25, s[4:5], 0, v5, s[4:5]
	v_mad_i64_i32 v[4:5], s[4:5], v10, s10, v[2:3]
	v_add_co_u32_e64 v8, s[4:5], v4, v7
	v_addc_co_u32_e64 v9, s[4:5], 0, v5, s[4:5]
	v_add_co_u32_e64 v8, s[4:5], s16, v8
	v_addc_co_u32_e64 v9, s[4:5], v9, v130, s[4:5]
	v_add_co_u32_e64 v62, s[4:5], 16, v8
	v_addc_co_u32_e64 v27, s[4:5], 0, v9, s[4:5]
	v_add_co_u32_e64 v4, s[4:5], v4, v6
	v_addc_co_u32_e64 v5, s[4:5], 0, v5, s[4:5]
	v_add_co_u32_e64 v4, s[4:5], s16, v4
	v_addc_co_u32_e64 v5, s[4:5], v5, v130, s[4:5]
	v_add_co_u32_e64 v64, s[4:5], 48, v4
	v_addc_co_u32_e64 v29, s[4:5], 0, v5, s[4:5]
	v_mad_i64_i32 v[4:5], s[4:5], v11, s10, v[2:3]
	v_add_co_u32_e64 v8, s[4:5], v4, v7
	v_addc_co_u32_e64 v9, s[4:5], 0, v5, s[4:5]
	;; [unrolled: 13-line block ×15, first 2 shown]
	v_add_co_u32_e64 v4, s[4:5], s16, v4
	v_addc_co_u32_e64 v5, s[4:5], v5, v130, s[4:5]
	v_add_co_u32_e64 v118, s[4:5], 16, v4
	v_addc_co_u32_e64 v85, s[4:5], 0, v5, s[4:5]
	v_add_co_u32_e64 v2, s[4:5], v2, v6
	v_addc_co_u32_e64 v3, s[4:5], 0, v3, s[4:5]
	v_add_co_u32_e64 v2, s[4:5], s16, v2
	s_ashr_i32 s27, s8, 31
	v_addc_co_u32_e64 v3, s[4:5], v3, v130, s[4:5]
	s_add_u32 s6, s18, 0x90
	v_add_co_u32_e64 v120, s[4:5], 48, v2
	s_addc_u32 s7, s19, 0
	v_addc_co_u32_e64 v87, s[4:5], 0, v3, s[4:5]
	s_add_u32 s4, s16, s24
	s_addc_u32 s5, s17, s25
	v_pk_mov_b32 v[2:3], s[4:5], s[4:5] op_sel:[0,1]
	v_mad_i64_i32 v[122:123], s[4:5], v89, s10, v[2:3]
	v_mad_i64_i32 v[2:3], s[4:5], v93, s10, 0
	v_mov_b32_e32 v4, 0xb0
	v_mad_i64_i32 v[2:3], s[4:5], s23, v4, v[2:3]
	v_lshlrev_b32_e32 v5, 2, v91
	v_add_co_u32_e64 v6, s[4:5], v2, v5
	v_addc_co_u32_e64 v7, s[4:5], 0, v3, s[4:5]
	v_add_co_u32_e64 v6, s[4:5], s16, v6
	v_addc_co_u32_e64 v7, s[4:5], v7, v130, s[4:5]
	v_add_co_u32_e64 v124, s[4:5], 4, v6
	v_cndmask_b32_e64 v6, 0, 1, vcc
	v_lshlrev_b32_e32 v6, 2, v6
	v_or_b32_e32 v2, v2, v6
	v_add_co_u32_e32 v2, vcc, s16, v2
	v_addc_co_u32_e32 v3, vcc, v3, v130, vcc
	v_add_co_u32_e32 v126, vcc, 4, v2
	v_addc_co_u32_e64 v89, s[4:5], 0, v7, s[4:5]
	v_addc_co_u32_e32 v91, vcc, 0, v3, vcc
	v_mad_i64_i32 v[2:3], s[4:5], v95, s10, 0
	v_mad_i64_i32 v[2:3], s[4:5], s23, v4, v[2:3]
	v_add_co_u32_e32 v4, vcc, v2, v5
	v_addc_co_u32_e32 v5, vcc, 0, v3, vcc
	v_add_co_u32_e32 v4, vcc, s16, v4
	v_addc_co_u32_e32 v5, vcc, v5, v130, vcc
	v_add_co_u32_e32 v128, vcc, 4, v4
	v_addc_co_u32_e32 v93, vcc, 0, v5, vcc
	v_or_b32_e32 v2, v2, v6
	v_add_co_u32_e32 v2, vcc, s16, v2
	v_addc_co_u32_e32 v3, vcc, v3, v130, vcc
	v_mul_lo_u32 v56, v1, s12
	v_add_co_u32_e32 v130, vcc, 4, v2
	s_mov_b32 s23, s22
	v_mov_b32_e32 v105, 0
	v_or_b32_e32 v103, 1, v101
	v_cmp_gt_u32_e64 s[0:1], 4, v99
	v_mul_u32_u24_e32 v127, 0x104, v99
	v_cmp_gt_i32_e64 s[2:3], s11, v1
	v_ashrrev_i32_e32 v1, 31, v56
	v_addc_co_u32_e32 v95, vcc, 0, v3, vcc
	s_movk_i32 s10, 0x80
	v_pk_mov_b32 v[132:133], s[22:23], s[22:23] op_sel:[0,1]
	s_mov_b32 s16, 0x10101010
	s_mov_b32 s17, 0x30303030
	v_add_u32_e32 v150, v134, v135
	v_add_u32_e32 v151, v136, v137
	v_mov_b32_e32 v152, 0
	s_branch .LBB214_6
.LBB214_4:                              ;   in Loop: Header=BB214_6 Depth=1
	s_or_b64 exec, exec, s[4:5]
	s_waitcnt lgkmcnt(0)
	s_barrier
	ds_read_b128 v[18:21], v119
	ds_read_b128 v[14:17], v119 offset:16
	ds_read_b128 v[2:5], v121 offset:36944
	ds_read2_b32 v[134:135], v127 offset0:32 offset1:33
	ds_read_b128 v[10:13], v119 offset:32
	ds_read_b128 v[6:9], v119 offset:48
	ds_read_b32 v153, v129
	ds_read2_b32 v[136:137], v127 offset0:34 offset1:35
	v_mov_b32_e32 v161, 0
	s_waitcnt lgkmcnt(4)
	v_dot4c_i32_i8_e32 v161, v134, v18
	v_dot4c_i32_i8_e32 v161, v135, v19
	ds_read2_b32 v[138:139], v127 offset0:36 offset1:37
	ds_read2_b32 v[140:141], v127 offset0:38 offset1:39
	;; [unrolled: 1-line block ×3, first 2 shown]
	s_waitcnt lgkmcnt(3)
	v_dot4c_i32_i8_e32 v161, v136, v20
	v_dot4c_i32_i8_e32 v161, v137, v21
	ds_read2_b32 v[136:137], v127 offset0:42 offset1:43
	v_mov_b32_e32 v172, 0
	s_waitcnt lgkmcnt(3)
	v_dot4c_i32_i8_e32 v161, v138, v14
	s_waitcnt lgkmcnt(1)
	v_dot4c_i32_i8_e32 v172, v142, v10
	v_dot4c_i32_i8_e32 v161, v139, v15
	;; [unrolled: 1-line block ×4, first 2 shown]
	s_waitcnt lgkmcnt(0)
	v_dot4c_i32_i8_e32 v172, v136, v12
	v_add_u32_e32 v136, 0x2100, v127
	ds_read2_b32 v[134:135], v125 offset0:1 offset1:3
	v_dot4c_i32_i8_e32 v161, v141, v17
	ds_read2_b32 v[138:139], v127 offset0:44 offset1:45
	ds_read2_b32 v[140:141], v127 offset0:46 offset1:47
	;; [unrolled: 1-line block ×3, first 2 shown]
	v_dot4c_i32_i8_e32 v172, v137, v13
	ds_read2_b32 v[154:155], v127 offset0:58 offset1:59
	ds_read2_b32 v[156:157], v127 offset0:60 offset1:61
	;; [unrolled: 1-line block ×3, first 2 shown]
	ds_read2_b32 v[136:137], v136 offset1:1
	v_mov_b32_e32 v168, 0
	v_cvt_f32_f16_e32 v160, v153
	v_cvt_f32_f16_sdwa v162, v153 dst_sel:DWORD dst_unused:UNUSED_PAD src0_sel:WORD_1
	ds_read_b32 v173, v145 offset:128
	ds_read_b32 v174, v147 offset:256
	;; [unrolled: 1-line block ×3, first 2 shown]
	s_waitcnt lgkmcnt(3)
	v_dot4c_i32_i8_e32 v168, v136, v18
	v_add_u32_e32 v136, 0x2108, v127
	v_dot4c_i32_i8_e32 v168, v137, v19
	ds_read2_b32 v[136:137], v136 offset1:1
	v_dot4c_i32_i8_e32 v172, v138, v6
	v_dot4c_i32_i8_e32 v172, v139, v7
	;; [unrolled: 1-line block ×3, first 2 shown]
	v_add_u32_e32 v138, 0x2110, v127
	v_dot4c_i32_i8_e32 v172, v141, v9
	v_add_u32_e32 v140, 0x2118, v127
	v_add_u32_e32 v141, 0x2120, v127
	ds_read2_b32 v[138:139], v138 offset1:1
	ds_read2_b32 v[164:165], v140 offset1:1
	;; [unrolled: 1-line block ×3, first 2 shown]
	s_waitcnt lgkmcnt(3)
	v_dot4c_i32_i8_e32 v168, v136, v20
	ds_read2_b32 v[140:141], v144 offset0:1 offset1:3
	v_dot4c_i32_i8_e32 v168, v137, v21
	s_waitcnt lgkmcnt(3)
	v_dot4c_i32_i8_e32 v168, v138, v14
	v_dot4c_i32_i8_e32 v168, v139, v15
	s_waitcnt lgkmcnt(2)
	v_dot4c_i32_i8_e32 v168, v164, v16
	v_dot4c_i32_i8_e32 v168, v165, v17
	s_waitcnt lgkmcnt(0)
	v_and_b32_e32 v136, 0xff, v140
	v_add_u32_e32 v138, 0x2130, v127
	v_add_u32_e32 v164, 0x2138, v127
	v_mul_lo_u32 v136, v168, v136
	v_cvt_f32_i32_e32 v176, v136
	v_add_u32_e32 v136, 0x2128, v127
	ds_read2_b32 v[136:137], v136 offset1:1
	v_mov_b32_e32 v168, 0
	v_dot4c_i32_i8_e32 v168, v166, v10
	v_add_u32_e32 v166, 0x4180, v127
	v_dot4c_i32_i8_e32 v168, v167, v11
	ds_read2_b32 v[138:139], v138 offset1:1
	ds_read2_b32 v[164:165], v164 offset1:1
	;; [unrolled: 1-line block ×3, first 2 shown]
	s_waitcnt lgkmcnt(3)
	v_dot4c_i32_i8_e32 v168, v136, v12
	v_dot4c_i32_i8_e32 v168, v137, v13
	s_waitcnt lgkmcnt(2)
	v_dot4c_i32_i8_e32 v168, v138, v6
	v_dot4c_i32_i8_e32 v168, v139, v7
	;; [unrolled: 3-line block ×3, first 2 shown]
	v_bfe_u32 v136, v140, 8, 8
	v_mov_b32_e32 v170, 0
	s_waitcnt lgkmcnt(0)
	v_dot4c_i32_i8_e32 v170, v166, v18
	v_mul_lo_u32 v136, v168, v136
	v_cvt_f32_i32_e32 v178, v136
	v_add_u32_e32 v136, 0x4188, v127
	ds_read2_b32 v[136:137], v136 offset1:1
	v_add_u32_e32 v138, 0x4190, v127
	v_add_u32_e32 v168, 0x41a0, v127
	v_dot4c_i32_i8_e32 v170, v167, v19
	v_add_u32_e32 v139, 0x4198, v127
	ds_read2_b32 v[164:165], v138 offset1:1
	ds_read2_b32 v[166:167], v139 offset1:1
	;; [unrolled: 1-line block ×3, first 2 shown]
	s_waitcnt lgkmcnt(3)
	v_dot4c_i32_i8_e32 v170, v136, v20
	ds_read2_b32 v[138:139], v146 offset0:1 offset1:3
	v_dot4c_i32_i8_e32 v170, v137, v21
	s_waitcnt lgkmcnt(3)
	v_dot4c_i32_i8_e32 v170, v164, v14
	v_dot4c_i32_i8_e32 v170, v165, v15
	s_waitcnt lgkmcnt(2)
	v_dot4c_i32_i8_e32 v170, v166, v16
	v_dot4c_i32_i8_e32 v170, v167, v17
	s_waitcnt lgkmcnt(0)
	v_and_b32_e32 v136, 0xff, v138
	v_add_u32_e32 v164, 0x41b0, v127
	v_add_u32_e32 v166, 0x41b8, v127
	v_mul_lo_u32 v136, v170, v136
	v_cvt_f32_i32_e32 v181, v136
	v_add_u32_e32 v136, 0x41a8, v127
	ds_read2_b32 v[136:137], v136 offset1:1
	v_mov_b32_e32 v170, 0
	v_dot4c_i32_i8_e32 v170, v168, v10
	v_add_u32_e32 v168, 0x6200, v127
	v_dot4c_i32_i8_e32 v170, v169, v11
	ds_read2_b32 v[164:165], v164 offset1:1
	ds_read2_b32 v[166:167], v166 offset1:1
	;; [unrolled: 1-line block ×3, first 2 shown]
	s_waitcnt lgkmcnt(3)
	v_dot4c_i32_i8_e32 v170, v136, v12
	v_dot4c_i32_i8_e32 v170, v137, v13
	s_waitcnt lgkmcnt(2)
	v_dot4c_i32_i8_e32 v170, v164, v6
	v_dot4c_i32_i8_e32 v170, v165, v7
	;; [unrolled: 3-line block ×3, first 2 shown]
	v_bfe_u32 v136, v138, 8, 8
	v_add_u32_e32 v137, 0x6218, v127
	v_mov_b32_e32 v190, 0
	v_mul_lo_u32 v136, v170, v136
	v_mov_b32_e32 v170, 0
	s_waitcnt lgkmcnt(0)
	v_dot4c_i32_i8_e32 v170, v168, v18
	v_add_u32_e32 v18, 0x6208, v127
	v_dot4c_i32_i8_e32 v170, v169, v19
	ds_read2_b32 v[18:19], v18 offset1:1
	v_cvt_f32_i32_e32 v183, v136
	v_add_u32_e32 v136, 0x6210, v127
	v_add_u32_e32 v168, 0x6220, v127
	ds_read2_b32 v[164:165], v136 offset1:1
	ds_read2_b32 v[166:167], v137 offset1:1
	;; [unrolled: 1-line block ×3, first 2 shown]
	s_waitcnt lgkmcnt(3)
	v_dot4c_i32_i8_e32 v170, v18, v20
	ds_read2_b32 v[136:137], v148 offset0:1 offset1:3
	v_dot4c_i32_i8_e32 v170, v19, v21
	s_waitcnt lgkmcnt(3)
	v_dot4c_i32_i8_e32 v170, v164, v14
	v_mov_b32_e32 v18, 0
	v_dot4c_i32_i8_e32 v170, v165, v15
	s_waitcnt lgkmcnt(1)
	v_dot4c_i32_i8_e32 v18, v168, v10
	v_add_u32_e32 v10, 0x6228, v127
	v_dot4c_i32_i8_e32 v170, v166, v16
	v_dot4c_i32_i8_e32 v18, v169, v11
	ds_read2_b32 v[10:11], v10 offset1:1
	v_dot4c_i32_i8_e32 v170, v167, v17
	s_waitcnt lgkmcnt(1)
	v_and_b32_e32 v14, 0xff, v136
	v_add_u32_e32 v16, 0x6238, v127
	v_add_u32_e32 v19, 0x2140, v127
	v_mul_lo_u32 v14, v170, v14
	v_cvt_f32_i32_e32 v186, v14
	v_add_u32_e32 v14, 0x6230, v127
	ds_read2_b32 v[14:15], v14 offset1:1
	ds_read2_b32 v[16:17], v16 offset1:1
	;; [unrolled: 1-line block ×3, first 2 shown]
	s_waitcnt lgkmcnt(3)
	v_dot4c_i32_i8_e32 v18, v10, v12
	v_dot4c_i32_i8_e32 v18, v11, v13
	s_waitcnt lgkmcnt(2)
	v_dot4c_i32_i8_e32 v18, v14, v6
	v_dot4c_i32_i8_e32 v18, v15, v7
	;; [unrolled: 3-line block ×3, first 2 shown]
	v_bfe_u32 v6, v136, 8, 8
	v_lshrrev_b32_e32 v163, 24, v134
	v_cvt_f32_ubyte0_e32 v177, v141
	v_mul_lo_u32 v6, v18, v6
	v_cvt_f32_i32_e32 v188, v6
	ds_read_b128 v[18:21], v119 offset:64
	ds_read_b128 v[14:17], v119 offset:80
	;; [unrolled: 1-line block ×4, first 2 shown]
	ds_read2_b32 v[166:167], v127 offset0:50 offset1:51
	s_waitcnt lgkmcnt(4)
	v_dot4c_i32_i8_e32 v190, v142, v18
	v_dot4c_i32_i8_e32 v190, v143, v19
	ds_read2_b32 v[142:143], v127 offset0:52 offset1:53
	ds_read2_b32 v[168:169], v127 offset0:54 offset1:55
	;; [unrolled: 1-line block ×3, first 2 shown]
	v_cvt_f32_ubyte0_e32 v182, v139
	s_waitcnt lgkmcnt(3)
	v_dot4c_i32_i8_e32 v190, v166, v20
	v_mov_b32_e32 v166, 0
	v_dot4c_i32_i8_e32 v190, v167, v21
	s_waitcnt lgkmcnt(0)
	v_dot4c_i32_i8_e32 v166, v170, v10
	v_dot4c_i32_i8_e32 v166, v171, v11
	;; [unrolled: 1-line block ×10, first 2 shown]
	v_cvt_f32_f16_e32 v155, v4
	v_cvt_f32_f16_sdwa v143, v4 dst_sel:DWORD dst_unused:UNUSED_PAD src0_sel:WORD_1
	v_and_b32_e32 v4, 0xff, v134
	v_bfe_u32 v156, v134, 16, 8
	v_dot4c_i32_i8_e32 v166, v158, v8
	v_mul_lo_u32 v4, v161, v4
	v_mul_lo_u32 v156, v190, v156
	v_dot4c_i32_i8_e32 v166, v159, v9
	v_cvt_f32_f16_e32 v154, v2
	v_cvt_f32_i32_e32 v159, v156
	v_cvt_f32_i32_e32 v158, v4
	v_bfe_u32 v134, v134, 8, 8
	v_mul_lo_u32 v134, v172, v134
	v_cvt_f32_f16_sdwa v142, v2 dst_sel:DWORD dst_unused:UNUSED_PAD src0_sel:WORD_1
	v_pk_fma_f32 v[158:159], v[154:155], v[158:159], 0 op_sel_hi:[1,1,0]
	v_mul_lo_u32 v154, v166, v163
	v_cvt_f32_f16_e32 v157, v5
	v_cvt_f32_f16_e32 v156, v3
	v_cvt_f32_i32_e32 v167, v154
	v_cvt_f32_i32_e32 v166, v134
	v_cvt_f32_f16_sdwa v5, v5 dst_sel:DWORD dst_unused:UNUSED_PAD src0_sel:WORD_1
	v_cvt_f32_f16_sdwa v4, v3 dst_sel:DWORD dst_unused:UNUSED_PAD src0_sel:WORD_1
	v_cvt_f32_ubyte2_e32 v169, v135
	v_cvt_f32_ubyte0_e32 v168, v135
	v_cvt_f32_ubyte0_e32 v187, v137
	v_pk_fma_f32 v[168:169], v[142:143], v[168:169], 0 op_sel_hi:[1,1,0]
	v_pk_fma_f32 v[158:159], v[156:157], v[166:167], v[158:159]
	v_cvt_f32_ubyte3_e32 v167, v135
	v_cvt_f32_ubyte1_e32 v166, v135
	v_fma_mix_f32 v154, v2, v181, 0 op_sel_hi:[1,0,0]
	v_cvt_f32_ubyte1_e32 v189, v137
	v_pk_fma_f32 v[134:135], v[4:5], v[166:167], v[168:169]
	v_fma_mix_f32 v4, v2, v176, 0 op_sel_hi:[1,0,0]
	v_fma_mix_f32 v142, v2, v177, 0 op_sel:[1,0,0] op_sel_hi:[1,0,0]
	v_fma_mix_f32 v156, v2, v182, 0 op_sel:[1,0,0] op_sel_hi:[1,0,0]
	v_fma_mix_f32 v166, v3, v183, v154 op_sel_hi:[1,0,0]
	v_fma_mix_f32 v154, v2, v186, 0 op_sel_hi:[1,0,0]
	v_fma_mix_f32 v2, v2, v187, 0 op_sel:[1,0,0] op_sel_hi:[1,0,0]
	v_cvt_f32_ubyte1_e32 v179, v141
	v_cvt_f32_ubyte1_e32 v184, v139
	v_fma_mix_f32 v169, v3, v189, v2 op_sel:[1,0,0] op_sel_hi:[1,0,0]
	v_add_u32_e32 v2, 0x2148, v127
	v_fma_mix_f32 v4, v3, v178, v4 op_sel_hi:[1,0,0]
	v_fma_mix_f32 v142, v3, v179, v142 op_sel:[1,0,0] op_sel_hi:[1,0,0]
	v_fma_mix_f32 v167, v3, v184, v156 op_sel:[1,0,0] op_sel_hi:[1,0,0]
	v_fma_mix_f32 v168, v3, v188, v154 op_sel_hi:[1,0,0]
	ds_read2_b32 v[2:3], v2 offset1:1
	v_pk_mul_f32 v[134:135], v[134:135], v[162:163] op_sel_hi:[1,0]
	v_mov_b32_e32 v154, 0
	v_pk_fma_f32 v[134:135], v[158:159], v[160:161], v[134:135] op_sel_hi:[1,0,1] neg_lo:[0,0,1] neg_hi:[0,0,1]
	v_dot4c_i32_i8_e32 v154, v164, v18
	v_add_u32_e32 v156, 0x2150, v127
	v_add_u32_e32 v160, 0x2158, v127
	;; [unrolled: 1-line block ×3, first 2 shown]
	v_dot4c_i32_i8_e32 v154, v165, v19
	ds_read2_b32 v[158:159], v156 offset1:1
	ds_read2_b32 v[160:161], v160 offset1:1
	;; [unrolled: 1-line block ×3, first 2 shown]
	s_waitcnt lgkmcnt(3)
	v_dot4c_i32_i8_e32 v154, v2, v20
	v_dot4c_i32_i8_e32 v154, v3, v21
	s_waitcnt lgkmcnt(2)
	v_dot4c_i32_i8_e32 v154, v158, v14
	v_dot4c_i32_i8_e32 v154, v159, v15
	;; [unrolled: 3-line block ×3, first 2 shown]
	v_bfe_u32 v2, v140, 16, 8
	v_lshrrev_b32_e32 v175, 24, v140
	v_mov_b32_e32 v140, 0
	v_mul_lo_u32 v2, v154, v2
	v_add_u32_e32 v154, 0x2168, v127
	ds_read2_b32 v[158:159], v154 offset1:1
	s_waitcnt lgkmcnt(1)
	v_dot4c_i32_i8_e32 v140, v162, v10
	v_add_u32_e32 v156, 0x2170, v127
	v_add_u32_e32 v162, 0x2178, v127
	v_dot4c_i32_i8_e32 v140, v163, v11
	v_add_u32_e32 v154, 0x41c0, v127
	ds_read2_b32 v[160:161], v156 offset1:1
	ds_read2_b32 v[162:163], v162 offset1:1
	ds_read2_b32 v[164:165], v154 offset1:1
	s_waitcnt lgkmcnt(3)
	v_dot4c_i32_i8_e32 v140, v158, v12
	v_dot4c_i32_i8_e32 v140, v159, v13
	s_waitcnt lgkmcnt(2)
	v_dot4c_i32_i8_e32 v140, v160, v6
	v_dot4c_i32_i8_e32 v140, v161, v7
	s_waitcnt lgkmcnt(1)
	v_dot4c_i32_i8_e32 v140, v162, v8
	v_cvt_f32_f16_sdwa v159, v173 dst_sel:DWORD dst_unused:UNUSED_PAD src0_sel:WORD_1
	v_dot4c_i32_i8_e32 v140, v163, v9
	v_cvt_f32_i32_e32 v2, v2
	v_cvt_f32_f16_e32 v158, v173
	v_mul_f32_e32 v142, v142, v159
	v_mul_lo_u32 v140, v140, v175
	v_cvt_f32_i32_e32 v140, v140
	v_cvt_f32_ubyte2_e32 v3, v141
	v_fma_mix_f32 v161, v4, v173, -v142 op_sel_hi:[0,1,0]
	v_mov_b32_e32 v142, v155
	v_cvt_f32_ubyte3_e32 v141, v141
	v_pk_fma_f32 v[2:3], v[142:143], v[2:3], 0 op_sel_hi:[1,1,0]
	v_mov_b32_e32 v4, v157
	v_pk_fma_f32 v[2:3], v[4:5], v[140:141], v[2:3]
	v_pk_mul_f32 v[140:141], v[2:3], v[158:159]
	v_mov_b32_e32 v141, v140
	v_mov_b32_e32 v160, v134
	v_pk_fma_f32 v[2:3], v[2:3], v[158:159], v[140:141] neg_lo:[1,0,0] neg_hi:[1,0,0]
	v_pk_add_f32 v[132:133], v[132:133], v[160:161]
	v_mov_b32_e32 v2, v135
	v_pk_add_f32 v[132:133], v[132:133], v[2:3]
	v_add_u32_e32 v2, 0x41c8, v127
	ds_read2_b32 v[2:3], v2 offset1:1
	v_mov_b32_e32 v156, 0
	s_waitcnt lgkmcnt(1)
	v_dot4c_i32_i8_e32 v156, v164, v18
	v_add_u32_e32 v134, 0x41d0, v127
	v_add_u32_e32 v140, 0x41d8, v127
	;; [unrolled: 1-line block ×3, first 2 shown]
	v_dot4c_i32_i8_e32 v156, v165, v19
	ds_read2_b32 v[134:135], v134 offset1:1
	ds_read2_b32 v[140:141], v140 offset1:1
	;; [unrolled: 1-line block ×3, first 2 shown]
	s_waitcnt lgkmcnt(3)
	v_dot4c_i32_i8_e32 v156, v2, v20
	v_dot4c_i32_i8_e32 v156, v3, v21
	s_waitcnt lgkmcnt(2)
	v_dot4c_i32_i8_e32 v156, v134, v14
	v_add_u32_e32 v134, 0x41e8, v127
	v_dot4c_i32_i8_e32 v156, v135, v15
	ds_read2_b32 v[134:135], v134 offset1:1
	s_waitcnt lgkmcnt(2)
	v_dot4c_i32_i8_e32 v156, v140, v16
	v_lshrrev_b32_e32 v180, 24, v138
	v_dot4c_i32_i8_e32 v156, v141, v17
	v_bfe_u32 v2, v138, 16, 8
	v_mov_b32_e32 v138, 0
	s_waitcnt lgkmcnt(1)
	v_dot4c_i32_i8_e32 v138, v154, v10
	v_mul_lo_u32 v2, v156, v2
	v_add_u32_e32 v140, 0x41f0, v127
	v_add_u32_e32 v154, 0x41f8, v127
	;; [unrolled: 1-line block ×3, first 2 shown]
	v_dot4c_i32_i8_e32 v138, v155, v11
	ds_read2_b32 v[140:141], v140 offset1:1
	ds_read2_b32 v[154:155], v154 offset1:1
	;; [unrolled: 1-line block ×3, first 2 shown]
	s_waitcnt lgkmcnt(3)
	v_dot4c_i32_i8_e32 v138, v134, v12
	v_dot4c_i32_i8_e32 v138, v135, v13
	s_waitcnt lgkmcnt(2)
	v_dot4c_i32_i8_e32 v138, v140, v6
	v_dot4c_i32_i8_e32 v138, v141, v7
	;; [unrolled: 3-line block ×3, first 2 shown]
	v_cvt_f32_i32_e32 v2, v2
	v_cvt_f32_f16_sdwa v135, v174 dst_sel:DWORD dst_unused:UNUSED_PAD src0_sel:WORD_1
	v_cvt_f32_ubyte2_e32 v3, v139
	v_mul_lo_u32 v134, v138, v180
	v_cvt_f32_i32_e32 v138, v134
	v_cvt_f32_f16_e32 v134, v174
	v_cvt_f32_ubyte3_e32 v139, v139
	v_pk_fma_f32 v[2:3], v[142:143], v[2:3], 0 op_sel_hi:[1,1,0]
	v_mul_f32_e32 v140, v167, v135
	v_pk_fma_f32 v[2:3], v[4:5], v[138:139], v[2:3]
	v_fma_mix_f32 v140, v166, v174, -v140 op_sel_hi:[0,1,0]
	v_pk_mul_f32 v[2:3], v[2:3], v[134:135]
	v_add_f32_e32 v105, v105, v140
	v_sub_f32_e32 v2, v2, v3
	v_add_f32_e32 v105, v105, v2
	v_add_u32_e32 v2, 0x6248, v127
	ds_read2_b32 v[2:3], v2 offset1:1
	v_mov_b32_e32 v140, 0
	s_waitcnt lgkmcnt(1)
	v_dot4c_i32_i8_e32 v140, v156, v18
	v_add_u32_e32 v18, 0x6250, v127
	v_add_u32_e32 v134, 0x6258, v127
	;; [unrolled: 1-line block ×3, first 2 shown]
	v_dot4c_i32_i8_e32 v140, v157, v19
	ds_read2_b32 v[18:19], v18 offset1:1
	ds_read2_b32 v[134:135], v134 offset1:1
	;; [unrolled: 1-line block ×3, first 2 shown]
	s_waitcnt lgkmcnt(3)
	v_dot4c_i32_i8_e32 v140, v2, v20
	v_dot4c_i32_i8_e32 v140, v3, v21
	s_waitcnt lgkmcnt(2)
	v_dot4c_i32_i8_e32 v140, v18, v14
	v_mov_b32_e32 v18, 0
	s_waitcnt lgkmcnt(0)
	v_dot4c_i32_i8_e32 v18, v138, v10
	v_add_u32_e32 v10, 0x6268, v127
	v_dot4c_i32_i8_e32 v18, v139, v11
	ds_read2_b32 v[10:11], v10 offset1:1
	v_add_u32_e32 v14, 0x6270, v127
	v_dot4c_i32_i8_e32 v140, v19, v15
	ds_read2_b32 v[14:15], v14 offset1:1
	v_dot4c_i32_i8_e32 v140, v134, v16
	v_add_u32_e32 v16, 0x6278, v127
	v_dot4c_i32_i8_e32 v140, v135, v17
	ds_read2_b32 v[16:17], v16 offset1:1
	s_waitcnt lgkmcnt(2)
	v_dot4c_i32_i8_e32 v18, v10, v12
	v_dot4c_i32_i8_e32 v18, v11, v13
	s_waitcnt lgkmcnt(1)
	v_dot4c_i32_i8_e32 v18, v14, v6
	v_dot4c_i32_i8_e32 v18, v15, v7
	v_bfe_u32 v2, v136, 16, 8
	s_waitcnt lgkmcnt(0)
	v_dot4c_i32_i8_e32 v18, v16, v8
	v_lshrrev_b32_e32 v185, 24, v136
	v_mul_lo_u32 v2, v140, v2
	v_dot4c_i32_i8_e32 v18, v17, v9
	v_cvt_f32_i32_e32 v2, v2
	v_cvt_f32_f16_sdwa v7, v153 dst_sel:DWORD dst_unused:UNUSED_PAD src0_sel:WORD_1
	v_cvt_f32_ubyte2_e32 v3, v137
	v_mul_lo_u32 v6, v18, v185
	v_cvt_f32_i32_e32 v8, v6
	v_cvt_f32_f16_e32 v6, v153
	v_cvt_f32_ubyte3_e32 v9, v137
	v_pk_fma_f32 v[2:3], v[142:143], v[2:3], 0 op_sel_hi:[1,1,0]
	v_mul_f32_e32 v10, v169, v7
	v_pk_fma_f32 v[2:3], v[4:5], v[8:9], v[2:3]
	v_fma_mix_f32 v10, v168, v153, -v10 op_sel_hi:[0,1,0]
	v_pk_mul_f32 v[2:3], v[2:3], v[6:7]
	v_add_f32_e32 v10, v152, v10
	v_sub_f32_e32 v2, v2, v3
	v_add_f32_e32 v152, v10, v2
	s_barrier
.LBB214_5:                              ;   in Loop: Header=BB214_6 Depth=1
	v_add_co_u32_e32 v58, vcc, 0xb0, v58
	v_addc_co_u32_e32 v23, vcc, 0, v23, vcc
	v_add_co_u32_e32 v60, vcc, 0xb0, v60
	v_addc_co_u32_e32 v25, vcc, 0, v25, vcc
	;; [unrolled: 2-line block ×36, first 2 shown]
	s_add_i32 s26, s26, -1
	s_addk_i32 s10, 0x100
	v_add_co_u32_e32 v130, vcc, 0xb0, v130
	v_add_u32_e32 v99, 8, v99
	v_add_u32_e32 v131, 8, v131
	;; [unrolled: 1-line block ×3, first 2 shown]
	s_cmp_eq_u32 s26, 0
	v_addc_co_u32_e32 v95, vcc, 0, v95, vcc
	s_cbranch_scc1 .LBB214_20
.LBB214_6:                              ; =>This Inner Loop Header: Depth=1
	v_mov_b32_e32 v6, s27
	v_add_co_u32_e32 v2, vcc, s8, v60
	v_addc_co_u32_e32 v3, vcc, v25, v6, vcc
	global_load_dword v7, v[2:3], off
	v_add_co_u32_e32 v2, vcc, s8, v58
	v_addc_co_u32_e32 v3, vcc, v23, v6, vcc
	global_load_dword v8, v[2:3], off
	v_add_co_u32_e32 v2, vcc, s8, v64
	v_addc_co_u32_e32 v3, vcc, v29, v6, vcc
	v_add_co_u32_e32 v4, vcc, s8, v62
	v_addc_co_u32_e32 v5, vcc, v27, v6, vcc
	global_load_dword v9, v[2:3], off
	v_add_co_u32_e32 v2, vcc, s8, v68
	v_addc_co_u32_e32 v3, vcc, v33, v6, vcc
	global_load_dword v10, v[4:5], off
	;; [unrolled: 3-line block ×13, first 2 shown]
	s_add_i32 s4, s10, 0xffffff80
	global_load_dword v4, v[4:5], off
	s_cmp_lt_i32 s4, s9
	s_waitcnt vmcnt(15)
	v_lshrrev_b32_e32 v2, 4, v7
	v_and_b32_e32 v135, 0xf0f0f0f, v2
	v_add_co_u32_e32 v2, vcc, s8, v92
	v_addc_co_u32_e32 v3, vcc, v59, v6, vcc
	global_load_dword v5, v[2:3], off
	v_add_co_u32_e32 v2, vcc, s8, v90
	v_addc_co_u32_e32 v3, vcc, v57, v6, vcc
	global_load_dword v2, v[2:3], off
	v_and_b32_e32 v134, 0xf0f0f0f, v7
	s_waitcnt vmcnt(16)
	v_ashrrev_i32_e32 v7, v101, v8
	v_lshlrev_b32_e32 v3, 4, v7
	v_ashrrev_i32_e32 v7, v103, v8
	v_lshlrev_b32_e32 v7, 4, v7
	v_and_or_b32 v3, v3, s16, v134
	v_and_or_b32 v7, v7, s16, v135
	ds_write2_b32 v22, v3, v7 offset1:8
	s_waitcnt vmcnt(15)
	v_and_b32_e32 v3, 0xf0f0f0f, v9
	v_lshrrev_b32_e32 v7, 4, v9
	s_waitcnt vmcnt(14)
	v_ashrrev_i32_e32 v8, v101, v10
	v_ashrrev_i32_e32 v9, v103, v10
	v_and_b32_e32 v7, 0xf0f0f0f, v7
	v_lshlrev_b32_e32 v8, 4, v8
	v_lshlrev_b32_e32 v9, 4, v9
	v_and_or_b32 v3, v8, s16, v3
	v_and_or_b32 v7, v9, s16, v7
	ds_write2_b32 v24, v3, v7 offset1:8
	s_waitcnt vmcnt(13)
	v_lshrrev_b32_e32 v7, 4, v11
	s_waitcnt vmcnt(12)
	v_ashrrev_i32_e32 v8, v101, v12
	v_ashrrev_i32_e32 v9, v103, v12
	v_and_b32_e32 v3, 0xf0f0f0f, v11
	v_and_b32_e32 v7, 0xf0f0f0f, v7
	v_lshlrev_b32_e32 v8, 4, v8
	v_lshlrev_b32_e32 v9, 4, v9
	v_and_or_b32 v3, v8, s16, v3
	v_and_or_b32 v7, v9, s16, v7
	ds_write2_b32 v26, v3, v7 offset1:8
	s_waitcnt vmcnt(11)
	v_lshrrev_b32_e32 v7, 4, v13
	s_waitcnt vmcnt(10)
	v_ashrrev_i32_e32 v8, v101, v14
	v_ashrrev_i32_e32 v9, v103, v14
	v_and_b32_e32 v3, 0xf0f0f0f, v13
	;; [unrolled: 12-line block ×6, first 2 shown]
	v_and_b32_e32 v7, 0xf0f0f0f, v7
	v_lshlrev_b32_e32 v8, 4, v8
	v_lshlrev_b32_e32 v4, 4, v4
	v_and_or_b32 v3, v8, s16, v3
	v_and_or_b32 v4, v4, s16, v7
	ds_write2_b32 v36, v3, v4 offset1:8
	s_waitcnt vmcnt(1)
	v_and_b32_e32 v3, 0xf0f0f0f, v5
	v_lshrrev_b32_e32 v4, 4, v5
	s_waitcnt vmcnt(0)
	v_ashrrev_i32_e32 v5, v101, v2
	v_ashrrev_i32_e32 v2, v103, v2
	v_and_b32_e32 v4, 0xf0f0f0f, v4
	v_lshlrev_b32_e32 v2, 4, v2
	v_lshlrev_b32_e32 v5, 4, v5
	v_and_or_b32 v4, v2, s16, v4
	v_add_co_u32_e32 v2, vcc, s8, v96
	v_and_or_b32 v5, v5, s16, v3
	v_addc_co_u32_e32 v3, vcc, v63, v6, vcc
	global_load_dword v7, v[2:3], off
	v_add_co_u32_e32 v2, vcc, s8, v94
	v_addc_co_u32_e32 v3, vcc, v61, v6, vcc
	global_load_dword v8, v[2:3], off
	v_add_co_u32_e32 v2, vcc, s8, v100
	;; [unrolled: 3-line block ×18, first 2 shown]
	v_addc_co_u32_e32 v3, vcc, v95, v6, vcc
	global_load_dword v2, v[2:3], off
	ds_write2_b32 v38, v5, v4 offset1:8
	s_waitcnt vmcnt(18)
	v_lshrrev_b32_e32 v4, 4, v7
	s_waitcnt vmcnt(17)
	v_ashrrev_i32_e32 v5, v101, v8
	v_ashrrev_i32_e32 v6, v103, v8
	v_and_b32_e32 v3, 0xf0f0f0f, v7
	v_and_b32_e32 v4, 0xf0f0f0f, v4
	v_lshlrev_b32_e32 v5, 4, v5
	v_lshlrev_b32_e32 v6, 4, v6
	v_and_or_b32 v3, v5, s16, v3
	v_and_or_b32 v4, v6, s16, v4
	ds_write2_b32 v40, v3, v4 offset1:8
	s_waitcnt vmcnt(16)
	v_lshrrev_b32_e32 v4, 4, v9
	s_waitcnt vmcnt(15)
	v_ashrrev_i32_e32 v5, v101, v10
	v_ashrrev_i32_e32 v6, v103, v10
	v_and_b32_e32 v3, 0xf0f0f0f, v9
	v_and_b32_e32 v4, 0xf0f0f0f, v4
	v_lshlrev_b32_e32 v5, 4, v5
	v_lshlrev_b32_e32 v6, 4, v6
	v_and_or_b32 v3, v5, s16, v3
	v_and_or_b32 v4, v6, s16, v4
	;; [unrolled: 12-line block ×7, first 2 shown]
	ds_write2_b32 v52, v3, v4 offset1:8
	s_waitcnt vmcnt(4)
	ds_write_b32 v107, v21
	s_waitcnt vmcnt(3)
	v_ashrrev_i32_e32 v3, v109, v134
	v_and_b32_e32 v3, 0xf0f0f0f, v3
	s_waitcnt vmcnt(2)
	v_ashrrev_i32_e32 v4, v111, v135
	v_and_or_b32 v3, v4, s17, v3
	ds_write_b32 v150, v3
	s_waitcnt vmcnt(1)
	v_ashrrev_i32_e32 v3, v109, v136
	v_and_b32_e32 v3, 0xf0f0f0f, v3
	s_waitcnt vmcnt(0)
	v_ashrrev_i32_e32 v2, v111, v2
	v_and_or_b32 v2, v2, s17, v3
	ds_write_b32 v151, v2
	s_cbranch_scc0 .LBB214_5
; %bb.7:                                ;   in Loop: Header=BB214_6 Depth=1
	v_cmp_gt_i32_e32 vcc, s12, v117
	s_and_b64 s[22:23], s[2:3], vcc
	s_and_saveexec_b64 s[4:5], s[22:23]
	s_cbranch_execz .LBB214_9
; %bb.8:                                ;   in Loop: Header=BB214_6 Depth=1
	v_add_u32_e32 v2, v56, v117
	v_mad_i64_i32 v[2:3], s[22:23], v2, 36, v[54:55]
	global_load_dword v2, v[2:3], off offset:4
	s_waitcnt vmcnt(0)
	ds_write_b32 v113, v2
.LBB214_9:                              ;   in Loop: Header=BB214_6 Depth=1
	s_or_b64 exec, exec, s[4:5]
	s_and_saveexec_b64 s[4:5], s[0:1]
	s_cbranch_execz .LBB214_12
; %bb.10:                               ;   in Loop: Header=BB214_6 Depth=1
	v_cmp_gt_i32_e32 vcc, s12, v99
	s_and_b64 s[22:23], s[2:3], vcc
	s_and_b64 exec, exec, s[22:23]
	s_cbranch_execz .LBB214_12
; %bb.11:                               ;   in Loop: Header=BB214_6 Depth=1
	v_add_u32_e32 v2, v56, v99
	v_mad_i64_i32 v[2:3], s[22:23], v2, 36, s[18:19]
	global_load_dword v2, v[2:3], off
	s_waitcnt vmcnt(0)
	ds_write_b32 v115, v2
.LBB214_12:                             ;   in Loop: Header=BB214_6 Depth=1
	s_or_b64 exec, exec, s[4:5]
	s_waitcnt lgkmcnt(0)
	s_barrier
	ds_read_b128 v[18:21], v119
	ds_read_b128 v[14:17], v119 offset:16
	ds_read_b128 v[2:5], v121 offset:36944
	ds_read2_b32 v[134:135], v127 offset1:1
	ds_read_b128 v[10:13], v119 offset:32
	ds_read_b128 v[6:9], v119 offset:48
	ds_read_b32 v153, v129
	ds_read2_b32 v[136:137], v127 offset0:2 offset1:3
	v_mov_b32_e32 v161, 0
	s_waitcnt lgkmcnt(4)
	v_dot4c_i32_i8_e32 v161, v134, v18
	v_dot4c_i32_i8_e32 v161, v135, v19
	ds_read2_b32 v[138:139], v127 offset0:4 offset1:5
	ds_read2_b32 v[140:141], v127 offset0:6 offset1:7
	;; [unrolled: 1-line block ×3, first 2 shown]
	s_waitcnt lgkmcnt(3)
	v_dot4c_i32_i8_e32 v161, v136, v20
	v_dot4c_i32_i8_e32 v161, v137, v21
	ds_read2_b32 v[136:137], v127 offset0:10 offset1:11
	v_mov_b32_e32 v172, 0
	s_waitcnt lgkmcnt(3)
	v_dot4c_i32_i8_e32 v161, v138, v14
	s_waitcnt lgkmcnt(1)
	v_dot4c_i32_i8_e32 v172, v142, v10
	v_dot4c_i32_i8_e32 v161, v139, v15
	;; [unrolled: 1-line block ×4, first 2 shown]
	s_waitcnt lgkmcnt(0)
	v_dot4c_i32_i8_e32 v172, v136, v12
	v_add_u32_e32 v136, 0x2080, v127
	ds_read2_b32 v[134:135], v125 offset1:2
	v_dot4c_i32_i8_e32 v161, v141, v17
	ds_read2_b32 v[138:139], v127 offset0:12 offset1:13
	ds_read2_b32 v[140:141], v127 offset0:14 offset1:15
	;; [unrolled: 1-line block ×3, first 2 shown]
	v_dot4c_i32_i8_e32 v172, v137, v13
	ds_read2_b32 v[154:155], v127 offset0:26 offset1:27
	ds_read2_b32 v[156:157], v127 offset0:28 offset1:29
	ds_read2_b32 v[158:159], v127 offset0:30 offset1:31
	ds_read2_b32 v[136:137], v136 offset1:1
	v_mov_b32_e32 v168, 0
	v_cvt_f32_f16_e32 v160, v153
	v_cvt_f32_f16_sdwa v162, v153 dst_sel:DWORD dst_unused:UNUSED_PAD src0_sel:WORD_1
	ds_read_b32 v173, v145 offset:128
	ds_read_b32 v174, v147 offset:256
	;; [unrolled: 1-line block ×3, first 2 shown]
	s_waitcnt lgkmcnt(3)
	v_dot4c_i32_i8_e32 v168, v136, v18
	v_add_u32_e32 v136, 0x2088, v127
	v_dot4c_i32_i8_e32 v168, v137, v19
	ds_read2_b32 v[136:137], v136 offset1:1
	v_dot4c_i32_i8_e32 v172, v138, v6
	v_dot4c_i32_i8_e32 v172, v139, v7
	;; [unrolled: 1-line block ×3, first 2 shown]
	v_add_u32_e32 v138, 0x2090, v127
	v_dot4c_i32_i8_e32 v172, v141, v9
	v_add_u32_e32 v140, 0x2098, v127
	v_add_u32_e32 v141, 0x20a0, v127
	ds_read2_b32 v[138:139], v138 offset1:1
	ds_read2_b32 v[164:165], v140 offset1:1
	;; [unrolled: 1-line block ×3, first 2 shown]
	s_waitcnt lgkmcnt(3)
	v_dot4c_i32_i8_e32 v168, v136, v20
	ds_read2_b32 v[140:141], v144 offset1:2
	v_dot4c_i32_i8_e32 v168, v137, v21
	s_waitcnt lgkmcnt(3)
	v_dot4c_i32_i8_e32 v168, v138, v14
	v_dot4c_i32_i8_e32 v168, v139, v15
	s_waitcnt lgkmcnt(2)
	v_dot4c_i32_i8_e32 v168, v164, v16
	v_dot4c_i32_i8_e32 v168, v165, v17
	s_waitcnt lgkmcnt(0)
	v_and_b32_e32 v136, 0xff, v140
	v_add_u32_e32 v138, 0x20b0, v127
	v_add_u32_e32 v164, 0x20b8, v127
	v_mul_lo_u32 v136, v168, v136
	v_cvt_f32_i32_e32 v176, v136
	v_add_u32_e32 v136, 0x20a8, v127
	ds_read2_b32 v[136:137], v136 offset1:1
	v_mov_b32_e32 v168, 0
	v_dot4c_i32_i8_e32 v168, v166, v10
	v_add_u32_e32 v166, 0x4100, v127
	v_dot4c_i32_i8_e32 v168, v167, v11
	ds_read2_b32 v[138:139], v138 offset1:1
	ds_read2_b32 v[164:165], v164 offset1:1
	;; [unrolled: 1-line block ×3, first 2 shown]
	s_waitcnt lgkmcnt(3)
	v_dot4c_i32_i8_e32 v168, v136, v12
	v_dot4c_i32_i8_e32 v168, v137, v13
	s_waitcnt lgkmcnt(2)
	v_dot4c_i32_i8_e32 v168, v138, v6
	v_dot4c_i32_i8_e32 v168, v139, v7
	;; [unrolled: 3-line block ×3, first 2 shown]
	v_bfe_u32 v136, v140, 8, 8
	v_mov_b32_e32 v170, 0
	s_waitcnt lgkmcnt(0)
	v_dot4c_i32_i8_e32 v170, v166, v18
	v_mul_lo_u32 v136, v168, v136
	v_cvt_f32_i32_e32 v178, v136
	v_add_u32_e32 v136, 0x4108, v127
	ds_read2_b32 v[136:137], v136 offset1:1
	v_add_u32_e32 v138, 0x4110, v127
	v_add_u32_e32 v168, 0x4120, v127
	v_dot4c_i32_i8_e32 v170, v167, v19
	v_add_u32_e32 v139, 0x4118, v127
	ds_read2_b32 v[164:165], v138 offset1:1
	ds_read2_b32 v[166:167], v139 offset1:1
	;; [unrolled: 1-line block ×3, first 2 shown]
	s_waitcnt lgkmcnt(3)
	v_dot4c_i32_i8_e32 v170, v136, v20
	ds_read2_b32 v[138:139], v146 offset1:2
	v_dot4c_i32_i8_e32 v170, v137, v21
	s_waitcnt lgkmcnt(3)
	v_dot4c_i32_i8_e32 v170, v164, v14
	v_dot4c_i32_i8_e32 v170, v165, v15
	s_waitcnt lgkmcnt(2)
	v_dot4c_i32_i8_e32 v170, v166, v16
	v_dot4c_i32_i8_e32 v170, v167, v17
	s_waitcnt lgkmcnt(0)
	v_and_b32_e32 v136, 0xff, v138
	v_add_u32_e32 v164, 0x4130, v127
	v_add_u32_e32 v166, 0x4138, v127
	v_mul_lo_u32 v136, v170, v136
	v_cvt_f32_i32_e32 v181, v136
	v_add_u32_e32 v136, 0x4128, v127
	ds_read2_b32 v[136:137], v136 offset1:1
	v_mov_b32_e32 v170, 0
	v_dot4c_i32_i8_e32 v170, v168, v10
	v_add_u32_e32 v168, 0x6180, v127
	v_dot4c_i32_i8_e32 v170, v169, v11
	ds_read2_b32 v[164:165], v164 offset1:1
	ds_read2_b32 v[166:167], v166 offset1:1
	ds_read2_b32 v[168:169], v168 offset1:1
	s_waitcnt lgkmcnt(3)
	v_dot4c_i32_i8_e32 v170, v136, v12
	v_dot4c_i32_i8_e32 v170, v137, v13
	s_waitcnt lgkmcnt(2)
	v_dot4c_i32_i8_e32 v170, v164, v6
	v_dot4c_i32_i8_e32 v170, v165, v7
	;; [unrolled: 3-line block ×3, first 2 shown]
	v_bfe_u32 v136, v138, 8, 8
	v_add_u32_e32 v137, 0x6198, v127
	v_mov_b32_e32 v190, 0
	v_mul_lo_u32 v136, v170, v136
	v_mov_b32_e32 v170, 0
	s_waitcnt lgkmcnt(0)
	v_dot4c_i32_i8_e32 v170, v168, v18
	v_add_u32_e32 v18, 0x6188, v127
	v_dot4c_i32_i8_e32 v170, v169, v19
	ds_read2_b32 v[18:19], v18 offset1:1
	v_cvt_f32_i32_e32 v183, v136
	v_add_u32_e32 v136, 0x6190, v127
	v_add_u32_e32 v168, 0x61a0, v127
	ds_read2_b32 v[164:165], v136 offset1:1
	ds_read2_b32 v[166:167], v137 offset1:1
	;; [unrolled: 1-line block ×3, first 2 shown]
	s_waitcnt lgkmcnt(3)
	v_dot4c_i32_i8_e32 v170, v18, v20
	ds_read2_b32 v[136:137], v148 offset1:2
	v_dot4c_i32_i8_e32 v170, v19, v21
	s_waitcnt lgkmcnt(3)
	v_dot4c_i32_i8_e32 v170, v164, v14
	v_mov_b32_e32 v18, 0
	v_dot4c_i32_i8_e32 v170, v165, v15
	s_waitcnt lgkmcnt(1)
	v_dot4c_i32_i8_e32 v18, v168, v10
	v_add_u32_e32 v10, 0x61a8, v127
	v_dot4c_i32_i8_e32 v170, v166, v16
	v_dot4c_i32_i8_e32 v18, v169, v11
	ds_read2_b32 v[10:11], v10 offset1:1
	v_dot4c_i32_i8_e32 v170, v167, v17
	s_waitcnt lgkmcnt(1)
	v_and_b32_e32 v14, 0xff, v136
	v_add_u32_e32 v16, 0x61b8, v127
	v_add_u32_e32 v19, 0x20c0, v127
	v_mul_lo_u32 v14, v170, v14
	v_cvt_f32_i32_e32 v186, v14
	v_add_u32_e32 v14, 0x61b0, v127
	ds_read2_b32 v[14:15], v14 offset1:1
	ds_read2_b32 v[16:17], v16 offset1:1
	;; [unrolled: 1-line block ×3, first 2 shown]
	s_waitcnt lgkmcnt(3)
	v_dot4c_i32_i8_e32 v18, v10, v12
	v_dot4c_i32_i8_e32 v18, v11, v13
	s_waitcnt lgkmcnt(2)
	v_dot4c_i32_i8_e32 v18, v14, v6
	v_dot4c_i32_i8_e32 v18, v15, v7
	;; [unrolled: 3-line block ×3, first 2 shown]
	v_bfe_u32 v6, v136, 8, 8
	v_lshrrev_b32_e32 v163, 24, v134
	v_cvt_f32_ubyte0_e32 v177, v141
	v_mul_lo_u32 v6, v18, v6
	v_cvt_f32_i32_e32 v188, v6
	ds_read_b128 v[18:21], v119 offset:64
	ds_read_b128 v[14:17], v119 offset:80
	;; [unrolled: 1-line block ×4, first 2 shown]
	ds_read2_b32 v[166:167], v127 offset0:18 offset1:19
	s_waitcnt lgkmcnt(4)
	v_dot4c_i32_i8_e32 v190, v142, v18
	v_dot4c_i32_i8_e32 v190, v143, v19
	ds_read2_b32 v[142:143], v127 offset0:20 offset1:21
	ds_read2_b32 v[168:169], v127 offset0:22 offset1:23
	;; [unrolled: 1-line block ×3, first 2 shown]
	v_cvt_f32_ubyte0_e32 v182, v139
	s_waitcnt lgkmcnt(3)
	v_dot4c_i32_i8_e32 v190, v166, v20
	v_mov_b32_e32 v166, 0
	v_dot4c_i32_i8_e32 v190, v167, v21
	s_waitcnt lgkmcnt(0)
	v_dot4c_i32_i8_e32 v166, v170, v10
	v_dot4c_i32_i8_e32 v166, v171, v11
	;; [unrolled: 1-line block ×10, first 2 shown]
	v_cvt_f32_f16_e32 v155, v4
	v_cvt_f32_f16_sdwa v143, v4 dst_sel:DWORD dst_unused:UNUSED_PAD src0_sel:WORD_1
	v_and_b32_e32 v4, 0xff, v134
	v_bfe_u32 v156, v134, 16, 8
	v_dot4c_i32_i8_e32 v166, v158, v8
	v_mul_lo_u32 v4, v161, v4
	v_mul_lo_u32 v156, v190, v156
	v_dot4c_i32_i8_e32 v166, v159, v9
	v_cvt_f32_f16_e32 v154, v2
	v_cvt_f32_i32_e32 v159, v156
	v_cvt_f32_i32_e32 v158, v4
	v_bfe_u32 v134, v134, 8, 8
	v_mul_lo_u32 v134, v172, v134
	v_cvt_f32_f16_sdwa v142, v2 dst_sel:DWORD dst_unused:UNUSED_PAD src0_sel:WORD_1
	v_pk_fma_f32 v[158:159], v[154:155], v[158:159], 0 op_sel_hi:[1,1,0]
	v_mul_lo_u32 v154, v166, v163
	v_cvt_f32_f16_e32 v157, v5
	v_cvt_f32_f16_e32 v156, v3
	v_cvt_f32_i32_e32 v167, v154
	v_cvt_f32_i32_e32 v166, v134
	v_cvt_f32_f16_sdwa v5, v5 dst_sel:DWORD dst_unused:UNUSED_PAD src0_sel:WORD_1
	v_cvt_f32_f16_sdwa v4, v3 dst_sel:DWORD dst_unused:UNUSED_PAD src0_sel:WORD_1
	v_cvt_f32_ubyte2_e32 v169, v135
	v_cvt_f32_ubyte0_e32 v168, v135
	v_cvt_f32_ubyte0_e32 v187, v137
	v_pk_fma_f32 v[168:169], v[142:143], v[168:169], 0 op_sel_hi:[1,1,0]
	v_pk_fma_f32 v[158:159], v[156:157], v[166:167], v[158:159]
	v_cvt_f32_ubyte3_e32 v167, v135
	v_cvt_f32_ubyte1_e32 v166, v135
	v_fma_mix_f32 v154, v2, v181, 0 op_sel_hi:[1,0,0]
	v_cvt_f32_ubyte1_e32 v189, v137
	v_pk_fma_f32 v[134:135], v[4:5], v[166:167], v[168:169]
	v_fma_mix_f32 v4, v2, v176, 0 op_sel_hi:[1,0,0]
	v_fma_mix_f32 v142, v2, v177, 0 op_sel:[1,0,0] op_sel_hi:[1,0,0]
	v_fma_mix_f32 v156, v2, v182, 0 op_sel:[1,0,0] op_sel_hi:[1,0,0]
	v_fma_mix_f32 v166, v3, v183, v154 op_sel_hi:[1,0,0]
	v_fma_mix_f32 v154, v2, v186, 0 op_sel_hi:[1,0,0]
	v_fma_mix_f32 v2, v2, v187, 0 op_sel:[1,0,0] op_sel_hi:[1,0,0]
	v_cvt_f32_ubyte1_e32 v179, v141
	v_cvt_f32_ubyte1_e32 v184, v139
	v_fma_mix_f32 v169, v3, v189, v2 op_sel:[1,0,0] op_sel_hi:[1,0,0]
	v_add_u32_e32 v2, 0x20c8, v127
	v_fma_mix_f32 v4, v3, v178, v4 op_sel_hi:[1,0,0]
	v_fma_mix_f32 v142, v3, v179, v142 op_sel:[1,0,0] op_sel_hi:[1,0,0]
	v_fma_mix_f32 v167, v3, v184, v156 op_sel:[1,0,0] op_sel_hi:[1,0,0]
	v_fma_mix_f32 v168, v3, v188, v154 op_sel_hi:[1,0,0]
	ds_read2_b32 v[2:3], v2 offset1:1
	v_pk_mul_f32 v[134:135], v[134:135], v[162:163] op_sel_hi:[1,0]
	v_mov_b32_e32 v154, 0
	v_pk_fma_f32 v[134:135], v[158:159], v[160:161], v[134:135] op_sel_hi:[1,0,1] neg_lo:[0,0,1] neg_hi:[0,0,1]
	v_dot4c_i32_i8_e32 v154, v164, v18
	v_add_u32_e32 v156, 0x20d0, v127
	v_add_u32_e32 v160, 0x20d8, v127
	;; [unrolled: 1-line block ×3, first 2 shown]
	v_dot4c_i32_i8_e32 v154, v165, v19
	ds_read2_b32 v[158:159], v156 offset1:1
	ds_read2_b32 v[160:161], v160 offset1:1
	;; [unrolled: 1-line block ×3, first 2 shown]
	s_waitcnt lgkmcnt(3)
	v_dot4c_i32_i8_e32 v154, v2, v20
	v_dot4c_i32_i8_e32 v154, v3, v21
	s_waitcnt lgkmcnt(2)
	v_dot4c_i32_i8_e32 v154, v158, v14
	v_dot4c_i32_i8_e32 v154, v159, v15
	;; [unrolled: 3-line block ×3, first 2 shown]
	v_bfe_u32 v2, v140, 16, 8
	v_lshrrev_b32_e32 v175, 24, v140
	v_mov_b32_e32 v140, 0
	v_mul_lo_u32 v2, v154, v2
	v_add_u32_e32 v154, 0x20e8, v127
	ds_read2_b32 v[158:159], v154 offset1:1
	s_waitcnt lgkmcnt(1)
	v_dot4c_i32_i8_e32 v140, v162, v10
	v_add_u32_e32 v156, 0x20f0, v127
	v_add_u32_e32 v162, 0x20f8, v127
	v_dot4c_i32_i8_e32 v140, v163, v11
	v_add_u32_e32 v154, 0x4140, v127
	ds_read2_b32 v[160:161], v156 offset1:1
	ds_read2_b32 v[162:163], v162 offset1:1
	;; [unrolled: 1-line block ×3, first 2 shown]
	s_waitcnt lgkmcnt(3)
	v_dot4c_i32_i8_e32 v140, v158, v12
	v_dot4c_i32_i8_e32 v140, v159, v13
	s_waitcnt lgkmcnt(2)
	v_dot4c_i32_i8_e32 v140, v160, v6
	v_dot4c_i32_i8_e32 v140, v161, v7
	s_waitcnt lgkmcnt(1)
	v_dot4c_i32_i8_e32 v140, v162, v8
	v_cvt_f32_f16_sdwa v159, v173 dst_sel:DWORD dst_unused:UNUSED_PAD src0_sel:WORD_1
	v_dot4c_i32_i8_e32 v140, v163, v9
	v_cvt_f32_i32_e32 v2, v2
	v_cvt_f32_f16_e32 v158, v173
	v_mul_f32_e32 v142, v142, v159
	v_mul_lo_u32 v140, v140, v175
	v_cvt_f32_i32_e32 v140, v140
	v_cvt_f32_ubyte2_e32 v3, v141
	v_fma_mix_f32 v161, v4, v173, -v142 op_sel_hi:[0,1,0]
	v_mov_b32_e32 v142, v155
	v_cvt_f32_ubyte3_e32 v141, v141
	v_pk_fma_f32 v[2:3], v[142:143], v[2:3], 0 op_sel_hi:[1,1,0]
	v_mov_b32_e32 v4, v157
	v_pk_fma_f32 v[2:3], v[4:5], v[140:141], v[2:3]
	v_pk_mul_f32 v[140:141], v[2:3], v[158:159]
	v_mov_b32_e32 v141, v140
	v_mov_b32_e32 v160, v134
	v_pk_fma_f32 v[2:3], v[2:3], v[158:159], v[140:141] neg_lo:[1,0,0] neg_hi:[1,0,0]
	v_pk_add_f32 v[132:133], v[132:133], v[160:161]
	v_mov_b32_e32 v2, v135
	v_pk_add_f32 v[132:133], v[132:133], v[2:3]
	v_add_u32_e32 v2, 0x4148, v127
	ds_read2_b32 v[2:3], v2 offset1:1
	v_mov_b32_e32 v156, 0
	s_waitcnt lgkmcnt(1)
	v_dot4c_i32_i8_e32 v156, v164, v18
	v_add_u32_e32 v134, 0x4150, v127
	v_add_u32_e32 v140, 0x4158, v127
	;; [unrolled: 1-line block ×3, first 2 shown]
	v_dot4c_i32_i8_e32 v156, v165, v19
	ds_read2_b32 v[134:135], v134 offset1:1
	ds_read2_b32 v[140:141], v140 offset1:1
	;; [unrolled: 1-line block ×3, first 2 shown]
	s_waitcnt lgkmcnt(3)
	v_dot4c_i32_i8_e32 v156, v2, v20
	v_dot4c_i32_i8_e32 v156, v3, v21
	s_waitcnt lgkmcnt(2)
	v_dot4c_i32_i8_e32 v156, v134, v14
	v_add_u32_e32 v134, 0x4168, v127
	v_dot4c_i32_i8_e32 v156, v135, v15
	ds_read2_b32 v[134:135], v134 offset1:1
	s_waitcnt lgkmcnt(2)
	v_dot4c_i32_i8_e32 v156, v140, v16
	v_lshrrev_b32_e32 v180, 24, v138
	v_dot4c_i32_i8_e32 v156, v141, v17
	v_bfe_u32 v2, v138, 16, 8
	v_mov_b32_e32 v138, 0
	s_waitcnt lgkmcnt(1)
	v_dot4c_i32_i8_e32 v138, v154, v10
	v_mul_lo_u32 v2, v156, v2
	v_add_u32_e32 v140, 0x4170, v127
	v_add_u32_e32 v154, 0x4178, v127
	;; [unrolled: 1-line block ×3, first 2 shown]
	v_dot4c_i32_i8_e32 v138, v155, v11
	ds_read2_b32 v[140:141], v140 offset1:1
	ds_read2_b32 v[154:155], v154 offset1:1
	;; [unrolled: 1-line block ×3, first 2 shown]
	s_waitcnt lgkmcnt(3)
	v_dot4c_i32_i8_e32 v138, v134, v12
	v_dot4c_i32_i8_e32 v138, v135, v13
	s_waitcnt lgkmcnt(2)
	v_dot4c_i32_i8_e32 v138, v140, v6
	v_dot4c_i32_i8_e32 v138, v141, v7
	s_waitcnt lgkmcnt(1)
	v_dot4c_i32_i8_e32 v138, v154, v8
	v_dot4c_i32_i8_e32 v138, v155, v9
	v_cvt_f32_i32_e32 v2, v2
	v_cvt_f32_f16_sdwa v135, v174 dst_sel:DWORD dst_unused:UNUSED_PAD src0_sel:WORD_1
	v_cvt_f32_ubyte2_e32 v3, v139
	v_mul_lo_u32 v134, v138, v180
	v_cvt_f32_i32_e32 v138, v134
	v_cvt_f32_f16_e32 v134, v174
	v_cvt_f32_ubyte3_e32 v139, v139
	v_pk_fma_f32 v[2:3], v[142:143], v[2:3], 0 op_sel_hi:[1,1,0]
	v_mul_f32_e32 v140, v167, v135
	v_pk_fma_f32 v[2:3], v[4:5], v[138:139], v[2:3]
	v_fma_mix_f32 v140, v166, v174, -v140 op_sel_hi:[0,1,0]
	v_pk_mul_f32 v[2:3], v[2:3], v[134:135]
	v_add_f32_e32 v105, v105, v140
	v_sub_f32_e32 v2, v2, v3
	v_add_f32_e32 v105, v105, v2
	v_add_u32_e32 v2, 0x61c8, v127
	ds_read2_b32 v[2:3], v2 offset1:1
	v_mov_b32_e32 v140, 0
	s_waitcnt lgkmcnt(1)
	v_dot4c_i32_i8_e32 v140, v156, v18
	v_add_u32_e32 v18, 0x61d0, v127
	v_add_u32_e32 v134, 0x61d8, v127
	;; [unrolled: 1-line block ×3, first 2 shown]
	v_dot4c_i32_i8_e32 v140, v157, v19
	ds_read2_b32 v[18:19], v18 offset1:1
	ds_read2_b32 v[134:135], v134 offset1:1
	ds_read2_b32 v[138:139], v138 offset1:1
	s_waitcnt lgkmcnt(3)
	v_dot4c_i32_i8_e32 v140, v2, v20
	v_dot4c_i32_i8_e32 v140, v3, v21
	s_waitcnt lgkmcnt(2)
	v_dot4c_i32_i8_e32 v140, v18, v14
	v_mov_b32_e32 v18, 0
	s_waitcnt lgkmcnt(0)
	v_dot4c_i32_i8_e32 v18, v138, v10
	v_add_u32_e32 v10, 0x61e8, v127
	v_dot4c_i32_i8_e32 v18, v139, v11
	ds_read2_b32 v[10:11], v10 offset1:1
	v_add_u32_e32 v14, 0x61f0, v127
	v_dot4c_i32_i8_e32 v140, v19, v15
	ds_read2_b32 v[14:15], v14 offset1:1
	v_dot4c_i32_i8_e32 v140, v134, v16
	v_add_u32_e32 v16, 0x61f8, v127
	v_dot4c_i32_i8_e32 v140, v135, v17
	ds_read2_b32 v[16:17], v16 offset1:1
	s_waitcnt lgkmcnt(2)
	v_dot4c_i32_i8_e32 v18, v10, v12
	v_dot4c_i32_i8_e32 v18, v11, v13
	s_waitcnt lgkmcnt(1)
	v_dot4c_i32_i8_e32 v18, v14, v6
	v_dot4c_i32_i8_e32 v18, v15, v7
	v_bfe_u32 v2, v136, 16, 8
	s_waitcnt lgkmcnt(0)
	v_dot4c_i32_i8_e32 v18, v16, v8
	v_lshrrev_b32_e32 v185, 24, v136
	v_mul_lo_u32 v2, v140, v2
	v_dot4c_i32_i8_e32 v18, v17, v9
	v_cvt_f32_i32_e32 v2, v2
	v_cvt_f32_f16_sdwa v7, v153 dst_sel:DWORD dst_unused:UNUSED_PAD src0_sel:WORD_1
	v_cvt_f32_ubyte2_e32 v3, v137
	v_mul_lo_u32 v6, v18, v185
	v_cvt_f32_i32_e32 v8, v6
	v_cvt_f32_f16_e32 v6, v153
	v_cvt_f32_ubyte3_e32 v9, v137
	v_pk_fma_f32 v[2:3], v[142:143], v[2:3], 0 op_sel_hi:[1,1,0]
	v_mul_f32_e32 v10, v169, v7
	v_pk_fma_f32 v[2:3], v[4:5], v[8:9], v[2:3]
	v_fma_mix_f32 v10, v168, v153, -v10 op_sel_hi:[0,1,0]
	v_pk_mul_f32 v[2:3], v[2:3], v[6:7]
	v_add_f32_e32 v10, v152, v10
	v_sub_f32_e32 v2, v2, v3
	v_add_f32_e32 v152, v10, v2
	s_cmp_ge_i32 s10, s9
	s_barrier
	s_cbranch_scc1 .LBB214_5
; %bb.13:                               ;   in Loop: Header=BB214_6 Depth=1
	v_cmp_gt_i32_e32 vcc, s12, v131
	s_and_b64 s[22:23], s[2:3], vcc
	s_and_saveexec_b64 s[4:5], s[22:23]
	s_cbranch_execz .LBB214_15
; %bb.14:                               ;   in Loop: Header=BB214_6 Depth=1
	v_add_u32_e32 v2, v56, v131
	v_mad_i64_i32 v[2:3], s[22:23], v2, 36, v[54:55]
	global_load_dword v2, v[2:3], off offset:4
	s_waitcnt vmcnt(0)
	ds_write_b32 v113, v2
.LBB214_15:                             ;   in Loop: Header=BB214_6 Depth=1
	s_or_b64 exec, exec, s[4:5]
	s_and_saveexec_b64 s[4:5], s[0:1]
	s_cbranch_execz .LBB214_4
; %bb.16:                               ;   in Loop: Header=BB214_6 Depth=1
	v_add_u32_e32 v2, 4, v99
	v_cmp_gt_i32_e32 vcc, s12, v2
	s_and_b64 s[22:23], s[2:3], vcc
	s_and_b64 exec, exec, s[22:23]
	s_cbranch_execz .LBB214_4
; %bb.17:                               ;   in Loop: Header=BB214_6 Depth=1
	v_ashrrev_i32_e32 v2, 31, v99
	v_add_co_u32_e32 v3, vcc, v56, v99
	v_addc_co_u32_e32 v4, vcc, v1, v2, vcc
	v_mad_u64_u32 v[2:3], s[22:23], v3, 36, s[6:7]
	v_mad_i32_i24 v3, v4, 36, v3
	global_load_dword v2, v[2:3], off
	s_waitcnt vmcnt(0)
	ds_write_b32 v115, v2
	s_branch .LBB214_4
.LBB214_18:
	v_mov_b32_e32 v1, 0
	v_mov_b32_e32 v2, 0
	;; [unrolled: 1-line block ×3, first 2 shown]
	s_mul_i32 s0, s14, s11
	s_waitcnt vmcnt(0)
	v_cmp_gt_i32_e32 vcc, s0, v97
	s_and_saveexec_b64 s[0:1], vcc
	s_cbranch_execnz .LBB214_21
.LBB214_19:
	s_endpgm
.LBB214_20:
	v_cvt_f16_f32_e32 v5, v132
	v_cvt_f16_f32_e32 v2, v133
	;; [unrolled: 1-line block ×4, first 2 shown]
	s_mul_i32 s0, s14, s11
	v_cmp_gt_i32_e32 vcc, s0, v97
	s_and_saveexec_b64 s[0:1], vcc
	s_cbranch_execz .LBB214_19
.LBB214_21:
	v_and_b32_e32 v0, 0x3ff, v0
	v_add_u32_e32 v4, s15, v0
	v_mul_lo_u32 v0, v97, s13
	v_cmp_gt_u32_e32 vcc, s13, v4
	s_and_saveexec_b64 s[0:1], vcc
	s_cbranch_execz .LBB214_23
; %bb.22:
	v_add_u32_e32 v6, v0, v4
	v_mov_b32_e32 v7, 0
	v_lshlrev_b64 v[6:7], 1, v[6:7]
	v_mov_b32_e32 v8, s21
	v_add_co_u32_e32 v6, vcc, s20, v6
	v_addc_co_u32_e32 v7, vcc, v8, v7, vcc
	global_store_short v[6:7], v5, off
.LBB214_23:
	s_or_b64 exec, exec, s[0:1]
	v_add_u32_e32 v5, 32, v4
	v_cmp_gt_u32_e32 vcc, s13, v5
	s_and_saveexec_b64 s[0:1], vcc
	s_cbranch_execz .LBB214_25
; %bb.24:
	v_add_u32_e32 v6, v0, v5
	v_mov_b32_e32 v7, 0
	v_lshlrev_b64 v[6:7], 1, v[6:7]
	v_mov_b32_e32 v5, s21
	v_add_co_u32_e32 v6, vcc, s20, v6
	v_addc_co_u32_e32 v7, vcc, v5, v7, vcc
	global_store_short v[6:7], v2, off
.LBB214_25:
	s_or_b64 exec, exec, s[0:1]
	v_add_u32_e32 v2, 64, v4
	;; [unrolled: 14-line block ×3, first 2 shown]
	v_cmp_gt_u32_e32 vcc, s13, v1
	s_and_b64 exec, exec, vcc
	s_cbranch_execz .LBB214_19
; %bb.28:
	v_add_u32_e32 v0, v0, v1
	v_mov_b32_e32 v1, 0
	v_lshlrev_b64 v[0:1], 1, v[0:1]
	v_mov_b32_e32 v2, s21
	v_add_co_u32_e32 v0, vcc, s20, v0
	v_addc_co_u32_e32 v1, vcc, v2, v1, vcc
	global_store_short v[0:1], v3, off
	s_endpgm
	.section	.rodata,"a",@progbits
	.p2align	6, 0x0
	.amdhsa_kernel _ZL8moe_q5_KIN3c104HalfELb1EEvPKvS3_PT_PKiS7_S7_iiiiiii
		.amdhsa_group_segment_fixed_size 37072
		.amdhsa_private_segment_fixed_size 0
		.amdhsa_kernarg_size 76
		.amdhsa_user_sgpr_count 6
		.amdhsa_user_sgpr_private_segment_buffer 1
		.amdhsa_user_sgpr_dispatch_ptr 0
		.amdhsa_user_sgpr_queue_ptr 0
		.amdhsa_user_sgpr_kernarg_segment_ptr 1
		.amdhsa_user_sgpr_dispatch_id 0
		.amdhsa_user_sgpr_flat_scratch_init 0
		.amdhsa_user_sgpr_kernarg_preload_length 0
		.amdhsa_user_sgpr_kernarg_preload_offset 0
		.amdhsa_user_sgpr_private_segment_size 0
		.amdhsa_uses_dynamic_stack 0
		.amdhsa_system_sgpr_private_segment_wavefront_offset 0
		.amdhsa_system_sgpr_workgroup_id_x 1
		.amdhsa_system_sgpr_workgroup_id_y 1
		.amdhsa_system_sgpr_workgroup_id_z 0
		.amdhsa_system_sgpr_workgroup_info 0
		.amdhsa_system_vgpr_workitem_id 1
		.amdhsa_next_free_vgpr 191
		.amdhsa_next_free_sgpr 28
		.amdhsa_accum_offset 192
		.amdhsa_reserve_vcc 1
		.amdhsa_reserve_flat_scratch 0
		.amdhsa_float_round_mode_32 0
		.amdhsa_float_round_mode_16_64 0
		.amdhsa_float_denorm_mode_32 3
		.amdhsa_float_denorm_mode_16_64 3
		.amdhsa_dx10_clamp 1
		.amdhsa_ieee_mode 1
		.amdhsa_fp16_overflow 0
		.amdhsa_tg_split 0
		.amdhsa_exception_fp_ieee_invalid_op 0
		.amdhsa_exception_fp_denorm_src 0
		.amdhsa_exception_fp_ieee_div_zero 0
		.amdhsa_exception_fp_ieee_overflow 0
		.amdhsa_exception_fp_ieee_underflow 0
		.amdhsa_exception_fp_ieee_inexact 0
		.amdhsa_exception_int_div_zero 0
	.end_amdhsa_kernel
	.section	.text._ZL8moe_q5_KIN3c104HalfELb1EEvPKvS3_PT_PKiS7_S7_iiiiiii,"axG",@progbits,_ZL8moe_q5_KIN3c104HalfELb1EEvPKvS3_PT_PKiS7_S7_iiiiiii,comdat
.Lfunc_end214:
	.size	_ZL8moe_q5_KIN3c104HalfELb1EEvPKvS3_PT_PKiS7_S7_iiiiiii, .Lfunc_end214-_ZL8moe_q5_KIN3c104HalfELb1EEvPKvS3_PT_PKiS7_S7_iiiiiii
                                        ; -- End function
	.section	.AMDGPU.csdata,"",@progbits
; Kernel info:
; codeLenInByte = 11392
; NumSgprs: 32
; NumVgprs: 191
; NumAgprs: 0
; TotalNumVgprs: 191
; ScratchSize: 0
; MemoryBound: 0
; FloatMode: 240
; IeeeMode: 1
; LDSByteSize: 37072 bytes/workgroup (compile time only)
; SGPRBlocks: 3
; VGPRBlocks: 23
; NumSGPRsForWavesPerEU: 32
; NumVGPRsForWavesPerEU: 191
; AccumOffset: 192
; Occupancy: 1
; WaveLimiterHint : 1
; COMPUTE_PGM_RSRC2:SCRATCH_EN: 0
; COMPUTE_PGM_RSRC2:USER_SGPR: 6
; COMPUTE_PGM_RSRC2:TRAP_HANDLER: 0
; COMPUTE_PGM_RSRC2:TGID_X_EN: 1
; COMPUTE_PGM_RSRC2:TGID_Y_EN: 1
; COMPUTE_PGM_RSRC2:TGID_Z_EN: 0
; COMPUTE_PGM_RSRC2:TIDIG_COMP_CNT: 1
; COMPUTE_PGM_RSRC3_GFX90A:ACCUM_OFFSET: 47
; COMPUTE_PGM_RSRC3_GFX90A:TG_SPLIT: 0
	.section	.text._ZL8moe_q6_KIN3c104HalfELb0EEvPKvS3_PT_PKiS7_S7_iiiiiii,"axG",@progbits,_ZL8moe_q6_KIN3c104HalfELb0EEvPKvS3_PT_PKiS7_S7_iiiiiii,comdat
	.globl	_ZL8moe_q6_KIN3c104HalfELb0EEvPKvS3_PT_PKiS7_S7_iiiiiii ; -- Begin function _ZL8moe_q6_KIN3c104HalfELb0EEvPKvS3_PT_PKiS7_S7_iiiiiii
	.p2align	8
	.type	_ZL8moe_q6_KIN3c104HalfELb0EEvPKvS3_PT_PKiS7_S7_iiiiiii,@function
_ZL8moe_q6_KIN3c104HalfELb0EEvPKvS3_PT_PKiS7_S7_iiiiiii: ; @_ZL8moe_q6_KIN3c104HalfELb0EEvPKvS3_PT_PKiS7_S7_iiiiiii
; %bb.0:
	s_load_dwordx4 s[0:3], s[4:5], 0x18
	s_mov_b32 s8, s7
	s_mov_b32 s9, 0
	s_lshl_b64 s[10:11], s[8:9], 2
	s_waitcnt lgkmcnt(0)
	s_add_u32 s2, s2, s10
	s_addc_u32 s3, s3, s11
	s_load_dword s2, s[2:3], 0x0
	s_waitcnt lgkmcnt(0)
	s_cmpk_gt_u32 s2, 0xff
	s_cbranch_scc1 .LBB215_19
; %bb.1:
	s_load_dwordx2 s[10:11], s[4:5], 0x28
	s_lshl_b32 s3, s8, 3
	s_waitcnt lgkmcnt(0)
	s_load_dword s7, s[10:11], 0x0
	s_waitcnt lgkmcnt(0)
	s_cmp_gt_u32 s3, s7
	s_cbranch_scc1 .LBB215_19
; %bb.2:
	v_bfe_u32 v4, v0, 10, 10
	v_add_u32_e32 v2, s3, v4
	v_mov_b32_e32 v3, 0
	v_lshlrev_b64 v[6:7], 2, v[2:3]
	v_mov_b32_e32 v1, s1
	v_add_co_u32_e32 v6, vcc, s0, v6
	v_addc_co_u32_e32 v7, vcc, v1, v7, vcc
	global_load_dword v95, v[6:7], off
	s_load_dwordx2 s[14:15], s[4:5], 0x30
	s_load_dwordx2 s[12:13], s[4:5], 0x10
	s_load_dwordx4 s[8:11], s[4:5], 0x3c
	s_lshl_b32 s18, s6, 7
	s_waitcnt lgkmcnt(0)
	s_cmpk_lt_i32 s15, 0x100
	s_cbranch_scc1 .LBB215_18
; %bb.3:
	v_and_b32_e32 v104, 0x3ff, v0
	v_and_b32_e32 v1, 31, v104
	s_ashr_i32 s0, s15, 31
	v_add_u16_e32 v2, -16, v1
	v_cmp_gt_u32_e32 vcc, 16, v1
	s_lshr_b32 s0, s0, 24
	v_cndmask_b32_e32 v2, v2, v1, vcc
	s_add_i32 s0, s15, s0
	v_cmp_lt_u16_e32 vcc, 7, v2
	s_ashr_i32 s19, s0, 8
	s_ashr_i32 s0, s9, 31
	v_cndmask_b32_e64 v2, 0, 1, vcc
	v_cmp_lt_u32_e32 vcc, 15, v1
	s_lshr_b32 s0, s0, 27
	v_lshlrev_b32_e32 v105, 1, v2
	v_cndmask_b32_e64 v2, 0, 1, vcc
	s_add_i32 s0, s9, s0
	v_lshlrev_b32_e32 v9, 5, v2
	s_ashr_i32 s9, s0, 5
	v_and_or_b32 v2, v104, 15, v9
	v_mul_u32_u24_e32 v3, 0x41, v4
	s_lshl_b32 s0, s19, 3
	v_add_lshl_u32 v106, v2, v3, 2
	v_mov_b32_e32 v2, s0
	v_mad_i32_i24 v11, s19, v4, v2
	v_lshlrev_b32_e32 v2, 5, v4
	v_add_u32_e32 v3, v2, v104
	v_and_b32_e32 v7, 0x7f, v3
	v_lshrrev_b32_e32 v22, 3, v3
	s_mul_i32 s14, s2, s14
	v_mul_i32_i24_e32 v39, s19, v7
	v_and_b32_e32 v22, 12, v22
	v_lshlrev_b32_e32 v7, 2, v7
	s_mov_b32 s2, 0x8e40
	v_add3_u32 v122, v7, v22, s2
	v_lshlrev_b32_e32 v7, 3, v4
	v_lshrrev_b32_e32 v22, 2, v104
	v_add_u32_e32 v23, v22, v7
	v_and_b32_e32 v24, 3, v104
	v_add_u16_e32 v7, v22, v7
	v_lshlrev_b32_e32 v33, 2, v24
	v_and_b32_e32 v23, 0x7f, v23
	v_lshrrev_b16_e32 v7, 1, v7
	s_load_dwordx4 s[4:7], s[4:5], 0x0
	v_lshl_or_b32 v24, v23, 4, v33
	v_and_b32_e32 v7, 60, v7
	s_mov_b32 s3, 0x8200
	v_add3_u32 v123, v24, v7, s3
	v_xor_b32_e32 v7, 64, v23
	v_mul_i32_i24_e32 v27, s19, v7
	v_lshl_or_b32 v22, v7, 4, v33
	v_lshrrev_b32_e32 v7, 1, v7
	v_lshlrev_b32_e32 v10, 2, v1
	v_and_b32_e32 v7, 60, v7
	v_or_b32_e32 v1, v2, v1
	v_lshlrev_b32_e32 v2, 2, v104
	v_add3_u32 v124, v22, v7, s3
	v_and_b32_e32 v7, 28, v2
	s_waitcnt lgkmcnt(0)
	v_add_co_u32_e32 v22, vcc, s6, v7
	v_mov_b32_e32 v7, 0x8a40
	s_movk_i32 s16, 0xffe4
	v_lshl_add_u32 v125, v1, 2, v7
	v_mad_i32_i24 v1, v4, s16, v3
	v_mov_b32_e32 v3, 0x9050
	v_lshrrev_b32_e32 v127, 3, v104
	v_lshrrev_b32_e32 v5, 5, v104
	v_lshl_add_u32 v126, v1, 2, v3
	v_lshlrev_b32_e32 v1, 2, v127
	v_lshlrev_b32_e32 v3, 4, v104
	v_add3_u32 v130, v3, v1, s3
	v_lshlrev_b32_e32 v1, 2, v5
	v_add3_u32 v132, v1, v2, s2
	v_add_u32_e32 v1, 32, v104
	v_lshrrev_b32_e32 v133, 3, v1
	v_lshlrev_b32_e32 v3, 2, v133
	v_lshlrev_b32_e32 v1, 4, v1
	v_add3_u32 v134, v3, v1, s3
	v_and_b32_e32 v1, 60, v133
	v_add3_u32 v135, v2, v1, s2
	v_add_u32_e32 v1, 64, v104
	v_lshrrev_b32_e32 v3, 3, v1
	v_lshl_add_u32 v128, v4, 7, v7
	v_lshlrev_b32_e32 v7, 2, v3
	v_lshlrev_b32_e32 v1, 4, v1
	s_abs_i32 s16, s11
	v_add3_u32 v136, v7, v1, s3
	v_and_b32_e32 v1, 60, v3
	v_cvt_f32_u32_e32 v24, s16
	v_add3_u32 v137, v2, v1, s2
	v_add_u32_e32 v1, 0x60, v104
	v_lshrrev_b32_e32 v3, 3, v1
	v_lshlrev_b32_e32 v7, 2, v3
	v_lshlrev_b32_e32 v1, 4, v1
	v_add3_u32 v138, v7, v1, s3
	v_and_b32_e32 v1, 60, v3
	v_rcp_iflag_f32_e32 v3, v24
	v_add3_u32 v139, v2, v1, s2
	s_sub_i32 s2, 0, s16
	v_mul_i32_i24_e32 v34, s19, v23
	v_mul_f32_e32 v2, 0x4f7ffffe, v3
	v_cvt_u32_f32_e32 v2, v2
	s_waitcnt vmcnt(0)
	v_sub_u32_e32 v3, 0, v95
	v_max_i32_e32 v3, v95, v3
	v_mov_b32_e32 v23, s7
	v_mul_lo_u32 v7, s2, v2
	v_mul_hi_u32 v7, v2, v7
	v_add_u32_e32 v2, v2, v7
	v_mul_hi_u32 v2, v3, v2
	v_mul_lo_u32 v7, v2, s16
	v_addc_co_u32_e32 v23, vcc, 0, v23, vcc
	v_sub_u32_e32 v3, v3, v7
	v_add_u32_e32 v7, 1, v2
	v_cmp_le_u32_e32 vcc, s16, v3
	v_cndmask_b32_e32 v2, v2, v7, vcc
	v_subrev_u32_e32 v7, s16, v3
	v_cndmask_b32_e32 v3, v3, v7, vcc
	v_xor_b32_e32 v1, s11, v95
	v_add_u32_e32 v7, 1, v2
	v_cmp_le_u32_e32 vcc, s16, v3
	s_mul_i32 s22, s19, s18
	v_ashrrev_i32_e32 v1, 31, v1
	v_cndmask_b32_e32 v2, v2, v7, vcc
	v_xor_b32_e32 v2, v2, v1
	s_mul_hi_i32 s27, s22, 0xd2
	s_mul_i32 s26, s22, 0xd2
	v_sub_u32_e32 v1, v2, v1
	s_movk_i32 s21, 0xd2
	v_pk_mov_b32 v[2:3], s[26:27], s[26:27] op_sel:[0,1]
	v_and_b32_e32 v8, 7, v104
	v_mul_i32_i24_e32 v6, s19, v4
	v_mad_u64_u32 v[2:3], s[28:29], v5, s21, v[2:3]
	v_mad_u64_u32 v[6:7], s[28:29], v6, s21, v[2:3]
	v_lshl_or_b32 v91, v8, 2, v9
	v_add_co_u32_e32 v5, vcc, v6, v91
	v_addc_co_u32_e32 v8, vcc, 0, v7, vcc
	v_mov_b32_e32 v93, s5
	v_add_co_u32_e32 v5, vcc, s4, v5
	v_addc_co_u32_e32 v8, vcc, v8, v93, vcc
	s_movk_i32 s20, 0x80
	v_add_co_u32_e32 v26, vcc, s20, v5
	v_addc_co_u32_e32 v25, vcc, 0, v8, vcc
	v_mad_u64_u32 v[8:9], s[28:29], v27, s21, 0
	v_mov_b32_e32 v5, 0xd2
	v_mad_i64_i32 v[8:9], s[28:29], s22, v5, v[8:9]
	v_add_co_u32_e32 v8, vcc, v8, v33
	v_addc_co_u32_e32 v9, vcc, 0, v9, vcc
	v_add_co_u32_e32 v8, vcc, s4, v8
	v_addc_co_u32_e32 v9, vcc, v9, v93, vcc
	s_movk_i32 s24, 0xc0
	v_add_co_u32_e32 v28, vcc, s24, v8
	v_addc_co_u32_e32 v27, vcc, 0, v9, vcc
	v_add_co_u32_e32 v6, vcc, v6, v10
	v_addc_co_u32_e32 v7, vcc, 0, v7, vcc
	;; [unrolled: 2-line block ×4, first 2 shown]
	v_mad_u64_u32 v[6:7], s[28:29], v11, s21, v[2:3]
	v_add_co_u32_e32 v8, vcc, v6, v91
	v_addc_co_u32_e32 v9, vcc, 0, v7, vcc
	v_add_co_u32_e32 v8, vcc, s4, v8
	v_addc_co_u32_e32 v9, vcc, v9, v93, vcc
	;; [unrolled: 2-line block ×3, first 2 shown]
	v_mad_u64_u32 v[8:9], s[28:29], v34, s21, 0
	v_mad_i64_i32 v[8:9], s[22:23], s22, v5, v[8:9]
	v_add_co_u32_e32 v5, vcc, v8, v33
	v_addc_co_u32_e32 v8, vcc, 0, v9, vcc
	v_add_co_u32_e32 v5, vcc, s4, v5
	v_addc_co_u32_e32 v8, vcc, v8, v93, vcc
	;; [unrolled: 2-line block ×5, first 2 shown]
	v_add_u32_e32 v12, s0, v11
	v_add_co_u32_e32 v36, vcc, 2, v5
	v_addc_co_u32_e32 v35, vcc, 0, v6, vcc
	v_mad_u64_u32 v[6:7], s[22:23], v12, s21, v[2:3]
	s_ashr_i32 s25, s14, 31
	v_add_co_u32_e32 v5, vcc, v6, v91
	s_add_u32 s16, s6, 0x90
	v_addc_co_u32_e32 v8, vcc, 0, v7, vcc
	s_addc_u32 s17, s7, 0
	v_add_co_u32_e32 v5, vcc, s4, v5
	v_addc_co_u32_e32 v8, vcc, v8, v93, vcc
	s_add_u32 s22, s4, s26
	v_add_co_u32_e32 v38, vcc, s20, v5
	s_addc_u32 s23, s5, s27
	v_addc_co_u32_e32 v37, vcc, 0, v8, vcc
	v_pk_mov_b32 v[8:9], s[22:23], s[22:23] op_sel:[0,1]
	v_mad_u64_u32 v[8:9], s[22:23], v39, s21, v[8:9]
	s_movk_i32 s22, 0xd0
	v_add_co_u32_e32 v40, vcc, s22, v8
	v_addc_co_u32_e32 v39, vcc, 0, v9, vcc
	v_add_co_u32_e32 v5, vcc, v6, v10
	v_addc_co_u32_e32 v6, vcc, 0, v7, vcc
	;; [unrolled: 2-line block ×3, first 2 shown]
	v_add_u32_e32 v13, s0, v12
	v_add_co_u32_e32 v42, vcc, 2, v5
	v_addc_co_u32_e32 v41, vcc, 0, v6, vcc
	v_mad_u64_u32 v[6:7], s[22:23], v13, s21, v[2:3]
	v_add_co_u32_e32 v5, vcc, v6, v91
	v_addc_co_u32_e32 v8, vcc, 0, v7, vcc
	v_add_co_u32_e32 v5, vcc, s4, v5
	v_addc_co_u32_e32 v8, vcc, v8, v93, vcc
	s_mul_i32 s22, s19, 0x78
	v_add_co_u32_e32 v44, vcc, s20, v5
	v_mov_b32_e32 v5, s22
	v_lshlrev_b32_e32 v129, 4, v4
	v_mad_i32_i24 v4, s19, v4, v5
	v_addc_co_u32_e32 v43, vcc, 0, v8, vcc
	v_mad_u64_u32 v[4:5], s[22:23], v4, s21, v[2:3]
	v_add_co_u32_e32 v8, vcc, v4, v10
	v_addc_co_u32_e32 v9, vcc, 0, v5, vcc
	v_mov_b32_e32 v11, s5
	v_add_co_u32_e32 v46, vcc, s4, v8
	v_addc_co_u32_e32 v45, vcc, v11, v9, vcc
	v_add_co_u32_e32 v6, vcc, v6, v10
	v_addc_co_u32_e32 v7, vcc, 0, v7, vcc
	;; [unrolled: 2-line block ×3, first 2 shown]
	v_add_u32_e32 v14, s0, v13
	v_add_co_u32_e32 v48, vcc, 2, v6
	v_addc_co_u32_e32 v47, vcc, 0, v7, vcc
	v_mad_u64_u32 v[6:7], s[22:23], v14, s21, v[2:3]
	v_add_co_u32_e32 v8, vcc, v6, v91
	v_addc_co_u32_e32 v9, vcc, 0, v7, vcc
	v_add_co_u32_e32 v8, vcc, s4, v8
	v_addc_co_u32_e32 v9, vcc, v9, v93, vcc
	;; [unrolled: 2-line block ×6, first 2 shown]
	v_add_co_u32_e32 v4, vcc, v6, v10
	v_add_u32_e32 v15, s0, v14
	v_addc_co_u32_e32 v5, vcc, 0, v7, vcc
	v_add_u32_e32 v16, s0, v15
	v_add_co_u32_e32 v4, vcc, s4, v4
	v_add_u32_e32 v17, s0, v16
	v_addc_co_u32_e32 v5, vcc, v5, v93, vcc
	v_add_u32_e32 v18, s0, v17
	v_add_co_u32_e32 v54, vcc, 2, v4
	v_add_u32_e32 v19, s0, v18
	v_addc_co_u32_e32 v53, vcc, 0, v5, vcc
	v_mad_u64_u32 v[4:5], s[22:23], v15, s21, v[2:3]
	v_add_u32_e32 v20, s0, v19
	v_add_co_u32_e32 v6, vcc, v4, v91
	v_add_u32_e32 v21, s0, v20
	v_addc_co_u32_e32 v7, vcc, 0, v5, vcc
	v_add_u32_e32 v81, s0, v21
	v_add_co_u32_e32 v6, vcc, s4, v6
	v_add_u32_e32 v69, s0, v81
	v_addc_co_u32_e32 v7, vcc, v7, v93, vcc
	v_add_u32_e32 v57, s0, v69
	v_add_co_u32_e32 v56, vcc, s20, v6
	v_addc_co_u32_e32 v55, vcc, 0, v7, vcc
	v_mad_u64_u32 v[6:7], s[22:23], v57, s21, v[2:3]
	v_add_co_u32_e32 v8, vcc, v6, v10
	v_addc_co_u32_e32 v9, vcc, 0, v7, vcc
	v_add_co_u32_e32 v58, vcc, s4, v8
	v_addc_co_u32_e32 v57, vcc, v11, v9, vcc
	v_add_co_u32_e32 v4, vcc, v4, v10
	v_addc_co_u32_e32 v5, vcc, 0, v5, vcc
	v_add_co_u32_e32 v4, vcc, s4, v4
	v_addc_co_u32_e32 v5, vcc, v5, v93, vcc
	v_add_co_u32_e32 v60, vcc, 2, v4
	v_addc_co_u32_e32 v59, vcc, 0, v5, vcc
	v_mad_u64_u32 v[4:5], s[22:23], v16, s21, v[2:3]
	v_add_co_u32_e32 v8, vcc, v4, v91
	v_addc_co_u32_e32 v9, vcc, 0, v5, vcc
	v_add_co_u32_e32 v8, vcc, s4, v8
	v_addc_co_u32_e32 v9, vcc, v9, v93, vcc
	v_add_co_u32_e32 v62, vcc, s20, v8
	v_addc_co_u32_e32 v61, vcc, 0, v9, vcc
	v_add_co_u32_e32 v6, vcc, v6, v91
	v_addc_co_u32_e32 v7, vcc, 0, v7, vcc
	v_add_co_u32_e32 v6, vcc, s4, v6
	v_addc_co_u32_e32 v7, vcc, v7, v93, vcc
	v_add_co_u32_e32 v64, vcc, s20, v6
	v_addc_co_u32_e32 v63, vcc, 0, v7, vcc
	v_add_co_u32_e32 v4, vcc, v4, v10
	v_addc_co_u32_e32 v5, vcc, 0, v5, vcc
	v_add_co_u32_e32 v4, vcc, s4, v4
	v_addc_co_u32_e32 v5, vcc, v5, v93, vcc
	v_add_co_u32_e32 v66, vcc, 2, v4
	v_addc_co_u32_e32 v65, vcc, 0, v5, vcc
	v_mad_u64_u32 v[4:5], s[22:23], v17, s21, v[2:3]
	v_add_co_u32_e32 v6, vcc, v4, v91
	v_addc_co_u32_e32 v7, vcc, 0, v5, vcc
	v_add_co_u32_e32 v6, vcc, s4, v6
	v_addc_co_u32_e32 v7, vcc, v7, v93, vcc
	v_add_co_u32_e32 v68, vcc, s20, v6
	v_addc_co_u32_e32 v67, vcc, 0, v7, vcc
	v_mad_u64_u32 v[6:7], s[22:23], v69, s21, v[2:3]
	v_add_co_u32_e32 v8, vcc, v6, v10
	v_addc_co_u32_e32 v9, vcc, 0, v7, vcc
	v_add_co_u32_e32 v70, vcc, s4, v8
	v_addc_co_u32_e32 v69, vcc, v11, v9, vcc
	v_add_co_u32_e32 v4, vcc, v4, v10
	v_addc_co_u32_e32 v5, vcc, 0, v5, vcc
	v_add_co_u32_e32 v4, vcc, s4, v4
	v_addc_co_u32_e32 v5, vcc, v5, v93, vcc
	v_add_co_u32_e32 v72, vcc, 2, v4
	v_addc_co_u32_e32 v71, vcc, 0, v5, vcc
	v_mad_u64_u32 v[4:5], s[22:23], v18, s21, v[2:3]
	v_add_co_u32_e32 v8, vcc, v4, v91
	v_addc_co_u32_e32 v9, vcc, 0, v5, vcc
	v_add_co_u32_e32 v8, vcc, s4, v8
	v_addc_co_u32_e32 v9, vcc, v9, v93, vcc
	v_add_co_u32_e32 v74, vcc, s20, v8
	v_addc_co_u32_e32 v73, vcc, 0, v9, vcc
	v_add_co_u32_e32 v6, vcc, v6, v91
	v_addc_co_u32_e32 v7, vcc, 0, v7, vcc
	v_add_co_u32_e32 v6, vcc, s4, v6
	v_addc_co_u32_e32 v7, vcc, v7, v93, vcc
	v_add_co_u32_e32 v76, vcc, s20, v6
	v_addc_co_u32_e32 v75, vcc, 0, v7, vcc
	v_add_co_u32_e32 v4, vcc, v4, v10
	v_addc_co_u32_e32 v5, vcc, 0, v5, vcc
	v_add_co_u32_e32 v4, vcc, s4, v4
	v_addc_co_u32_e32 v5, vcc, v5, v93, vcc
	v_add_co_u32_e32 v78, vcc, 2, v4
	v_addc_co_u32_e32 v77, vcc, 0, v5, vcc
	v_mad_u64_u32 v[4:5], s[22:23], v19, s21, v[2:3]
	v_add_co_u32_e32 v6, vcc, v4, v91
	v_addc_co_u32_e32 v7, vcc, 0, v5, vcc
	v_add_co_u32_e32 v6, vcc, s4, v6
	v_addc_co_u32_e32 v7, vcc, v7, v93, vcc
	;; [unrolled: 37-line block ×3, first 2 shown]
	v_add_co_u32_e32 v92, vcc, s20, v4
	v_addc_co_u32_e32 v91, vcc, 0, v5, vcc
	v_add_co_u32_e32 v2, vcc, v2, v10
	v_addc_co_u32_e32 v3, vcc, 0, v3, vcc
	;; [unrolled: 2-line block ×3, first 2 shown]
	v_mul_lo_u32 v24, v1, s9
	v_add_co_u32_e32 v94, vcc, 2, v2
	v_add_u32_e32 v107, 0x820, v106
	v_add_u32_e32 v108, 0x1040, v106
	;; [unrolled: 1-line block ×15, first 2 shown]
	v_cmp_gt_u32_e64 s[0:1], 4, v104
	v_mul_u32_u24_e32 v131, 0x104, v104
	v_cmp_gt_i32_e64 s[2:3], s8, v1
	v_ashrrev_i32_e32 v1, 31, v24
	v_addc_co_u32_e32 v93, vcc, 0, v3, vcc
	v_mov_b32_e32 v140, 0
	s_mov_b32 s21, 0xf0f0f0f
	s_mov_b32 s22, 0x30303030
	s_movk_i32 s23, 0x3f00
	s_movk_i32 s24, 0xe000
	v_mov_b32_e32 v141, s25
	v_mov_b32_e32 v142, 8
	;; [unrolled: 1-line block ×5, first 2 shown]
	s_branch .LBB215_6
.LBB215_4:                              ;   in Loop: Header=BB215_6 Depth=1
	s_or_b64 exec, exec, s[4:5]
	s_waitcnt lgkmcnt(0)
	s_barrier
	ds_read_b128 v[6:9], v128
	ds_read_b128 v[10:13], v128 offset:16
	ds_read_b128 v[14:17], v128 offset:32
	;; [unrolled: 1-line block ×3, first 2 shown]
	ds_read_b32 v146, v132
	ds_read2_b32 v[96:97], v131 offset0:38 offset1:39
	ds_read2_b32 v[100:101], v131 offset0:36 offset1:37
	;; [unrolled: 1-line block ×6, first 2 shown]
	ds_read_b128 v[2:5], v129 offset:36944
	ds_read2_b32 v[98:99], v130 offset0:2 offset1:3
	v_mov_b32_e32 v147, 0
	ds_read2_b32 v[154:155], v131 offset0:42 offset1:43
	ds_read2_b32 v[156:157], v131 offset0:40 offset1:41
	s_waitcnt lgkmcnt(4)
	v_dot4c_i32_i8_e32 v147, v152, v18
	v_dot4c_i32_i8_e32 v147, v153, v19
	;; [unrolled: 1-line block ×4, first 2 shown]
	v_mov_b32_e32 v151, 0
	v_dot4c_i32_i8_e32 v151, v100, v10
	v_dot4c_i32_i8_e32 v151, v101, v11
	;; [unrolled: 1-line block ×4, first 2 shown]
	v_mov_b32_e32 v97, 0
	v_dot4c_i32_i8_e32 v97, v148, v6
	v_dot4c_i32_i8_e32 v97, v149, v7
	s_waitcnt lgkmcnt(2)
	v_bfe_i32 v96, v98, 8, 8
	v_dot4c_i32_i8_e32 v97, v102, v8
	v_mul_lo_u32 v96, v151, v96
	v_dot4c_i32_i8_e32 v97, v103, v9
	v_bfe_i32 v100, v98, 0, 8
	v_mov_b32_e32 v150, 0
	s_waitcnt lgkmcnt(0)
	v_dot4c_i32_i8_e32 v150, v156, v14
	v_mad_u64_u32 v[96:97], s[4:5], v97, v100, v[96:97]
	v_cvt_f32_i32_e32 v96, v96
	v_dot4c_i32_i8_e32 v150, v157, v15
	v_dot4c_i32_i8_e32 v150, v154, v16
	;; [unrolled: 1-line block ×3, first 2 shown]
	v_fma_f32 v162, v2, v96, 0
	v_ashrrev_i32_e32 v96, 24, v98
	v_bfe_i32 v97, v98, 16, 8
	v_mul_lo_u32 v96, v147, v96
	v_mad_u64_u32 v[96:97], s[4:5], v150, v97, v[96:97]
	v_add_u32_e32 v100, 0x2110, v131
	v_add_u32_e32 v148, 0x2108, v131
	;; [unrolled: 1-line block ×5, first 2 shown]
	v_cvt_f32_i32_e32 v147, v96
	ds_read2_b32 v[96:97], v136 offset0:2 offset1:3
	ds_read_b32 v166, v135 offset:128
	ds_read2_b32 v[102:103], v134 offset0:2 offset1:3
	ds_read2_b32 v[100:101], v100 offset1:1
	ds_read2_b32 v[148:149], v148 offset1:1
	;; [unrolled: 1-line block ×5, first 2 shown]
	v_mov_b32_e32 v163, 0
	v_add_u32_e32 v98, 0x2118, v131
	v_add_u32_e32 v156, 0x2128, v131
	;; [unrolled: 1-line block ×3, first 2 shown]
	s_waitcnt lgkmcnt(0)
	v_dot4c_i32_i8_e32 v163, v154, v18
	v_dot4c_i32_i8_e32 v163, v155, v19
	v_add_u32_e32 v160, 0x4198, v131
	v_dot4c_i32_i8_e32 v163, v152, v20
	ds_read2_b32 v[156:157], v156 offset1:1
	ds_read2_b32 v[158:159], v158 offset1:1
	;; [unrolled: 1-line block ×3, first 2 shown]
	v_dot4c_i32_i8_e32 v163, v153, v21
	ds_read2_b32 v[152:153], v98 offset1:1
	v_mov_b32_e32 v155, 0
	v_dot4c_i32_i8_e32 v155, v100, v10
	v_dot4c_i32_i8_e32 v155, v101, v11
	v_mov_b32_e32 v101, 0
	v_dot4c_i32_i8_e32 v101, v150, v6
	s_waitcnt lgkmcnt(0)
	v_dot4c_i32_i8_e32 v155, v152, v12
	v_dot4c_i32_i8_e32 v101, v151, v7
	v_mov_b32_e32 v154, 0
	v_dot4c_i32_i8_e32 v155, v153, v13
	v_bfe_i32 v100, v102, 8, 8
	v_dot4c_i32_i8_e32 v101, v148, v8
	v_dot4c_i32_i8_e32 v154, v158, v14
	v_mul_lo_u32 v100, v155, v100
	v_dot4c_i32_i8_e32 v101, v149, v9
	v_bfe_i32 v148, v102, 0, 8
	v_dot4c_i32_i8_e32 v154, v159, v15
	v_dot4c_i32_i8_e32 v154, v156, v16
	v_mad_u64_u32 v[100:101], s[4:5], v101, v148, v[100:101]
	v_cvt_f32_i32_e32 v148, v100
	v_ashrrev_i32_e32 v100, 24, v102
	v_dot4c_i32_i8_e32 v154, v157, v17
	v_bfe_i32 v101, v102, 16, 8
	v_mul_lo_u32 v100, v163, v100
	v_fmac_f32_e32 v162, v3, v147
	v_mad_u64_u32 v[100:101], s[4:5], v154, v101, v[100:101]
	v_cvt_f32_i32_e32 v100, v100
	v_fma_f32 v101, v2, v148, 0
	v_add_u32_e32 v147, 0x4188, v131
	v_add_u32_e32 v150, 0x4180, v131
	v_fmac_f32_e32 v101, v3, v100
	v_add_u32_e32 v100, 0x4190, v131
	v_add_u32_e32 v152, 0x41b8, v131
	ds_read_b32 v98, v139 offset:384
	ds_read_b32 v102, v137 offset:256
	v_fmac_f32_e32 v143, v166, v101
	ds_read2_b32 v[100:101], v100 offset1:1
	ds_read2_b32 v[148:149], v147 offset1:1
	;; [unrolled: 1-line block ×4, first 2 shown]
	v_add_u32_e32 v147, 0x41b0, v131
	ds_read2_b32 v[154:155], v147 offset1:1
	v_mov_b32_e32 v164, 0
	v_add_u32_e32 v156, 0x41a8, v131
	v_add_u32_e32 v158, 0x41a0, v131
	v_fmac_f32_e32 v140, v146, v162
	s_waitcnt lgkmcnt(0)
	v_dot4c_i32_i8_e32 v164, v154, v18
	v_dot4c_i32_i8_e32 v164, v155, v19
	;; [unrolled: 1-line block ×3, first 2 shown]
	v_mov_b32_e32 v152, 0
	v_dot4c_i32_i8_e32 v152, v100, v10
	v_dot4c_i32_i8_e32 v152, v101, v11
	v_mov_b32_e32 v101, 0
	v_dot4c_i32_i8_e32 v101, v150, v6
	v_dot4c_i32_i8_e32 v152, v160, v12
	;; [unrolled: 1-line block ×4, first 2 shown]
	v_bfe_i32 v100, v96, 8, 8
	v_dot4c_i32_i8_e32 v101, v148, v8
	v_add_u32_e32 v147, 0x6218, v131
	ds_read2_b32 v[156:157], v156 offset1:1
	ds_read2_b32 v[158:159], v158 offset1:1
	;; [unrolled: 1-line block ×3, first 2 shown]
	v_mul_lo_u32 v100, v152, v100
	v_dot4c_i32_i8_e32 v101, v149, v9
	v_bfe_i32 v148, v96, 0, 8
	v_mov_b32_e32 v147, 0
	s_waitcnt lgkmcnt(1)
	v_dot4c_i32_i8_e32 v147, v158, v14
	v_mad_u64_u32 v[100:101], s[4:5], v101, v148, v[100:101]
	v_cvt_f32_i32_e32 v100, v100
	v_dot4c_i32_i8_e32 v147, v159, v15
	v_dot4c_i32_i8_e32 v164, v153, v21
	;; [unrolled: 1-line block ×3, first 2 shown]
	v_fma_f32 v167, v2, v100, 0
	v_bfe_i32 v100, v96, 16, 8
	v_ashrrev_i32_e32 v96, 24, v96
	v_dot4c_i32_i8_e32 v147, v157, v17
	v_mul_lo_u32 v96, v164, v96
	v_add_u32_e32 v150, 0x6208, v131
	v_add_u32_e32 v152, 0x6200, v131
	v_mad_u64_u32 v[100:101], s[4:5], v147, v100, v[96:97]
	v_add_u32_e32 v147, 0x6210, v131
	v_add_u32_e32 v154, 0x6238, v131
	v_cvt_f32_i32_e32 v96, v100
	ds_read2_b32 v[100:101], v138 offset0:2 offset1:3
	ds_read2_b32 v[148:149], v147 offset1:1
	ds_read2_b32 v[150:151], v150 offset1:1
	;; [unrolled: 1-line block ×4, first 2 shown]
	v_add_u32_e32 v147, 0x6230, v131
	ds_read2_b32 v[156:157], v147 offset1:1
	v_add_u32_e32 v158, 0x6228, v131
	v_add_u32_e32 v160, 0x6220, v131
	;; [unrolled: 1-line block ×3, first 2 shown]
	ds_read2_b32 v[158:159], v158 offset1:1
	ds_read2_b32 v[160:161], v160 offset1:1
	;; [unrolled: 1-line block ×3, first 2 shown]
	v_mov_b32_e32 v168, 0
	s_waitcnt lgkmcnt(3)
	v_dot4c_i32_i8_e32 v168, v156, v18
	v_mov_b32_e32 v18, 0
	s_waitcnt lgkmcnt(1)
	v_dot4c_i32_i8_e32 v18, v160, v14
	v_mov_b32_e32 v14, 0
	v_dot4c_i32_i8_e32 v14, v148, v10
	v_dot4c_i32_i8_e32 v14, v149, v11
	v_mov_b32_e32 v11, 0
	v_dot4c_i32_i8_e32 v11, v152, v6
	v_dot4c_i32_i8_e32 v14, v162, v12
	;; [unrolled: 1-line block ×4, first 2 shown]
	v_bfe_i32 v10, v100, 8, 8
	v_dot4c_i32_i8_e32 v11, v150, v8
	v_dot4c_i32_i8_e32 v168, v157, v19
	v_mul_lo_u32 v10, v14, v10
	v_dot4c_i32_i8_e32 v11, v151, v9
	v_bfe_i32 v6, v100, 0, 8
	v_dot4c_i32_i8_e32 v168, v154, v20
	v_dot4c_i32_i8_e32 v18, v161, v15
	v_mad_u64_u32 v[6:7], s[4:5], v11, v6, v[10:11]
	v_dot4c_i32_i8_e32 v168, v155, v21
	v_dot4c_i32_i8_e32 v18, v158, v16
	v_cvt_f32_i32_e32 v8, v6
	v_ashrrev_i32_e32 v6, 24, v100
	v_dot4c_i32_i8_e32 v18, v159, v17
	v_bfe_i32 v7, v100, 16, 8
	v_mul_lo_u32 v6, v168, v6
	v_fma_f32 v2, v2, v8, 0
	v_mad_u64_u32 v[6:7], s[4:5], v18, v7, v[6:7]
	v_cvt_f32_i32_e32 v6, v6
	v_fmac_f32_e32 v167, v3, v96
	v_mov_b32_e32 v96, 0
	v_bfe_i32 v147, v99, 0, 8
	v_fmac_f32_e32 v2, v3, v6
	v_fmac_f32_e32 v145, v98, v2
	ds_read_b128 v[10:13], v128 offset:80
	ds_read_b128 v[6:9], v128 offset:64
	;; [unrolled: 1-line block ×4, first 2 shown]
	ds_read2_b32 v[2:3], v131 offset0:62 offset1:63
	ds_read2_b32 v[148:149], v131 offset0:60 offset1:61
	;; [unrolled: 1-line block ×6, first 2 shown]
	s_waitcnt lgkmcnt(4)
	v_dot4c_i32_i8_e32 v96, v148, v18
	v_dot4c_i32_i8_e32 v96, v149, v19
	v_dot4c_i32_i8_e32 v96, v2, v20
	v_mov_b32_e32 v2, 0
	s_waitcnt lgkmcnt(2)
	v_dot4c_i32_i8_e32 v2, v152, v10
	v_dot4c_i32_i8_e32 v2, v153, v11
	;; [unrolled: 1-line block ×5, first 2 shown]
	v_bfe_i32 v3, v99, 8, 8
	ds_read2_b32 v[158:159], v131 offset0:58 offset1:59
	ds_read2_b32 v[160:161], v131 offset0:56 offset1:57
	v_mul_lo_u32 v2, v2, v3
	v_mov_b32_e32 v3, 0
	s_waitcnt lgkmcnt(2)
	v_dot4c_i32_i8_e32 v3, v156, v6
	v_dot4c_i32_i8_e32 v3, v157, v7
	;; [unrolled: 1-line block ×4, first 2 shown]
	v_mov_b32_e32 v100, 0
	s_waitcnt lgkmcnt(0)
	v_dot4c_i32_i8_e32 v100, v160, v14
	v_dot4c_i32_i8_e32 v100, v161, v15
	v_mad_u64_u32 v[2:3], s[4:5], v3, v147, v[2:3]
	v_cvt_f32_i32_e32 v2, v2
	v_dot4c_i32_i8_e32 v100, v158, v16
	v_dot4c_i32_i8_e32 v100, v159, v17
	v_bfe_i32 v3, v99, 16, 8
	v_fma_f32 v147, v4, v2, 0
	v_ashrrev_i32_e32 v2, 24, v99
	v_mul_lo_u32 v2, v96, v2
	v_mad_u64_u32 v[2:3], s[4:5], v100, v3, v[2:3]
	v_cvt_f32_i32_e32 v96, v2
	v_add_u32_e32 v2, 0x2150, v131
	v_add_u32_e32 v99, 0x2148, v131
	;; [unrolled: 1-line block ×4, first 2 shown]
	ds_read2_b32 v[2:3], v2 offset1:1
	ds_read2_b32 v[148:149], v99 offset1:1
	;; [unrolled: 1-line block ×4, first 2 shown]
	v_add_u32_e32 v99, 0x2170, v131
	ds_read2_b32 v[154:155], v99 offset1:1
	v_mov_b32_e32 v100, 0
	v_add_u32_e32 v156, 0x2168, v131
	v_add_u32_e32 v158, 0x2160, v131
	;; [unrolled: 1-line block ×3, first 2 shown]
	s_waitcnt lgkmcnt(0)
	v_dot4c_i32_i8_e32 v100, v154, v18
	v_dot4c_i32_i8_e32 v100, v155, v19
	;; [unrolled: 1-line block ×3, first 2 shown]
	v_mov_b32_e32 v152, 0
	v_dot4c_i32_i8_e32 v152, v2, v10
	ds_read2_b32 v[156:157], v156 offset1:1
	ds_read2_b32 v[158:159], v158 offset1:1
	;; [unrolled: 1-line block ×3, first 2 shown]
	v_dot4c_i32_i8_e32 v152, v3, v11
	v_mov_b32_e32 v3, 0
	v_dot4c_i32_i8_e32 v3, v150, v6
	v_dot4c_i32_i8_e32 v152, v164, v12
	;; [unrolled: 1-line block ×3, first 2 shown]
	v_mov_b32_e32 v99, 0
	v_dot4c_i32_i8_e32 v152, v165, v13
	v_bfe_i32 v2, v103, 8, 8
	v_dot4c_i32_i8_e32 v3, v148, v8
	s_waitcnt lgkmcnt(1)
	v_dot4c_i32_i8_e32 v99, v158, v14
	v_mul_lo_u32 v2, v152, v2
	v_dot4c_i32_i8_e32 v3, v149, v9
	v_bfe_i32 v148, v103, 0, 8
	v_dot4c_i32_i8_e32 v99, v159, v15
	v_dot4c_i32_i8_e32 v100, v153, v21
	v_mad_u64_u32 v[2:3], s[4:5], v3, v148, v[2:3]
	v_dot4c_i32_i8_e32 v99, v156, v16
	v_cvt_f32_i32_e32 v148, v2
	v_ashrrev_i32_e32 v2, 24, v103
	v_dot4c_i32_i8_e32 v99, v157, v17
	v_bfe_i32 v3, v103, 16, 8
	v_mul_lo_u32 v2, v100, v2
	v_fmac_f32_e32 v147, v5, v96
	v_mad_u64_u32 v[2:3], s[4:5], v99, v3, v[2:3]
	v_cvt_f32_i32_e32 v2, v2
	v_fma_f32 v3, v4, v148, 0
	v_add_u32_e32 v96, 0x41c8, v131
	v_add_u32_e32 v100, 0x41f8, v131
	v_fmac_f32_e32 v3, v5, v2
	v_add_u32_e32 v2, 0x41d0, v131
	v_fmac_f32_e32 v140, v146, v147
	v_fmac_f32_e32 v143, v166, v3
	v_add_u32_e32 v99, 0x41c0, v131
	ds_read2_b32 v[2:3], v2 offset1:1
	ds_read2_b32 v[146:147], v96 offset1:1
	;; [unrolled: 1-line block ×4, first 2 shown]
	v_add_u32_e32 v96, 0x41f0, v131
	v_add_u32_e32 v100, 0x41e8, v131
	;; [unrolled: 1-line block ×3, first 2 shown]
	ds_read2_b32 v[152:153], v96 offset1:1
	v_add_u32_e32 v96, 0x6258, v131
	ds_read2_b32 v[154:155], v100 offset1:1
	ds_read2_b32 v[156:157], v103 offset1:1
	;; [unrolled: 1-line block ×3, first 2 shown]
	v_mov_b32_e32 v100, 0
	s_waitcnt lgkmcnt(7)
	v_dot4c_i32_i8_e32 v100, v2, v10
	v_dot4c_i32_i8_e32 v100, v3, v11
	v_mov_b32_e32 v3, 0
	s_waitcnt lgkmcnt(5)
	v_dot4c_i32_i8_e32 v3, v148, v6
	v_dot4c_i32_i8_e32 v100, v160, v12
	;; [unrolled: 1-line block ×4, first 2 shown]
	v_bfe_i32 v2, v97, 8, 8
	v_dot4c_i32_i8_e32 v3, v146, v8
	v_dot4c_i32_i8_e32 v3, v147, v9
	v_mul_lo_u32 v2, v100, v2
	v_bfe_i32 v100, v97, 0, 8
	v_mov_b32_e32 v99, 0
	v_mad_u64_u32 v[2:3], s[4:5], v3, v100, v[2:3]
	v_cvt_f32_i32_e32 v2, v2
	s_waitcnt lgkmcnt(3)
	v_dot4c_i32_i8_e32 v99, v152, v18
	v_mov_b32_e32 v96, 0
	v_dot4c_i32_i8_e32 v99, v153, v19
	s_waitcnt lgkmcnt(1)
	v_dot4c_i32_i8_e32 v96, v156, v14
	v_dot4c_i32_i8_e32 v99, v150, v20
	;; [unrolled: 1-line block ×5, first 2 shown]
	v_fma_f32 v100, v4, v2, 0
	v_ashrrev_i32_e32 v2, 24, v97
	v_dot4c_i32_i8_e32 v96, v155, v17
	v_bfe_i32 v3, v97, 16, 8
	v_mul_lo_u32 v2, v99, v2
	v_add_u32_e32 v103, 0x6240, v131
	v_mad_u64_u32 v[2:3], s[4:5], v96, v3, v[2:3]
	v_cvt_f32_i32_e32 v99, v2
	v_add_u32_e32 v2, 0x6250, v131
	v_add_u32_e32 v96, 0x6248, v131
	;; [unrolled: 1-line block ×3, first 2 shown]
	ds_read2_b32 v[2:3], v2 offset1:1
	ds_read2_b32 v[96:97], v96 offset1:1
	ds_read2_b32 v[146:147], v103 offset1:1
	ds_read2_b32 v[148:149], v148 offset1:1
	v_add_u32_e32 v103, 0x6270, v131
	ds_read2_b32 v[150:151], v103 offset1:1
	v_add_u32_e32 v103, 0x6268, v131
	v_add_u32_e32 v154, 0x6260, v131
	ds_read2_b32 v[152:153], v103 offset1:1
	ds_read2_b32 v[154:155], v154 offset1:1
	v_mov_b32_e32 v156, 0
	s_waitcnt lgkmcnt(2)
	v_dot4c_i32_i8_e32 v156, v150, v18
	v_mov_b32_e32 v18, 0
	v_dot4c_i32_i8_e32 v156, v151, v19
	s_waitcnt lgkmcnt(0)
	v_dot4c_i32_i8_e32 v18, v154, v14
	v_mov_b32_e32 v14, 0
	v_dot4c_i32_i8_e32 v14, v2, v10
	v_dot4c_i32_i8_e32 v14, v3, v11
	v_mov_b32_e32 v3, 0
	v_dot4c_i32_i8_e32 v3, v146, v6
	v_dot4c_i32_i8_e32 v14, v158, v12
	;; [unrolled: 1-line block ×4, first 2 shown]
	v_bfe_i32 v2, v101, 8, 8
	v_dot4c_i32_i8_e32 v3, v96, v8
	v_dot4c_i32_i8_e32 v3, v97, v9
	v_mul_lo_u32 v2, v14, v2
	v_bfe_i32 v6, v101, 0, 8
	v_dot4c_i32_i8_e32 v156, v148, v20
	v_dot4c_i32_i8_e32 v18, v155, v15
	v_mad_u64_u32 v[2:3], s[4:5], v3, v6, v[2:3]
	v_dot4c_i32_i8_e32 v156, v149, v21
	v_dot4c_i32_i8_e32 v18, v152, v16
	v_cvt_f32_i32_e32 v6, v2
	v_ashrrev_i32_e32 v2, 24, v101
	v_dot4c_i32_i8_e32 v18, v153, v17
	v_bfe_i32 v3, v101, 16, 8
	v_mul_lo_u32 v2, v156, v2
	v_fmac_f32_e32 v144, v102, v167
	v_mad_u64_u32 v[2:3], s[4:5], v18, v3, v[2:3]
	v_cvt_f32_i32_e32 v2, v2
	v_fma_f32 v3, v4, v6, 0
	v_fmac_f32_e32 v100, v5, v99
	v_fmac_f32_e32 v144, v102, v100
	;; [unrolled: 1-line block ×4, first 2 shown]
	s_barrier
.LBB215_5:                              ;   in Loop: Header=BB215_6 Depth=1
	v_add_co_u32_e32 v26, vcc, 0xd2, v26
	v_addc_co_u32_e32 v25, vcc, 0, v25, vcc
	v_add_co_u32_e32 v28, vcc, 0xd2, v28
	v_addc_co_u32_e32 v27, vcc, 0, v27, vcc
	;; [unrolled: 2-line block ×34, first 2 shown]
	s_add_i32 s19, s19, -1
	s_addk_i32 s20, 0x100
	v_add_co_u32_e32 v94, vcc, 0xd2, v94
	v_add_u32_e32 v104, 8, v104
	v_add_u32_e32 v133, 8, v133
	;; [unrolled: 1-line block ×3, first 2 shown]
	s_cmp_eq_u32 s19, 0
	v_addc_co_u32_e32 v93, vcc, 0, v93, vcc
	s_cbranch_scc1 .LBB215_20
.LBB215_6:                              ; =>This Inner Loop Header: Depth=1
	v_add_co_u32_e32 v2, vcc, s14, v30
	v_addc_co_u32_e32 v3, vcc, v29, v141, vcc
	global_load_dword v6, v[2:3], off offset:-2
	v_add_co_u32_e32 v2, vcc, s14, v26
	v_addc_co_u32_e32 v3, vcc, v25, v141, vcc
	global_load_dword v7, v[2:3], off
	v_add_co_u32_e32 v2, vcc, s14, v36
	v_addc_co_u32_e32 v3, vcc, v35, v141, vcc
	global_load_dword v8, v[2:3], off offset:-2
	v_add_co_u32_e32 v2, vcc, s14, v32
	v_addc_co_u32_e32 v3, vcc, v31, v141, vcc
	global_load_dword v9, v[2:3], off
	v_add_co_u32_e32 v2, vcc, s14, v42
	v_addc_co_u32_e32 v3, vcc, v41, v141, vcc
	v_add_co_u32_e32 v4, vcc, s14, v38
	v_addc_co_u32_e32 v5, vcc, v37, v141, vcc
	global_load_dword v10, v[2:3], off offset:-2
	global_load_dword v11, v[4:5], off
	v_add_co_u32_e32 v2, vcc, s14, v48
	v_addc_co_u32_e32 v3, vcc, v47, v141, vcc
	v_add_co_u32_e32 v4, vcc, s14, v44
	v_addc_co_u32_e32 v5, vcc, v43, v141, vcc
	global_load_dword v12, v[2:3], off offset:-2
	s_nop 0
	global_load_dword v4, v[4:5], off
	s_add_i32 s4, s20, 0xffffff80
	s_cmp_lt_i32 s4, s15
	s_waitcnt vmcnt(7)
	v_and_b32_e32 v2, 0xf0f0f0f, v6
	v_lshrrev_b32_e32 v3, 4, v6
	s_waitcnt vmcnt(6)
	v_ashrrev_i32_e32 v5, v105, v7
	s_waitcnt vmcnt(5)
	v_and_b32_e32 v6, 0xf0f0f0f, v8
	v_lshrrev_b32_e32 v7, 4, v8
	s_waitcnt vmcnt(4)
	v_ashrrev_i32_e32 v8, v105, v9
	v_lshlrev_b32_e32 v9, 4, v5
	v_and_b32_e32 v5, 0x30303030, v5
	v_lshlrev_b32_e32 v13, 4, v8
	v_and_b32_e32 v8, 0x30303030, v8
	v_and_or_b32 v2, v9, s22, v2
	v_and_or_b32 v3, v3, s21, v5
	v_and_or_b32 v5, v13, s22, v6
	v_and_or_b32 v6, v7, s21, v8
	v_and_b32_e32 v7, 0x3f00, v2
	v_lshlrev_b16_e32 v8, 8, v2
	v_and_b32_sdwa v9, v2, s23 dst_sel:DWORD dst_unused:UNUSED_PAD src0_sel:WORD_1 src1_sel:DWORD
	v_lshlrev_b16_sdwa v2, v142, v2 dst_sel:DWORD dst_unused:UNUSED_PAD src0_sel:DWORD src1_sel:WORD_1
	v_and_b32_e32 v13, 0x3f00, v3
	v_lshlrev_b16_e32 v14, 8, v3
	v_and_b32_sdwa v15, v3, s23 dst_sel:DWORD dst_unused:UNUSED_PAD src0_sel:WORD_1 src1_sel:DWORD
	v_lshlrev_b16_sdwa v3, v142, v3 dst_sel:DWORD dst_unused:UNUSED_PAD src0_sel:DWORD src1_sel:WORD_1
	v_add_u16_e32 v8, 0xe000, v8
	v_add_u16_e32 v2, 0xe000, v2
	;; [unrolled: 1-line block ×4, first 2 shown]
	v_or_b32_sdwa v7, v7, v8 dst_sel:DWORD dst_unused:UNUSED_PAD src0_sel:DWORD src1_sel:BYTE_1
	v_or_b32_sdwa v2, v9, v2 dst_sel:DWORD dst_unused:UNUSED_PAD src0_sel:DWORD src1_sel:BYTE_1
	;; [unrolled: 1-line block ×4, first 2 shown]
	v_add_u16_e32 v7, 0xe000, v7
	v_add_u16_sdwa v2, v2, s24 dst_sel:WORD_1 dst_unused:UNUSED_PAD src0_sel:DWORD src1_sel:DWORD
	v_add_u16_e32 v8, 0xe000, v8
	v_add_u16_sdwa v3, v3, s24 dst_sel:WORD_1 dst_unused:UNUSED_PAD src0_sel:DWORD src1_sel:DWORD
	v_lshlrev_b16_e32 v20, 8, v6
	v_or_b32_e32 v2, v7, v2
	v_or_b32_e32 v3, v8, v3
	v_and_b32_e32 v19, 0x3f00, v6
	ds_write2_b32 v106, v2, v3 offset1:16
	v_add_u16_e32 v2, 0xe000, v20
	v_or_b32_sdwa v2, v19, v2 dst_sel:DWORD dst_unused:UNUSED_PAD src0_sel:DWORD src1_sel:BYTE_1
	v_and_b32_e32 v16, 0x3f00, v5
	v_lshlrev_b16_e32 v17, 8, v5
	v_and_b32_sdwa v18, v5, s23 dst_sel:DWORD dst_unused:UNUSED_PAD src0_sel:WORD_1 src1_sel:DWORD
	v_lshlrev_b16_sdwa v5, v142, v5 dst_sel:DWORD dst_unused:UNUSED_PAD src0_sel:DWORD src1_sel:WORD_1
	v_add_u16_e32 v7, 0xe000, v2
	v_add_co_u32_e32 v2, vcc, s14, v54
	v_add_u16_e32 v17, 0xe000, v17
	v_add_u16_e32 v5, 0xe000, v5
	v_addc_co_u32_e32 v3, vcc, v53, v141, vcc
	v_or_b32_sdwa v9, v16, v17 dst_sel:DWORD dst_unused:UNUSED_PAD src0_sel:DWORD src1_sel:BYTE_1
	v_or_b32_sdwa v5, v18, v5 dst_sel:DWORD dst_unused:UNUSED_PAD src0_sel:DWORD src1_sel:BYTE_1
	global_load_dword v8, v[2:3], off offset:-2
	v_add_co_u32_e32 v2, vcc, s14, v50
	v_add_u16_e32 v9, 0xe000, v9
	v_add_u16_sdwa v5, v5, s24 dst_sel:WORD_1 dst_unused:UNUSED_PAD src0_sel:DWORD src1_sel:DWORD
	v_addc_co_u32_e32 v3, vcc, v49, v141, vcc
	v_or_b32_e32 v5, v9, v5
	global_load_dword v9, v[2:3], off
	v_lshlrev_b16_sdwa v3, v142, v6 dst_sel:DWORD dst_unused:UNUSED_PAD src0_sel:DWORD src1_sel:WORD_1
	v_and_b32_sdwa v2, v6, s23 dst_sel:DWORD dst_unused:UNUSED_PAD src0_sel:WORD_1 src1_sel:DWORD
	v_add_u16_e32 v3, 0xe000, v3
	v_or_b32_sdwa v2, v2, v3 dst_sel:DWORD dst_unused:UNUSED_PAD src0_sel:DWORD src1_sel:BYTE_1
	v_add_u16_sdwa v2, v2, s24 dst_sel:WORD_1 dst_unused:UNUSED_PAD src0_sel:DWORD src1_sel:DWORD
	v_or_b32_e32 v2, v7, v2
	ds_write2_b32 v107, v5, v2 offset1:16
	s_waitcnt vmcnt(4)
	v_ashrrev_i32_e32 v5, v105, v11
	v_and_b32_e32 v2, 0xf0f0f0f, v10
	v_lshlrev_b32_e32 v6, 4, v5
	v_and_or_b32 v2, v6, s22, v2
	v_lshlrev_b16_e32 v7, 8, v2
	v_and_b32_e32 v6, 0x3f00, v2
	v_add_u16_e32 v7, 0xe000, v7
	v_or_b32_sdwa v6, v6, v7 dst_sel:DWORD dst_unused:UNUSED_PAD src0_sel:DWORD src1_sel:BYTE_1
	v_and_b32_sdwa v7, v2, s23 dst_sel:DWORD dst_unused:UNUSED_PAD src0_sel:WORD_1 src1_sel:DWORD
	v_lshlrev_b16_sdwa v2, v142, v2 dst_sel:DWORD dst_unused:UNUSED_PAD src0_sel:DWORD src1_sel:WORD_1
	v_add_u16_e32 v2, 0xe000, v2
	v_lshrrev_b32_e32 v3, 4, v10
	v_and_b32_e32 v5, 0x30303030, v5
	v_or_b32_sdwa v2, v7, v2 dst_sel:DWORD dst_unused:UNUSED_PAD src0_sel:DWORD src1_sel:BYTE_1
	v_add_u16_e32 v6, 0xe000, v6
	v_add_u16_sdwa v2, v2, s24 dst_sel:WORD_1 dst_unused:UNUSED_PAD src0_sel:DWORD src1_sel:DWORD
	v_and_or_b32 v3, v3, s21, v5
	v_or_b32_e32 v2, v6, v2
	v_lshlrev_b16_e32 v6, 8, v3
	v_and_b32_e32 v5, 0x3f00, v3
	v_add_u16_e32 v6, 0xe000, v6
	v_or_b32_sdwa v5, v5, v6 dst_sel:DWORD dst_unused:UNUSED_PAD src0_sel:DWORD src1_sel:BYTE_1
	v_and_b32_sdwa v6, v3, s23 dst_sel:DWORD dst_unused:UNUSED_PAD src0_sel:WORD_1 src1_sel:DWORD
	v_lshlrev_b16_sdwa v3, v142, v3 dst_sel:DWORD dst_unused:UNUSED_PAD src0_sel:DWORD src1_sel:WORD_1
	v_add_u16_e32 v3, 0xe000, v3
	v_or_b32_sdwa v3, v6, v3 dst_sel:DWORD dst_unused:UNUSED_PAD src0_sel:DWORD src1_sel:BYTE_1
	v_add_u16_e32 v5, 0xe000, v5
	v_add_u16_sdwa v3, v3, s24 dst_sel:WORD_1 dst_unused:UNUSED_PAD src0_sel:DWORD src1_sel:DWORD
	v_or_b32_e32 v3, v5, v3
	ds_write2_b32 v108, v2, v3 offset1:16
	v_add_co_u32_e32 v2, vcc, s14, v60
	v_addc_co_u32_e32 v3, vcc, v59, v141, vcc
	global_load_dword v7, v[2:3], off offset:-2
	v_add_co_u32_e32 v2, vcc, s14, v56
	v_addc_co_u32_e32 v3, vcc, v55, v141, vcc
	global_load_dword v10, v[2:3], off
	s_waitcnt vmcnt(4)
	v_ashrrev_i32_e32 v4, v105, v4
	v_and_b32_e32 v5, 0xf0f0f0f, v12
	v_lshlrev_b32_e32 v2, 4, v4
	v_and_or_b32 v2, v2, s22, v5
	v_lshlrev_b16_e32 v5, 8, v2
	v_and_b32_e32 v3, 0x30303030, v4
	v_and_b32_e32 v4, 0x3f00, v2
	v_add_u16_e32 v5, 0xe000, v5
	v_or_b32_sdwa v4, v4, v5 dst_sel:DWORD dst_unused:UNUSED_PAD src0_sel:DWORD src1_sel:BYTE_1
	v_and_b32_sdwa v5, v2, s23 dst_sel:DWORD dst_unused:UNUSED_PAD src0_sel:WORD_1 src1_sel:DWORD
	v_lshlrev_b16_sdwa v2, v142, v2 dst_sel:DWORD dst_unused:UNUSED_PAD src0_sel:DWORD src1_sel:WORD_1
	v_lshrrev_b32_e32 v6, 4, v12
	v_add_u16_e32 v2, 0xe000, v2
	v_or_b32_sdwa v2, v5, v2 dst_sel:DWORD dst_unused:UNUSED_PAD src0_sel:DWORD src1_sel:BYTE_1
	v_and_or_b32 v3, v6, s21, v3
	v_add_u16_e32 v4, 0xe000, v4
	v_add_u16_sdwa v2, v2, s24 dst_sel:WORD_1 dst_unused:UNUSED_PAD src0_sel:DWORD src1_sel:DWORD
	v_lshlrev_b16_e32 v5, 8, v3
	v_or_b32_e32 v2, v4, v2
	v_and_b32_e32 v4, 0x3f00, v3
	v_add_u16_e32 v5, 0xe000, v5
	v_or_b32_sdwa v4, v4, v5 dst_sel:DWORD dst_unused:UNUSED_PAD src0_sel:DWORD src1_sel:BYTE_1
	v_and_b32_sdwa v5, v3, s23 dst_sel:DWORD dst_unused:UNUSED_PAD src0_sel:WORD_1 src1_sel:DWORD
	v_lshlrev_b16_sdwa v3, v142, v3 dst_sel:DWORD dst_unused:UNUSED_PAD src0_sel:DWORD src1_sel:WORD_1
	v_add_u16_e32 v3, 0xe000, v3
	v_or_b32_sdwa v3, v5, v3 dst_sel:DWORD dst_unused:UNUSED_PAD src0_sel:DWORD src1_sel:BYTE_1
	v_add_u16_e32 v4, 0xe000, v4
	v_add_u16_sdwa v3, v3, s24 dst_sel:WORD_1 dst_unused:UNUSED_PAD src0_sel:DWORD src1_sel:DWORD
	v_or_b32_e32 v3, v4, v3
	ds_write2_b32 v109, v2, v3 offset1:16
	v_add_co_u32_e32 v2, vcc, s14, v66
	v_addc_co_u32_e32 v3, vcc, v65, v141, vcc
	s_waitcnt vmcnt(3)
	v_and_b32_e32 v4, 0xf0f0f0f, v8
	v_lshrrev_b32_e32 v5, 4, v8
	global_load_dword v8, v[2:3], off offset:-2
	v_add_co_u32_e32 v2, vcc, s14, v62
	v_addc_co_u32_e32 v3, vcc, v61, v141, vcc
	s_waitcnt vmcnt(3)
	v_ashrrev_i32_e32 v6, v105, v9
	global_load_dword v9, v[2:3], off
	v_lshlrev_b32_e32 v2, 4, v6
	v_and_or_b32 v2, v2, s22, v4
	v_and_b32_e32 v3, 0x30303030, v6
	v_lshlrev_b16_e32 v6, 8, v2
	v_and_b32_e32 v4, 0x3f00, v2
	v_add_u16_e32 v6, 0xe000, v6
	v_or_b32_sdwa v4, v4, v6 dst_sel:DWORD dst_unused:UNUSED_PAD src0_sel:DWORD src1_sel:BYTE_1
	v_and_b32_sdwa v6, v2, s23 dst_sel:DWORD dst_unused:UNUSED_PAD src0_sel:WORD_1 src1_sel:DWORD
	v_lshlrev_b16_sdwa v2, v142, v2 dst_sel:DWORD dst_unused:UNUSED_PAD src0_sel:DWORD src1_sel:WORD_1
	v_add_u16_e32 v2, 0xe000, v2
	v_or_b32_sdwa v2, v6, v2 dst_sel:DWORD dst_unused:UNUSED_PAD src0_sel:DWORD src1_sel:BYTE_1
	v_and_or_b32 v5, v5, s21, v3
	v_add_u16_e32 v4, 0xe000, v4
	v_add_u16_sdwa v2, v2, s24 dst_sel:WORD_1 dst_unused:UNUSED_PAD src0_sel:DWORD src1_sel:DWORD
	v_lshlrev_b16_e32 v3, 8, v5
	v_or_b32_e32 v4, v4, v2
	v_and_b32_e32 v2, 0x3f00, v5
	v_add_u16_e32 v3, 0xe000, v3
	v_or_b32_sdwa v2, v2, v3 dst_sel:DWORD dst_unused:UNUSED_PAD src0_sel:DWORD src1_sel:BYTE_1
	v_add_u16_e32 v6, 0xe000, v2
	v_add_co_u32_e32 v2, vcc, s14, v72
	v_addc_co_u32_e32 v3, vcc, v71, v141, vcc
	global_load_dword v11, v[2:3], off offset:-2
	v_add_co_u32_e32 v2, vcc, s14, v68
	v_addc_co_u32_e32 v3, vcc, v67, v141, vcc
	global_load_dword v12, v[2:3], off
	v_lshlrev_b16_sdwa v3, v142, v5 dst_sel:DWORD dst_unused:UNUSED_PAD src0_sel:DWORD src1_sel:WORD_1
	v_and_b32_sdwa v2, v5, s23 dst_sel:DWORD dst_unused:UNUSED_PAD src0_sel:WORD_1 src1_sel:DWORD
	v_add_u16_e32 v3, 0xe000, v3
	v_or_b32_sdwa v2, v2, v3 dst_sel:DWORD dst_unused:UNUSED_PAD src0_sel:DWORD src1_sel:BYTE_1
	v_add_u16_sdwa v2, v2, s24 dst_sel:WORD_1 dst_unused:UNUSED_PAD src0_sel:DWORD src1_sel:DWORD
	v_or_b32_e32 v2, v6, v2
	ds_write2_b32 v110, v4, v2 offset1:16
	s_waitcnt vmcnt(4)
	v_ashrrev_i32_e32 v4, v105, v10
	v_and_b32_e32 v2, 0xf0f0f0f, v7
	v_lshlrev_b32_e32 v5, 4, v4
	v_and_or_b32 v2, v5, s22, v2
	v_lshlrev_b16_e32 v6, 8, v2
	v_and_b32_e32 v5, 0x3f00, v2
	v_add_u16_e32 v6, 0xe000, v6
	v_or_b32_sdwa v5, v5, v6 dst_sel:DWORD dst_unused:UNUSED_PAD src0_sel:DWORD src1_sel:BYTE_1
	v_and_b32_sdwa v6, v2, s23 dst_sel:DWORD dst_unused:UNUSED_PAD src0_sel:WORD_1 src1_sel:DWORD
	v_lshlrev_b16_sdwa v2, v142, v2 dst_sel:DWORD dst_unused:UNUSED_PAD src0_sel:DWORD src1_sel:WORD_1
	v_lshrrev_b32_e32 v3, 4, v7
	v_and_b32_e32 v4, 0x30303030, v4
	v_add_u16_e32 v2, 0xe000, v2
	v_or_b32_sdwa v2, v6, v2 dst_sel:DWORD dst_unused:UNUSED_PAD src0_sel:DWORD src1_sel:BYTE_1
	v_and_or_b32 v4, v3, s21, v4
	v_add_u16_e32 v5, 0xe000, v5
	v_add_u16_sdwa v2, v2, s24 dst_sel:WORD_1 dst_unused:UNUSED_PAD src0_sel:DWORD src1_sel:DWORD
	v_lshlrev_b16_e32 v3, 8, v4
	v_or_b32_e32 v5, v5, v2
	v_and_b32_e32 v2, 0x3f00, v4
	v_add_u16_e32 v3, 0xe000, v3
	v_or_b32_sdwa v2, v2, v3 dst_sel:DWORD dst_unused:UNUSED_PAD src0_sel:DWORD src1_sel:BYTE_1
	v_add_u16_e32 v6, 0xe000, v2
	v_add_co_u32_e32 v2, vcc, s14, v78
	v_addc_co_u32_e32 v3, vcc, v77, v141, vcc
	global_load_dword v7, v[2:3], off offset:-2
	v_add_co_u32_e32 v2, vcc, s14, v74
	v_addc_co_u32_e32 v3, vcc, v73, v141, vcc
	global_load_dword v10, v[2:3], off
	v_lshlrev_b16_sdwa v3, v142, v4 dst_sel:DWORD dst_unused:UNUSED_PAD src0_sel:DWORD src1_sel:WORD_1
	v_and_b32_sdwa v2, v4, s23 dst_sel:DWORD dst_unused:UNUSED_PAD src0_sel:WORD_1 src1_sel:DWORD
	v_add_u16_e32 v3, 0xe000, v3
	v_or_b32_sdwa v2, v2, v3 dst_sel:DWORD dst_unused:UNUSED_PAD src0_sel:DWORD src1_sel:BYTE_1
	v_add_u16_sdwa v2, v2, s24 dst_sel:WORD_1 dst_unused:UNUSED_PAD src0_sel:DWORD src1_sel:DWORD
	v_or_b32_e32 v2, v6, v2
	ds_write2_b32 v111, v5, v2 offset1:16
	s_waitcnt vmcnt(5)
	v_and_b32_e32 v2, 0xf0f0f0f, v8
	v_lshrrev_b32_e32 v3, 4, v8
	s_waitcnt vmcnt(4)
	v_ashrrev_i32_e32 v4, v105, v9
	v_lshlrev_b32_e32 v5, 4, v4
	v_and_or_b32 v2, v5, s22, v2
	v_lshlrev_b16_e32 v6, 8, v2
	v_and_b32_e32 v5, 0x3f00, v2
	v_add_u16_e32 v6, 0xe000, v6
	v_or_b32_sdwa v5, v5, v6 dst_sel:DWORD dst_unused:UNUSED_PAD src0_sel:DWORD src1_sel:BYTE_1
	v_and_b32_sdwa v6, v2, s23 dst_sel:DWORD dst_unused:UNUSED_PAD src0_sel:WORD_1 src1_sel:DWORD
	v_lshlrev_b16_sdwa v2, v142, v2 dst_sel:DWORD dst_unused:UNUSED_PAD src0_sel:DWORD src1_sel:WORD_1
	v_add_u16_e32 v2, 0xe000, v2
	v_and_b32_e32 v4, 0x30303030, v4
	v_or_b32_sdwa v2, v6, v2 dst_sel:DWORD dst_unused:UNUSED_PAD src0_sel:DWORD src1_sel:BYTE_1
	v_add_u16_e32 v5, 0xe000, v5
	v_add_u16_sdwa v2, v2, s24 dst_sel:WORD_1 dst_unused:UNUSED_PAD src0_sel:DWORD src1_sel:DWORD
	v_and_or_b32 v3, v3, s21, v4
	v_or_b32_e32 v2, v5, v2
	v_lshlrev_b16_e32 v5, 8, v3
	v_and_b32_e32 v4, 0x3f00, v3
	v_add_u16_e32 v5, 0xe000, v5
	v_or_b32_sdwa v4, v4, v5 dst_sel:DWORD dst_unused:UNUSED_PAD src0_sel:DWORD src1_sel:BYTE_1
	v_and_b32_sdwa v5, v3, s23 dst_sel:DWORD dst_unused:UNUSED_PAD src0_sel:WORD_1 src1_sel:DWORD
	v_lshlrev_b16_sdwa v3, v142, v3 dst_sel:DWORD dst_unused:UNUSED_PAD src0_sel:DWORD src1_sel:WORD_1
	v_add_u16_e32 v3, 0xe000, v3
	v_or_b32_sdwa v3, v5, v3 dst_sel:DWORD dst_unused:UNUSED_PAD src0_sel:DWORD src1_sel:BYTE_1
	v_add_u16_e32 v4, 0xe000, v4
	v_add_u16_sdwa v3, v3, s24 dst_sel:WORD_1 dst_unused:UNUSED_PAD src0_sel:DWORD src1_sel:DWORD
	v_or_b32_e32 v3, v4, v3
	ds_write2_b32 v112, v2, v3 offset1:16
	v_add_co_u32_e32 v2, vcc, s14, v84
	v_addc_co_u32_e32 v3, vcc, v83, v141, vcc
	global_load_dword v8, v[2:3], off offset:-2
	v_add_co_u32_e32 v2, vcc, s14, v80
	v_addc_co_u32_e32 v3, vcc, v79, v141, vcc
	s_waitcnt vmcnt(3)
	v_ashrrev_i32_e32 v6, v105, v12
	global_load_dword v9, v[2:3], off
	v_and_b32_e32 v4, 0xf0f0f0f, v11
	v_lshlrev_b32_e32 v2, 4, v6
	v_and_or_b32 v2, v2, s22, v4
	v_and_b32_e32 v3, 0x30303030, v6
	v_lshlrev_b16_e32 v6, 8, v2
	v_and_b32_e32 v4, 0x3f00, v2
	v_add_u16_e32 v6, 0xe000, v6
	v_or_b32_sdwa v4, v4, v6 dst_sel:DWORD dst_unused:UNUSED_PAD src0_sel:DWORD src1_sel:BYTE_1
	v_and_b32_sdwa v6, v2, s23 dst_sel:DWORD dst_unused:UNUSED_PAD src0_sel:WORD_1 src1_sel:DWORD
	v_lshlrev_b16_sdwa v2, v142, v2 dst_sel:DWORD dst_unused:UNUSED_PAD src0_sel:DWORD src1_sel:WORD_1
	v_lshrrev_b32_e32 v5, 4, v11
	v_add_u16_e32 v2, 0xe000, v2
	v_or_b32_sdwa v2, v6, v2 dst_sel:DWORD dst_unused:UNUSED_PAD src0_sel:DWORD src1_sel:BYTE_1
	v_and_or_b32 v3, v5, s21, v3
	v_add_u16_e32 v4, 0xe000, v4
	v_add_u16_sdwa v2, v2, s24 dst_sel:WORD_1 dst_unused:UNUSED_PAD src0_sel:DWORD src1_sel:DWORD
	v_lshlrev_b16_e32 v5, 8, v3
	v_or_b32_e32 v2, v4, v2
	v_and_b32_e32 v4, 0x3f00, v3
	v_add_u16_e32 v5, 0xe000, v5
	v_or_b32_sdwa v4, v4, v5 dst_sel:DWORD dst_unused:UNUSED_PAD src0_sel:DWORD src1_sel:BYTE_1
	v_and_b32_sdwa v5, v3, s23 dst_sel:DWORD dst_unused:UNUSED_PAD src0_sel:WORD_1 src1_sel:DWORD
	v_lshlrev_b16_sdwa v3, v142, v3 dst_sel:DWORD dst_unused:UNUSED_PAD src0_sel:DWORD src1_sel:WORD_1
	v_add_u16_e32 v3, 0xe000, v3
	v_or_b32_sdwa v3, v5, v3 dst_sel:DWORD dst_unused:UNUSED_PAD src0_sel:DWORD src1_sel:BYTE_1
	v_add_u16_e32 v4, 0xe000, v4
	v_add_u16_sdwa v3, v3, s24 dst_sel:WORD_1 dst_unused:UNUSED_PAD src0_sel:DWORD src1_sel:DWORD
	v_or_b32_e32 v3, v4, v3
	ds_write2_b32 v113, v2, v3 offset1:16
	v_add_co_u32_e32 v2, vcc, s14, v90
	v_addc_co_u32_e32 v3, vcc, v89, v141, vcc
	s_waitcnt vmcnt(3)
	v_and_b32_e32 v4, 0xf0f0f0f, v7
	v_lshrrev_b32_e32 v5, 4, v7
	global_load_dword v7, v[2:3], off offset:-2
	v_add_co_u32_e32 v2, vcc, s14, v86
	v_addc_co_u32_e32 v3, vcc, v85, v141, vcc
	s_waitcnt vmcnt(3)
	v_ashrrev_i32_e32 v6, v105, v10
	global_load_dword v10, v[2:3], off
	v_lshlrev_b32_e32 v2, 4, v6
	v_and_or_b32 v2, v2, s22, v4
	v_and_b32_e32 v3, 0x30303030, v6
	v_lshlrev_b16_e32 v6, 8, v2
	v_and_b32_e32 v4, 0x3f00, v2
	v_add_u16_e32 v6, 0xe000, v6
	v_or_b32_sdwa v4, v4, v6 dst_sel:DWORD dst_unused:UNUSED_PAD src0_sel:DWORD src1_sel:BYTE_1
	v_and_b32_sdwa v6, v2, s23 dst_sel:DWORD dst_unused:UNUSED_PAD src0_sel:WORD_1 src1_sel:DWORD
	v_lshlrev_b16_sdwa v2, v142, v2 dst_sel:DWORD dst_unused:UNUSED_PAD src0_sel:DWORD src1_sel:WORD_1
	v_add_u16_e32 v2, 0xe000, v2
	v_or_b32_sdwa v2, v6, v2 dst_sel:DWORD dst_unused:UNUSED_PAD src0_sel:DWORD src1_sel:BYTE_1
	v_and_or_b32 v5, v5, s21, v3
	v_add_u16_e32 v4, 0xe000, v4
	v_add_u16_sdwa v2, v2, s24 dst_sel:WORD_1 dst_unused:UNUSED_PAD src0_sel:DWORD src1_sel:DWORD
	v_lshlrev_b16_e32 v3, 8, v5
	v_or_b32_e32 v4, v4, v2
	v_and_b32_e32 v2, 0x3f00, v5
	v_add_u16_e32 v3, 0xe000, v3
	v_or_b32_sdwa v2, v2, v3 dst_sel:DWORD dst_unused:UNUSED_PAD src0_sel:DWORD src1_sel:BYTE_1
	v_add_u16_e32 v6, 0xe000, v2
	v_add_co_u32_e32 v2, vcc, s14, v94
	v_addc_co_u32_e32 v3, vcc, v93, v141, vcc
	global_load_dword v11, v[2:3], off offset:-2
	v_add_co_u32_e32 v2, vcc, s14, v92
	v_addc_co_u32_e32 v3, vcc, v91, v141, vcc
	global_load_dword v12, v[2:3], off
	v_lshlrev_b16_sdwa v3, v142, v5 dst_sel:DWORD dst_unused:UNUSED_PAD src0_sel:DWORD src1_sel:WORD_1
	v_and_b32_sdwa v2, v5, s23 dst_sel:DWORD dst_unused:UNUSED_PAD src0_sel:WORD_1 src1_sel:DWORD
	v_add_u16_e32 v3, 0xe000, v3
	v_or_b32_sdwa v2, v2, v3 dst_sel:DWORD dst_unused:UNUSED_PAD src0_sel:DWORD src1_sel:BYTE_1
	v_add_u16_sdwa v2, v2, s24 dst_sel:WORD_1 dst_unused:UNUSED_PAD src0_sel:DWORD src1_sel:DWORD
	v_or_b32_e32 v2, v6, v2
	ds_write2_b32 v114, v4, v2 offset1:16
	s_waitcnt vmcnt(4)
	v_ashrrev_i32_e32 v4, v105, v9
	v_and_b32_e32 v2, 0xf0f0f0f, v8
	v_lshlrev_b32_e32 v5, 4, v4
	v_and_or_b32 v2, v5, s22, v2
	v_lshlrev_b16_e32 v6, 8, v2
	v_and_b32_e32 v5, 0x3f00, v2
	v_add_u16_e32 v6, 0xe000, v6
	v_or_b32_sdwa v5, v5, v6 dst_sel:DWORD dst_unused:UNUSED_PAD src0_sel:DWORD src1_sel:BYTE_1
	v_and_b32_sdwa v6, v2, s23 dst_sel:DWORD dst_unused:UNUSED_PAD src0_sel:WORD_1 src1_sel:DWORD
	v_lshlrev_b16_sdwa v2, v142, v2 dst_sel:DWORD dst_unused:UNUSED_PAD src0_sel:DWORD src1_sel:WORD_1
	v_lshrrev_b32_e32 v3, 4, v8
	v_and_b32_e32 v4, 0x30303030, v4
	v_add_u16_e32 v2, 0xe000, v2
	v_or_b32_sdwa v2, v6, v2 dst_sel:DWORD dst_unused:UNUSED_PAD src0_sel:DWORD src1_sel:BYTE_1
	v_and_or_b32 v4, v3, s21, v4
	v_add_u16_e32 v5, 0xe000, v5
	v_add_u16_sdwa v2, v2, s24 dst_sel:WORD_1 dst_unused:UNUSED_PAD src0_sel:DWORD src1_sel:DWORD
	v_lshlrev_b16_e32 v3, 8, v4
	v_or_b32_e32 v5, v5, v2
	v_and_b32_e32 v2, 0x3f00, v4
	v_add_u16_e32 v3, 0xe000, v3
	v_or_b32_sdwa v2, v2, v3 dst_sel:DWORD dst_unused:UNUSED_PAD src0_sel:DWORD src1_sel:BYTE_1
	v_add_u16_e32 v6, 0xe000, v2
	v_add_co_u32_e32 v2, vcc, s14, v82
	v_addc_co_u32_e32 v3, vcc, v81, v141, vcc
	global_load_dword v8, v[2:3], off
	v_add_co_u32_e32 v2, vcc, s14, v88
	v_addc_co_u32_e32 v3, vcc, v87, v141, vcc
	global_load_dword v9, v[2:3], off
	v_lshlrev_b16_sdwa v3, v142, v4 dst_sel:DWORD dst_unused:UNUSED_PAD src0_sel:DWORD src1_sel:WORD_1
	v_and_b32_sdwa v2, v4, s23 dst_sel:DWORD dst_unused:UNUSED_PAD src0_sel:WORD_1 src1_sel:DWORD
	v_add_u16_e32 v3, 0xe000, v3
	v_or_b32_sdwa v2, v2, v3 dst_sel:DWORD dst_unused:UNUSED_PAD src0_sel:DWORD src1_sel:BYTE_1
	v_add_u16_sdwa v2, v2, s24 dst_sel:WORD_1 dst_unused:UNUSED_PAD src0_sel:DWORD src1_sel:DWORD
	v_or_b32_e32 v2, v6, v2
	ds_write2_b32 v115, v5, v2 offset1:16
	s_waitcnt vmcnt(5)
	v_and_b32_e32 v2, 0xf0f0f0f, v7
	v_lshrrev_b32_e32 v3, 4, v7
	s_waitcnt vmcnt(4)
	v_ashrrev_i32_e32 v4, v105, v10
	v_lshlrev_b32_e32 v5, 4, v4
	v_and_or_b32 v2, v5, s22, v2
	v_lshlrev_b16_e32 v6, 8, v2
	v_and_b32_e32 v5, 0x3f00, v2
	v_add_u16_e32 v6, 0xe000, v6
	v_or_b32_sdwa v5, v5, v6 dst_sel:DWORD dst_unused:UNUSED_PAD src0_sel:DWORD src1_sel:BYTE_1
	v_and_b32_sdwa v6, v2, s23 dst_sel:DWORD dst_unused:UNUSED_PAD src0_sel:WORD_1 src1_sel:DWORD
	v_lshlrev_b16_sdwa v2, v142, v2 dst_sel:DWORD dst_unused:UNUSED_PAD src0_sel:DWORD src1_sel:WORD_1
	v_add_u16_e32 v2, 0xe000, v2
	v_and_b32_e32 v4, 0x30303030, v4
	v_or_b32_sdwa v2, v6, v2 dst_sel:DWORD dst_unused:UNUSED_PAD src0_sel:DWORD src1_sel:BYTE_1
	v_add_u16_e32 v5, 0xe000, v5
	v_add_u16_sdwa v2, v2, s24 dst_sel:WORD_1 dst_unused:UNUSED_PAD src0_sel:DWORD src1_sel:DWORD
	v_and_or_b32 v3, v3, s21, v4
	v_or_b32_e32 v2, v5, v2
	v_lshlrev_b16_e32 v5, 8, v3
	v_and_b32_e32 v4, 0x3f00, v3
	v_add_u16_e32 v5, 0xe000, v5
	v_or_b32_sdwa v4, v4, v5 dst_sel:DWORD dst_unused:UNUSED_PAD src0_sel:DWORD src1_sel:BYTE_1
	v_and_b32_sdwa v5, v3, s23 dst_sel:DWORD dst_unused:UNUSED_PAD src0_sel:WORD_1 src1_sel:DWORD
	v_lshlrev_b16_sdwa v3, v142, v3 dst_sel:DWORD dst_unused:UNUSED_PAD src0_sel:DWORD src1_sel:WORD_1
	v_add_u16_e32 v3, 0xe000, v3
	v_or_b32_sdwa v3, v5, v3 dst_sel:DWORD dst_unused:UNUSED_PAD src0_sel:DWORD src1_sel:BYTE_1
	v_add_u16_e32 v4, 0xe000, v4
	v_add_u16_sdwa v3, v3, s24 dst_sel:WORD_1 dst_unused:UNUSED_PAD src0_sel:DWORD src1_sel:DWORD
	v_or_b32_e32 v3, v4, v3
	ds_write2_b32 v116, v2, v3 offset1:16
	v_add_co_u32_e32 v2, vcc, s14, v70
	v_addc_co_u32_e32 v3, vcc, v69, v141, vcc
	global_load_dword v7, v[2:3], off
	v_add_co_u32_e32 v2, vcc, s14, v76
	v_addc_co_u32_e32 v3, vcc, v75, v141, vcc
	global_load_dword v10, v[2:3], off
	s_waitcnt vmcnt(4)
	v_ashrrev_i32_e32 v6, v105, v12
	v_and_b32_e32 v4, 0xf0f0f0f, v11
	v_lshlrev_b32_e32 v2, 4, v6
	v_and_or_b32 v2, v2, s22, v4
	v_and_b32_e32 v3, 0x30303030, v6
	v_lshlrev_b16_e32 v6, 8, v2
	v_and_b32_e32 v4, 0x3f00, v2
	v_add_u16_e32 v6, 0xe000, v6
	v_or_b32_sdwa v4, v4, v6 dst_sel:DWORD dst_unused:UNUSED_PAD src0_sel:DWORD src1_sel:BYTE_1
	v_and_b32_sdwa v6, v2, s23 dst_sel:DWORD dst_unused:UNUSED_PAD src0_sel:WORD_1 src1_sel:DWORD
	v_lshlrev_b16_sdwa v2, v142, v2 dst_sel:DWORD dst_unused:UNUSED_PAD src0_sel:DWORD src1_sel:WORD_1
	v_lshrrev_b32_e32 v5, 4, v11
	v_add_u16_e32 v2, 0xe000, v2
	v_or_b32_sdwa v2, v6, v2 dst_sel:DWORD dst_unused:UNUSED_PAD src0_sel:DWORD src1_sel:BYTE_1
	v_and_or_b32 v3, v5, s21, v3
	v_add_u16_e32 v4, 0xe000, v4
	v_add_u16_sdwa v2, v2, s24 dst_sel:WORD_1 dst_unused:UNUSED_PAD src0_sel:DWORD src1_sel:DWORD
	v_lshlrev_b16_e32 v5, 8, v3
	v_or_b32_e32 v2, v4, v2
	v_and_b32_e32 v4, 0x3f00, v3
	v_add_u16_e32 v5, 0xe000, v5
	v_or_b32_sdwa v4, v4, v5 dst_sel:DWORD dst_unused:UNUSED_PAD src0_sel:DWORD src1_sel:BYTE_1
	v_and_b32_sdwa v5, v3, s23 dst_sel:DWORD dst_unused:UNUSED_PAD src0_sel:WORD_1 src1_sel:DWORD
	v_lshlrev_b16_sdwa v3, v142, v3 dst_sel:DWORD dst_unused:UNUSED_PAD src0_sel:DWORD src1_sel:WORD_1
	v_add_u16_e32 v3, 0xe000, v3
	v_or_b32_sdwa v3, v5, v3 dst_sel:DWORD dst_unused:UNUSED_PAD src0_sel:DWORD src1_sel:BYTE_1
	v_add_u16_e32 v4, 0xe000, v4
	v_add_u16_sdwa v3, v3, s24 dst_sel:WORD_1 dst_unused:UNUSED_PAD src0_sel:DWORD src1_sel:DWORD
	v_or_b32_e32 v3, v4, v3
	ds_write2_b32 v117, v2, v3 offset1:16
	s_waitcnt vmcnt(3)
	v_and_b32_e32 v2, 0xf0f0f0f, v8
	v_lshrrev_b32_e32 v4, 4, v8
	s_waitcnt vmcnt(2)
	v_ashrrev_i32_e32 v3, v105, v9
	v_lshlrev_b32_e32 v5, 4, v3
	v_and_or_b32 v5, v5, s22, v2
	v_add_co_u32_e32 v2, vcc, s14, v58
	v_and_b32_e32 v6, 0x30303030, v3
	v_addc_co_u32_e32 v3, vcc, v57, v141, vcc
	global_load_dword v11, v[2:3], off
	v_add_co_u32_e32 v2, vcc, s14, v64
	v_addc_co_u32_e32 v3, vcc, v63, v141, vcc
	v_and_b32_e32 v8, 0x3f00, v5
	v_lshlrev_b16_e32 v9, 8, v5
	global_load_dword v12, v[2:3], off
	v_and_b32_sdwa v3, v5, s23 dst_sel:DWORD dst_unused:UNUSED_PAD src0_sel:WORD_1 src1_sel:DWORD
	v_lshlrev_b16_sdwa v5, v142, v5 dst_sel:DWORD dst_unused:UNUSED_PAD src0_sel:DWORD src1_sel:WORD_1
	v_add_u16_e32 v2, 0xe000, v9
	v_add_u16_e32 v5, 0xe000, v5
	v_or_b32_sdwa v2, v8, v2 dst_sel:DWORD dst_unused:UNUSED_PAD src0_sel:DWORD src1_sel:BYTE_1
	v_or_b32_sdwa v3, v3, v5 dst_sel:DWORD dst_unused:UNUSED_PAD src0_sel:DWORD src1_sel:BYTE_1
	v_add_u16_e32 v2, 0xe000, v2
	v_add_u16_sdwa v3, v3, s24 dst_sel:WORD_1 dst_unused:UNUSED_PAD src0_sel:DWORD src1_sel:DWORD
	v_or_b32_e32 v5, v2, v3
	v_and_or_b32 v2, v4, s21, v6
	v_lshlrev_b16_e32 v4, 8, v2
	v_and_b32_e32 v3, 0x3f00, v2
	v_add_u16_e32 v4, 0xe000, v4
	v_or_b32_sdwa v3, v3, v4 dst_sel:DWORD dst_unused:UNUSED_PAD src0_sel:DWORD src1_sel:BYTE_1
	v_add_u16_e32 v4, 0xe000, v3
	v_and_b32_sdwa v3, v2, s23 dst_sel:DWORD dst_unused:UNUSED_PAD src0_sel:WORD_1 src1_sel:DWORD
	v_lshlrev_b16_sdwa v2, v142, v2 dst_sel:DWORD dst_unused:UNUSED_PAD src0_sel:DWORD src1_sel:WORD_1
	v_add_u16_e32 v2, 0xe000, v2
	v_or_b32_sdwa v2, v3, v2 dst_sel:DWORD dst_unused:UNUSED_PAD src0_sel:DWORD src1_sel:BYTE_1
	v_add_u16_sdwa v6, v2, s24 dst_sel:WORD_1 dst_unused:UNUSED_PAD src0_sel:DWORD src1_sel:DWORD
	v_add_co_u32_e32 v2, vcc, s14, v46
	v_addc_co_u32_e32 v3, vcc, v45, v141, vcc
	global_load_dword v8, v[2:3], off
	v_add_co_u32_e32 v2, vcc, s14, v52
	v_addc_co_u32_e32 v3, vcc, v51, v141, vcc
	global_load_dword v9, v[2:3], off
	v_or_b32_e32 v2, v4, v6
	s_waitcnt vmcnt(4)
	v_ashrrev_i32_e32 v3, v105, v10
	ds_write2_b32 v118, v5, v2 offset1:16
	v_and_b32_e32 v2, 0xf0f0f0f, v7
	v_lshlrev_b32_e32 v5, 4, v3
	v_and_or_b32 v2, v5, s22, v2
	v_lshlrev_b16_e32 v5, 8, v2
	v_and_b32_e32 v6, 0x30303030, v3
	v_and_b32_e32 v3, 0x3f00, v2
	v_add_u16_e32 v5, 0xe000, v5
	v_or_b32_sdwa v3, v3, v5 dst_sel:DWORD dst_unused:UNUSED_PAD src0_sel:DWORD src1_sel:BYTE_1
	v_add_u16_e32 v5, 0xe000, v3
	v_and_b32_sdwa v3, v2, s23 dst_sel:DWORD dst_unused:UNUSED_PAD src0_sel:WORD_1 src1_sel:DWORD
	v_lshlrev_b16_sdwa v2, v142, v2 dst_sel:DWORD dst_unused:UNUSED_PAD src0_sel:DWORD src1_sel:WORD_1
	v_add_u16_e32 v2, 0xe000, v2
	v_or_b32_sdwa v2, v3, v2 dst_sel:DWORD dst_unused:UNUSED_PAD src0_sel:DWORD src1_sel:BYTE_1
	v_lshrrev_b32_e32 v4, 4, v7
	v_add_u16_sdwa v7, v2, s24 dst_sel:WORD_1 dst_unused:UNUSED_PAD src0_sel:DWORD src1_sel:DWORD
	v_add_co_u32_e32 v2, vcc, s14, v40
	v_addc_co_u32_e32 v3, vcc, v39, v141, vcc
	global_load_ushort v10, v[2:3], off
	v_add_co_u32_e32 v2, vcc, s14, v34
	v_addc_co_u32_e32 v3, vcc, v33, v141, vcc
	global_load_dword v13, v[2:3], off
	v_add_co_u32_e32 v2, vcc, s14, v28
	v_addc_co_u32_e32 v3, vcc, v27, v141, vcc
	global_load_dword v2, v[2:3], off
	v_and_or_b32 v4, v4, s21, v6
	v_lshlrev_b16_e32 v6, 8, v4
	v_or_b32_e32 v3, v5, v7
	v_and_b32_e32 v5, 0x3f00, v4
	v_add_u16_e32 v6, 0xe000, v6
	v_or_b32_sdwa v5, v5, v6 dst_sel:DWORD dst_unused:UNUSED_PAD src0_sel:DWORD src1_sel:BYTE_1
	v_and_b32_sdwa v6, v4, s23 dst_sel:DWORD dst_unused:UNUSED_PAD src0_sel:WORD_1 src1_sel:DWORD
	v_lshlrev_b16_sdwa v4, v142, v4 dst_sel:DWORD dst_unused:UNUSED_PAD src0_sel:DWORD src1_sel:WORD_1
	v_add_u16_e32 v4, 0xe000, v4
	v_or_b32_sdwa v4, v6, v4 dst_sel:DWORD dst_unused:UNUSED_PAD src0_sel:DWORD src1_sel:BYTE_1
	v_add_u16_e32 v5, 0xe000, v5
	v_add_u16_sdwa v4, v4, s24 dst_sel:WORD_1 dst_unused:UNUSED_PAD src0_sel:DWORD src1_sel:DWORD
	v_or_b32_e32 v4, v5, v4
	ds_write2_b32 v119, v3, v4 offset1:16
	s_waitcnt vmcnt(6)
	v_and_b32_e32 v3, 0xf0f0f0f, v11
	v_lshrrev_b32_e32 v4, 4, v11
	s_waitcnt vmcnt(5)
	v_ashrrev_i32_e32 v5, v105, v12
	v_lshlrev_b32_e32 v6, 4, v5
	v_and_or_b32 v3, v6, s22, v3
	v_lshlrev_b16_e32 v7, 8, v3
	v_and_b32_e32 v6, 0x3f00, v3
	v_add_u16_e32 v7, 0xe000, v7
	v_or_b32_sdwa v6, v6, v7 dst_sel:DWORD dst_unused:UNUSED_PAD src0_sel:DWORD src1_sel:BYTE_1
	v_and_b32_sdwa v7, v3, s23 dst_sel:DWORD dst_unused:UNUSED_PAD src0_sel:WORD_1 src1_sel:DWORD
	v_lshlrev_b16_sdwa v3, v142, v3 dst_sel:DWORD dst_unused:UNUSED_PAD src0_sel:DWORD src1_sel:WORD_1
	v_add_u16_e32 v3, 0xe000, v3
	v_and_b32_e32 v5, 0x30303030, v5
	v_or_b32_sdwa v3, v7, v3 dst_sel:DWORD dst_unused:UNUSED_PAD src0_sel:DWORD src1_sel:BYTE_1
	v_add_u16_e32 v6, 0xe000, v6
	v_add_u16_sdwa v3, v3, s24 dst_sel:WORD_1 dst_unused:UNUSED_PAD src0_sel:DWORD src1_sel:DWORD
	v_and_or_b32 v4, v4, s21, v5
	v_or_b32_e32 v3, v6, v3
	v_lshlrev_b16_e32 v6, 8, v4
	v_and_b32_e32 v5, 0x3f00, v4
	v_add_u16_e32 v6, 0xe000, v6
	v_or_b32_sdwa v5, v5, v6 dst_sel:DWORD dst_unused:UNUSED_PAD src0_sel:DWORD src1_sel:BYTE_1
	v_and_b32_sdwa v6, v4, s23 dst_sel:DWORD dst_unused:UNUSED_PAD src0_sel:WORD_1 src1_sel:DWORD
	v_lshlrev_b16_sdwa v4, v142, v4 dst_sel:DWORD dst_unused:UNUSED_PAD src0_sel:DWORD src1_sel:WORD_1
	v_add_u16_e32 v4, 0xe000, v4
	v_or_b32_sdwa v4, v6, v4 dst_sel:DWORD dst_unused:UNUSED_PAD src0_sel:DWORD src1_sel:BYTE_1
	v_add_u16_e32 v5, 0xe000, v5
	v_add_u16_sdwa v4, v4, s24 dst_sel:WORD_1 dst_unused:UNUSED_PAD src0_sel:DWORD src1_sel:DWORD
	v_or_b32_e32 v4, v5, v4
	ds_write2_b32 v120, v3, v4 offset1:16
	s_waitcnt vmcnt(4)
	v_and_b32_e32 v3, 0xf0f0f0f, v8
	v_lshrrev_b32_e32 v4, 4, v8
	s_waitcnt vmcnt(3)
	v_ashrrev_i32_e32 v5, v105, v9
	v_lshlrev_b32_e32 v6, 4, v5
	v_and_or_b32 v3, v6, s22, v3
	v_lshlrev_b16_e32 v7, 8, v3
	v_and_b32_e32 v6, 0x3f00, v3
	v_add_u16_e32 v7, 0xe000, v7
	v_or_b32_sdwa v6, v6, v7 dst_sel:DWORD dst_unused:UNUSED_PAD src0_sel:DWORD src1_sel:BYTE_1
	v_and_b32_sdwa v7, v3, s23 dst_sel:DWORD dst_unused:UNUSED_PAD src0_sel:WORD_1 src1_sel:DWORD
	v_lshlrev_b16_sdwa v3, v142, v3 dst_sel:DWORD dst_unused:UNUSED_PAD src0_sel:DWORD src1_sel:WORD_1
	v_add_u16_e32 v3, 0xe000, v3
	v_and_b32_e32 v5, 0x30303030, v5
	v_or_b32_sdwa v3, v7, v3 dst_sel:DWORD dst_unused:UNUSED_PAD src0_sel:DWORD src1_sel:BYTE_1
	v_add_u16_e32 v6, 0xe000, v6
	v_add_u16_sdwa v3, v3, s24 dst_sel:WORD_1 dst_unused:UNUSED_PAD src0_sel:DWORD src1_sel:DWORD
	v_and_or_b32 v4, v4, s21, v5
	v_or_b32_e32 v3, v6, v3
	v_lshlrev_b16_e32 v6, 8, v4
	v_and_b32_e32 v5, 0x3f00, v4
	v_add_u16_e32 v6, 0xe000, v6
	v_or_b32_sdwa v5, v5, v6 dst_sel:DWORD dst_unused:UNUSED_PAD src0_sel:DWORD src1_sel:BYTE_1
	v_and_b32_sdwa v6, v4, s23 dst_sel:DWORD dst_unused:UNUSED_PAD src0_sel:WORD_1 src1_sel:DWORD
	v_lshlrev_b16_sdwa v4, v142, v4 dst_sel:DWORD dst_unused:UNUSED_PAD src0_sel:DWORD src1_sel:WORD_1
	v_add_u16_e32 v4, 0xe000, v4
	v_or_b32_sdwa v4, v6, v4 dst_sel:DWORD dst_unused:UNUSED_PAD src0_sel:DWORD src1_sel:BYTE_1
	s_waitcnt vmcnt(2)
	v_cvt_f32_f16_e32 v6, v10
	v_add_u16_e32 v5, 0xe000, v5
	v_add_u16_sdwa v4, v4, s24 dst_sel:WORD_1 dst_unused:UNUSED_PAD src0_sel:DWORD src1_sel:DWORD
	v_or_b32_e32 v4, v5, v4
	ds_write2_b32 v121, v3, v4 offset1:16
	ds_write_b32 v122, v6
	s_waitcnt vmcnt(1)
	ds_write_b32 v123, v13
	s_waitcnt vmcnt(0)
	ds_write_b32 v124, v2
	s_cbranch_scc0 .LBB215_5
; %bb.7:                                ;   in Loop: Header=BB215_6 Depth=1
	v_cmp_gt_i32_e32 vcc, s9, v127
	s_and_b64 s[26:27], s[2:3], vcc
	s_and_saveexec_b64 s[4:5], s[26:27]
	s_cbranch_execz .LBB215_9
; %bb.8:                                ;   in Loop: Header=BB215_6 Depth=1
	v_add_u32_e32 v2, v24, v127
	v_mad_i64_i32 v[2:3], s[26:27], v2, 36, v[22:23]
	global_load_dword v2, v[2:3], off offset:4
	s_waitcnt vmcnt(0)
	ds_write_b32 v125, v2
.LBB215_9:                              ;   in Loop: Header=BB215_6 Depth=1
	s_or_b64 exec, exec, s[4:5]
	s_and_saveexec_b64 s[4:5], s[0:1]
	s_cbranch_execz .LBB215_12
; %bb.10:                               ;   in Loop: Header=BB215_6 Depth=1
	v_cmp_gt_i32_e32 vcc, s9, v104
	s_and_b64 s[26:27], s[2:3], vcc
	s_and_b64 exec, exec, s[26:27]
	s_cbranch_execz .LBB215_12
; %bb.11:                               ;   in Loop: Header=BB215_6 Depth=1
	v_add_u32_e32 v2, v24, v104
	v_mad_i64_i32 v[2:3], s[26:27], v2, 36, s[6:7]
	global_load_dword v2, v[2:3], off
	s_waitcnt vmcnt(0)
	v_cvt_f32_f16_e32 v2, v2
	ds_write_b32 v126, v2
.LBB215_12:                             ;   in Loop: Header=BB215_6 Depth=1
	s_or_b64 exec, exec, s[4:5]
	s_waitcnt lgkmcnt(0)
	s_barrier
	ds_read_b128 v[6:9], v128
	ds_read_b128 v[10:13], v128 offset:16
	ds_read_b128 v[14:17], v128 offset:32
	;; [unrolled: 1-line block ×3, first 2 shown]
	ds_read_b32 v146, v132
	ds_read2_b32 v[96:97], v131 offset0:6 offset1:7
	ds_read2_b32 v[100:101], v131 offset0:4 offset1:5
	;; [unrolled: 1-line block ×3, first 2 shown]
	ds_read2_b32 v[148:149], v131 offset1:1
	ds_read2_b32 v[150:151], v131 offset0:14 offset1:15
	ds_read2_b32 v[152:153], v131 offset0:12 offset1:13
	ds_read_b128 v[2:5], v129 offset:36944
	ds_read2_b32 v[98:99], v130 offset1:1
	v_mov_b32_e32 v147, 0
	ds_read2_b32 v[154:155], v131 offset0:10 offset1:11
	ds_read2_b32 v[156:157], v131 offset0:8 offset1:9
	s_waitcnt lgkmcnt(4)
	v_dot4c_i32_i8_e32 v147, v152, v18
	v_dot4c_i32_i8_e32 v147, v153, v19
	;; [unrolled: 1-line block ×4, first 2 shown]
	v_mov_b32_e32 v151, 0
	v_dot4c_i32_i8_e32 v151, v100, v10
	v_dot4c_i32_i8_e32 v151, v101, v11
	;; [unrolled: 1-line block ×4, first 2 shown]
	v_mov_b32_e32 v97, 0
	v_dot4c_i32_i8_e32 v97, v148, v6
	v_dot4c_i32_i8_e32 v97, v149, v7
	s_waitcnt lgkmcnt(2)
	v_bfe_i32 v96, v98, 8, 8
	v_dot4c_i32_i8_e32 v97, v102, v8
	v_mul_lo_u32 v96, v151, v96
	v_dot4c_i32_i8_e32 v97, v103, v9
	v_bfe_i32 v100, v98, 0, 8
	v_mov_b32_e32 v150, 0
	s_waitcnt lgkmcnt(0)
	v_dot4c_i32_i8_e32 v150, v156, v14
	v_mad_u64_u32 v[96:97], s[4:5], v97, v100, v[96:97]
	v_cvt_f32_i32_e32 v96, v96
	v_dot4c_i32_i8_e32 v150, v157, v15
	v_dot4c_i32_i8_e32 v150, v154, v16
	v_dot4c_i32_i8_e32 v150, v155, v17
	v_fma_f32 v162, v2, v96, 0
	v_ashrrev_i32_e32 v96, 24, v98
	v_bfe_i32 v97, v98, 16, 8
	v_mul_lo_u32 v96, v147, v96
	v_mad_u64_u32 v[96:97], s[4:5], v150, v97, v[96:97]
	v_add_u32_e32 v100, 0x2090, v131
	v_add_u32_e32 v148, 0x2088, v131
	;; [unrolled: 1-line block ×5, first 2 shown]
	v_cvt_f32_i32_e32 v147, v96
	ds_read2_b32 v[96:97], v136 offset1:1
	ds_read_b32 v166, v135 offset:128
	ds_read2_b32 v[102:103], v134 offset1:1
	ds_read2_b32 v[100:101], v100 offset1:1
	;; [unrolled: 1-line block ×6, first 2 shown]
	v_mov_b32_e32 v163, 0
	v_add_u32_e32 v98, 0x2098, v131
	v_add_u32_e32 v156, 0x20a8, v131
	;; [unrolled: 1-line block ×3, first 2 shown]
	s_waitcnt lgkmcnt(0)
	v_dot4c_i32_i8_e32 v163, v154, v18
	v_dot4c_i32_i8_e32 v163, v155, v19
	v_add_u32_e32 v160, 0x4118, v131
	v_dot4c_i32_i8_e32 v163, v152, v20
	ds_read2_b32 v[156:157], v156 offset1:1
	ds_read2_b32 v[158:159], v158 offset1:1
	ds_read2_b32 v[160:161], v160 offset1:1
	v_dot4c_i32_i8_e32 v163, v153, v21
	ds_read2_b32 v[152:153], v98 offset1:1
	v_mov_b32_e32 v155, 0
	v_dot4c_i32_i8_e32 v155, v100, v10
	v_dot4c_i32_i8_e32 v155, v101, v11
	v_mov_b32_e32 v101, 0
	v_dot4c_i32_i8_e32 v101, v150, v6
	s_waitcnt lgkmcnt(0)
	v_dot4c_i32_i8_e32 v155, v152, v12
	v_dot4c_i32_i8_e32 v101, v151, v7
	v_mov_b32_e32 v154, 0
	v_dot4c_i32_i8_e32 v155, v153, v13
	v_bfe_i32 v100, v102, 8, 8
	v_dot4c_i32_i8_e32 v101, v148, v8
	v_dot4c_i32_i8_e32 v154, v158, v14
	v_mul_lo_u32 v100, v155, v100
	v_dot4c_i32_i8_e32 v101, v149, v9
	v_bfe_i32 v148, v102, 0, 8
	v_dot4c_i32_i8_e32 v154, v159, v15
	v_dot4c_i32_i8_e32 v154, v156, v16
	v_mad_u64_u32 v[100:101], s[4:5], v101, v148, v[100:101]
	v_cvt_f32_i32_e32 v148, v100
	v_ashrrev_i32_e32 v100, 24, v102
	v_dot4c_i32_i8_e32 v154, v157, v17
	v_bfe_i32 v101, v102, 16, 8
	v_mul_lo_u32 v100, v163, v100
	v_fmac_f32_e32 v162, v3, v147
	v_mad_u64_u32 v[100:101], s[4:5], v154, v101, v[100:101]
	v_cvt_f32_i32_e32 v100, v100
	v_fma_f32 v101, v2, v148, 0
	v_add_u32_e32 v147, 0x4108, v131
	v_add_u32_e32 v150, 0x4100, v131
	v_fmac_f32_e32 v101, v3, v100
	v_add_u32_e32 v100, 0x4110, v131
	v_add_u32_e32 v152, 0x4138, v131
	ds_read_b32 v98, v139 offset:384
	ds_read_b32 v102, v137 offset:256
	v_fmac_f32_e32 v143, v166, v101
	ds_read2_b32 v[100:101], v100 offset1:1
	ds_read2_b32 v[148:149], v147 offset1:1
	;; [unrolled: 1-line block ×4, first 2 shown]
	v_add_u32_e32 v147, 0x4130, v131
	ds_read2_b32 v[154:155], v147 offset1:1
	v_mov_b32_e32 v164, 0
	v_add_u32_e32 v156, 0x4128, v131
	v_add_u32_e32 v158, 0x4120, v131
	v_fmac_f32_e32 v140, v146, v162
	s_waitcnt lgkmcnt(0)
	v_dot4c_i32_i8_e32 v164, v154, v18
	v_dot4c_i32_i8_e32 v164, v155, v19
	;; [unrolled: 1-line block ×3, first 2 shown]
	v_mov_b32_e32 v152, 0
	v_dot4c_i32_i8_e32 v152, v100, v10
	v_dot4c_i32_i8_e32 v152, v101, v11
	v_mov_b32_e32 v101, 0
	v_dot4c_i32_i8_e32 v101, v150, v6
	v_dot4c_i32_i8_e32 v152, v160, v12
	;; [unrolled: 1-line block ×4, first 2 shown]
	v_bfe_i32 v100, v96, 8, 8
	v_dot4c_i32_i8_e32 v101, v148, v8
	v_add_u32_e32 v147, 0x6198, v131
	ds_read2_b32 v[156:157], v156 offset1:1
	ds_read2_b32 v[158:159], v158 offset1:1
	;; [unrolled: 1-line block ×3, first 2 shown]
	v_mul_lo_u32 v100, v152, v100
	v_dot4c_i32_i8_e32 v101, v149, v9
	v_bfe_i32 v148, v96, 0, 8
	v_mov_b32_e32 v147, 0
	s_waitcnt lgkmcnt(1)
	v_dot4c_i32_i8_e32 v147, v158, v14
	v_mad_u64_u32 v[100:101], s[4:5], v101, v148, v[100:101]
	v_cvt_f32_i32_e32 v100, v100
	v_dot4c_i32_i8_e32 v147, v159, v15
	v_dot4c_i32_i8_e32 v164, v153, v21
	;; [unrolled: 1-line block ×3, first 2 shown]
	v_fma_f32 v167, v2, v100, 0
	v_bfe_i32 v100, v96, 16, 8
	v_ashrrev_i32_e32 v96, 24, v96
	v_dot4c_i32_i8_e32 v147, v157, v17
	v_mul_lo_u32 v96, v164, v96
	v_add_u32_e32 v150, 0x6188, v131
	v_add_u32_e32 v152, 0x6180, v131
	v_mad_u64_u32 v[100:101], s[4:5], v147, v100, v[96:97]
	v_add_u32_e32 v147, 0x6190, v131
	v_add_u32_e32 v154, 0x61b8, v131
	v_cvt_f32_i32_e32 v96, v100
	ds_read2_b32 v[100:101], v138 offset1:1
	ds_read2_b32 v[148:149], v147 offset1:1
	ds_read2_b32 v[150:151], v150 offset1:1
	ds_read2_b32 v[152:153], v152 offset1:1
	ds_read2_b32 v[154:155], v154 offset1:1
	v_add_u32_e32 v147, 0x61b0, v131
	ds_read2_b32 v[156:157], v147 offset1:1
	v_add_u32_e32 v158, 0x61a8, v131
	v_add_u32_e32 v160, 0x61a0, v131
	;; [unrolled: 1-line block ×3, first 2 shown]
	ds_read2_b32 v[158:159], v158 offset1:1
	ds_read2_b32 v[160:161], v160 offset1:1
	;; [unrolled: 1-line block ×3, first 2 shown]
	v_mov_b32_e32 v168, 0
	s_waitcnt lgkmcnt(3)
	v_dot4c_i32_i8_e32 v168, v156, v18
	v_mov_b32_e32 v18, 0
	s_waitcnt lgkmcnt(1)
	v_dot4c_i32_i8_e32 v18, v160, v14
	v_mov_b32_e32 v14, 0
	v_dot4c_i32_i8_e32 v14, v148, v10
	v_dot4c_i32_i8_e32 v14, v149, v11
	v_mov_b32_e32 v11, 0
	v_dot4c_i32_i8_e32 v11, v152, v6
	v_dot4c_i32_i8_e32 v14, v162, v12
	;; [unrolled: 1-line block ×4, first 2 shown]
	v_bfe_i32 v10, v100, 8, 8
	v_dot4c_i32_i8_e32 v11, v150, v8
	v_dot4c_i32_i8_e32 v168, v157, v19
	v_mul_lo_u32 v10, v14, v10
	v_dot4c_i32_i8_e32 v11, v151, v9
	v_bfe_i32 v6, v100, 0, 8
	v_dot4c_i32_i8_e32 v168, v154, v20
	v_dot4c_i32_i8_e32 v18, v161, v15
	v_mad_u64_u32 v[6:7], s[4:5], v11, v6, v[10:11]
	v_dot4c_i32_i8_e32 v168, v155, v21
	v_dot4c_i32_i8_e32 v18, v158, v16
	v_cvt_f32_i32_e32 v8, v6
	v_ashrrev_i32_e32 v6, 24, v100
	v_dot4c_i32_i8_e32 v18, v159, v17
	v_bfe_i32 v7, v100, 16, 8
	v_mul_lo_u32 v6, v168, v6
	v_fma_f32 v2, v2, v8, 0
	v_mad_u64_u32 v[6:7], s[4:5], v18, v7, v[6:7]
	v_cvt_f32_i32_e32 v6, v6
	v_fmac_f32_e32 v167, v3, v96
	v_mov_b32_e32 v96, 0
	v_bfe_i32 v147, v99, 0, 8
	v_fmac_f32_e32 v2, v3, v6
	v_fmac_f32_e32 v145, v98, v2
	ds_read_b128 v[10:13], v128 offset:80
	ds_read_b128 v[6:9], v128 offset:64
	;; [unrolled: 1-line block ×4, first 2 shown]
	ds_read2_b32 v[2:3], v131 offset0:30 offset1:31
	ds_read2_b32 v[148:149], v131 offset0:28 offset1:29
	;; [unrolled: 1-line block ×6, first 2 shown]
	s_waitcnt lgkmcnt(4)
	v_dot4c_i32_i8_e32 v96, v148, v18
	v_dot4c_i32_i8_e32 v96, v149, v19
	;; [unrolled: 1-line block ×3, first 2 shown]
	v_mov_b32_e32 v2, 0
	s_waitcnt lgkmcnt(2)
	v_dot4c_i32_i8_e32 v2, v152, v10
	v_dot4c_i32_i8_e32 v2, v153, v11
	;; [unrolled: 1-line block ×5, first 2 shown]
	v_bfe_i32 v3, v99, 8, 8
	ds_read2_b32 v[158:159], v131 offset0:26 offset1:27
	ds_read2_b32 v[160:161], v131 offset0:24 offset1:25
	v_mul_lo_u32 v2, v2, v3
	v_mov_b32_e32 v3, 0
	s_waitcnt lgkmcnt(2)
	v_dot4c_i32_i8_e32 v3, v156, v6
	v_dot4c_i32_i8_e32 v3, v157, v7
	v_dot4c_i32_i8_e32 v3, v154, v8
	v_dot4c_i32_i8_e32 v3, v155, v9
	v_mov_b32_e32 v100, 0
	s_waitcnt lgkmcnt(0)
	v_dot4c_i32_i8_e32 v100, v160, v14
	v_dot4c_i32_i8_e32 v100, v161, v15
	v_mad_u64_u32 v[2:3], s[4:5], v3, v147, v[2:3]
	v_cvt_f32_i32_e32 v2, v2
	v_dot4c_i32_i8_e32 v100, v158, v16
	v_dot4c_i32_i8_e32 v100, v159, v17
	v_bfe_i32 v3, v99, 16, 8
	v_fma_f32 v147, v4, v2, 0
	v_ashrrev_i32_e32 v2, 24, v99
	v_mul_lo_u32 v2, v96, v2
	v_mad_u64_u32 v[2:3], s[4:5], v100, v3, v[2:3]
	v_cvt_f32_i32_e32 v96, v2
	v_add_u32_e32 v2, 0x20d0, v131
	v_add_u32_e32 v99, 0x20c8, v131
	;; [unrolled: 1-line block ×4, first 2 shown]
	ds_read2_b32 v[2:3], v2 offset1:1
	ds_read2_b32 v[148:149], v99 offset1:1
	;; [unrolled: 1-line block ×4, first 2 shown]
	v_add_u32_e32 v99, 0x20f0, v131
	ds_read2_b32 v[154:155], v99 offset1:1
	v_mov_b32_e32 v100, 0
	v_add_u32_e32 v156, 0x20e8, v131
	v_add_u32_e32 v158, 0x20e0, v131
	;; [unrolled: 1-line block ×3, first 2 shown]
	s_waitcnt lgkmcnt(0)
	v_dot4c_i32_i8_e32 v100, v154, v18
	v_dot4c_i32_i8_e32 v100, v155, v19
	v_dot4c_i32_i8_e32 v100, v152, v20
	v_mov_b32_e32 v152, 0
	v_dot4c_i32_i8_e32 v152, v2, v10
	ds_read2_b32 v[156:157], v156 offset1:1
	ds_read2_b32 v[158:159], v158 offset1:1
	;; [unrolled: 1-line block ×3, first 2 shown]
	v_dot4c_i32_i8_e32 v152, v3, v11
	v_mov_b32_e32 v3, 0
	v_dot4c_i32_i8_e32 v3, v150, v6
	v_dot4c_i32_i8_e32 v152, v164, v12
	;; [unrolled: 1-line block ×3, first 2 shown]
	v_mov_b32_e32 v99, 0
	v_dot4c_i32_i8_e32 v152, v165, v13
	v_bfe_i32 v2, v103, 8, 8
	v_dot4c_i32_i8_e32 v3, v148, v8
	s_waitcnt lgkmcnt(1)
	v_dot4c_i32_i8_e32 v99, v158, v14
	v_mul_lo_u32 v2, v152, v2
	v_dot4c_i32_i8_e32 v3, v149, v9
	v_bfe_i32 v148, v103, 0, 8
	v_dot4c_i32_i8_e32 v99, v159, v15
	v_dot4c_i32_i8_e32 v100, v153, v21
	v_mad_u64_u32 v[2:3], s[4:5], v3, v148, v[2:3]
	v_dot4c_i32_i8_e32 v99, v156, v16
	v_cvt_f32_i32_e32 v148, v2
	v_ashrrev_i32_e32 v2, 24, v103
	v_dot4c_i32_i8_e32 v99, v157, v17
	v_bfe_i32 v3, v103, 16, 8
	v_mul_lo_u32 v2, v100, v2
	v_fmac_f32_e32 v147, v5, v96
	v_mad_u64_u32 v[2:3], s[4:5], v99, v3, v[2:3]
	v_cvt_f32_i32_e32 v2, v2
	v_fma_f32 v3, v4, v148, 0
	v_add_u32_e32 v96, 0x4148, v131
	v_add_u32_e32 v100, 0x4178, v131
	v_fmac_f32_e32 v3, v5, v2
	v_add_u32_e32 v2, 0x4150, v131
	v_fmac_f32_e32 v140, v146, v147
	v_fmac_f32_e32 v143, v166, v3
	v_add_u32_e32 v99, 0x4140, v131
	ds_read2_b32 v[2:3], v2 offset1:1
	ds_read2_b32 v[146:147], v96 offset1:1
	;; [unrolled: 1-line block ×4, first 2 shown]
	v_add_u32_e32 v96, 0x4170, v131
	v_add_u32_e32 v100, 0x4168, v131
	;; [unrolled: 1-line block ×3, first 2 shown]
	ds_read2_b32 v[152:153], v96 offset1:1
	v_add_u32_e32 v96, 0x61d8, v131
	ds_read2_b32 v[154:155], v100 offset1:1
	ds_read2_b32 v[156:157], v103 offset1:1
	;; [unrolled: 1-line block ×3, first 2 shown]
	v_mov_b32_e32 v100, 0
	s_waitcnt lgkmcnt(7)
	v_dot4c_i32_i8_e32 v100, v2, v10
	v_dot4c_i32_i8_e32 v100, v3, v11
	v_mov_b32_e32 v3, 0
	s_waitcnt lgkmcnt(5)
	v_dot4c_i32_i8_e32 v3, v148, v6
	v_dot4c_i32_i8_e32 v100, v160, v12
	;; [unrolled: 1-line block ×4, first 2 shown]
	v_bfe_i32 v2, v97, 8, 8
	v_dot4c_i32_i8_e32 v3, v146, v8
	v_dot4c_i32_i8_e32 v3, v147, v9
	v_mul_lo_u32 v2, v100, v2
	v_bfe_i32 v100, v97, 0, 8
	v_mov_b32_e32 v99, 0
	v_mad_u64_u32 v[2:3], s[4:5], v3, v100, v[2:3]
	v_cvt_f32_i32_e32 v2, v2
	s_waitcnt lgkmcnt(3)
	v_dot4c_i32_i8_e32 v99, v152, v18
	v_mov_b32_e32 v96, 0
	v_dot4c_i32_i8_e32 v99, v153, v19
	s_waitcnt lgkmcnt(1)
	v_dot4c_i32_i8_e32 v96, v156, v14
	v_dot4c_i32_i8_e32 v99, v150, v20
	;; [unrolled: 1-line block ×5, first 2 shown]
	v_fma_f32 v100, v4, v2, 0
	v_ashrrev_i32_e32 v2, 24, v97
	v_dot4c_i32_i8_e32 v96, v155, v17
	v_bfe_i32 v3, v97, 16, 8
	v_mul_lo_u32 v2, v99, v2
	v_add_u32_e32 v103, 0x61c0, v131
	v_mad_u64_u32 v[2:3], s[4:5], v96, v3, v[2:3]
	v_cvt_f32_i32_e32 v99, v2
	v_add_u32_e32 v2, 0x61d0, v131
	v_add_u32_e32 v96, 0x61c8, v131
	;; [unrolled: 1-line block ×3, first 2 shown]
	ds_read2_b32 v[2:3], v2 offset1:1
	ds_read2_b32 v[96:97], v96 offset1:1
	;; [unrolled: 1-line block ×4, first 2 shown]
	v_add_u32_e32 v103, 0x61f0, v131
	ds_read2_b32 v[150:151], v103 offset1:1
	v_add_u32_e32 v103, 0x61e8, v131
	v_add_u32_e32 v154, 0x61e0, v131
	ds_read2_b32 v[152:153], v103 offset1:1
	ds_read2_b32 v[154:155], v154 offset1:1
	v_mov_b32_e32 v156, 0
	s_waitcnt lgkmcnt(2)
	v_dot4c_i32_i8_e32 v156, v150, v18
	v_mov_b32_e32 v18, 0
	v_dot4c_i32_i8_e32 v156, v151, v19
	s_waitcnt lgkmcnt(0)
	v_dot4c_i32_i8_e32 v18, v154, v14
	v_mov_b32_e32 v14, 0
	v_dot4c_i32_i8_e32 v14, v2, v10
	v_dot4c_i32_i8_e32 v14, v3, v11
	v_mov_b32_e32 v3, 0
	v_dot4c_i32_i8_e32 v3, v146, v6
	v_dot4c_i32_i8_e32 v14, v158, v12
	;; [unrolled: 1-line block ×4, first 2 shown]
	v_bfe_i32 v2, v101, 8, 8
	v_dot4c_i32_i8_e32 v3, v96, v8
	v_dot4c_i32_i8_e32 v3, v97, v9
	v_mul_lo_u32 v2, v14, v2
	v_bfe_i32 v6, v101, 0, 8
	v_dot4c_i32_i8_e32 v156, v148, v20
	v_dot4c_i32_i8_e32 v18, v155, v15
	v_mad_u64_u32 v[2:3], s[4:5], v3, v6, v[2:3]
	v_dot4c_i32_i8_e32 v156, v149, v21
	v_dot4c_i32_i8_e32 v18, v152, v16
	v_cvt_f32_i32_e32 v6, v2
	v_ashrrev_i32_e32 v2, 24, v101
	v_dot4c_i32_i8_e32 v18, v153, v17
	v_bfe_i32 v3, v101, 16, 8
	v_mul_lo_u32 v2, v156, v2
	v_fmac_f32_e32 v144, v102, v167
	v_mad_u64_u32 v[2:3], s[4:5], v18, v3, v[2:3]
	v_cvt_f32_i32_e32 v2, v2
	v_fma_f32 v3, v4, v6, 0
	v_fmac_f32_e32 v100, v5, v99
	v_fmac_f32_e32 v144, v102, v100
	;; [unrolled: 1-line block ×4, first 2 shown]
	s_cmp_ge_i32 s20, s15
	s_barrier
	s_cbranch_scc1 .LBB215_5
; %bb.13:                               ;   in Loop: Header=BB215_6 Depth=1
	v_cmp_gt_i32_e32 vcc, s9, v133
	s_and_b64 s[26:27], s[2:3], vcc
	s_and_saveexec_b64 s[4:5], s[26:27]
	s_cbranch_execz .LBB215_15
; %bb.14:                               ;   in Loop: Header=BB215_6 Depth=1
	v_add_u32_e32 v2, v24, v133
	v_mad_i64_i32 v[2:3], s[26:27], v2, 36, v[22:23]
	global_load_dword v2, v[2:3], off offset:4
	s_waitcnt vmcnt(0)
	ds_write_b32 v125, v2
.LBB215_15:                             ;   in Loop: Header=BB215_6 Depth=1
	s_or_b64 exec, exec, s[4:5]
	s_and_saveexec_b64 s[4:5], s[0:1]
	s_cbranch_execz .LBB215_4
; %bb.16:                               ;   in Loop: Header=BB215_6 Depth=1
	v_add_u32_e32 v2, 4, v104
	v_cmp_gt_i32_e32 vcc, s9, v2
	s_and_b64 s[26:27], s[2:3], vcc
	s_and_b64 exec, exec, s[26:27]
	s_cbranch_execz .LBB215_4
; %bb.17:                               ;   in Loop: Header=BB215_6 Depth=1
	v_ashrrev_i32_e32 v2, 31, v104
	v_add_co_u32_e32 v3, vcc, v24, v104
	v_addc_co_u32_e32 v4, vcc, v1, v2, vcc
	v_mad_u64_u32 v[2:3], s[26:27], v3, 36, s[16:17]
	v_mad_i32_i24 v3, v4, 36, v3
	global_load_dword v2, v[2:3], off
	s_waitcnt vmcnt(0)
	v_cvt_f32_f16_e32 v2, v2
	ds_write_b32 v126, v2
	s_branch .LBB215_4
.LBB215_18:
	v_mov_b32_e32 v1, 0
	v_mov_b32_e32 v2, 0
	;; [unrolled: 1-line block ×3, first 2 shown]
	s_mul_i32 s0, s11, s8
	s_waitcnt vmcnt(0)
	v_cmp_gt_i32_e32 vcc, s0, v95
	s_and_saveexec_b64 s[0:1], vcc
	s_cbranch_execnz .LBB215_21
.LBB215_19:
	s_endpgm
.LBB215_20:
	v_cvt_f16_f32_e32 v5, v140
	v_cvt_f16_f32_e32 v2, v143
	;; [unrolled: 1-line block ×4, first 2 shown]
	s_mul_i32 s0, s11, s8
	v_cmp_gt_i32_e32 vcc, s0, v95
	s_and_saveexec_b64 s[0:1], vcc
	s_cbranch_execz .LBB215_19
.LBB215_21:
	v_and_b32_e32 v0, 0x3ff, v0
	v_add_u32_e32 v4, s18, v0
	v_mul_lo_u32 v0, v95, s10
	v_cmp_gt_u32_e32 vcc, s10, v4
	s_and_saveexec_b64 s[0:1], vcc
	s_cbranch_execz .LBB215_23
; %bb.22:
	v_add_u32_e32 v6, v0, v4
	v_mov_b32_e32 v7, 0
	v_lshlrev_b64 v[6:7], 1, v[6:7]
	v_mov_b32_e32 v8, s13
	v_add_co_u32_e32 v6, vcc, s12, v6
	v_addc_co_u32_e32 v7, vcc, v8, v7, vcc
	global_store_short v[6:7], v5, off
.LBB215_23:
	s_or_b64 exec, exec, s[0:1]
	v_add_u32_e32 v5, 32, v4
	v_cmp_gt_u32_e32 vcc, s10, v5
	s_and_saveexec_b64 s[0:1], vcc
	s_cbranch_execz .LBB215_25
; %bb.24:
	v_add_u32_e32 v6, v0, v5
	v_mov_b32_e32 v7, 0
	v_lshlrev_b64 v[6:7], 1, v[6:7]
	v_mov_b32_e32 v5, s13
	v_add_co_u32_e32 v6, vcc, s12, v6
	v_addc_co_u32_e32 v7, vcc, v5, v7, vcc
	global_store_short v[6:7], v2, off
.LBB215_25:
	s_or_b64 exec, exec, s[0:1]
	v_add_u32_e32 v2, 64, v4
	;; [unrolled: 14-line block ×3, first 2 shown]
	v_cmp_gt_u32_e32 vcc, s10, v1
	s_and_b64 exec, exec, vcc
	s_cbranch_execz .LBB215_19
; %bb.28:
	v_add_u32_e32 v0, v0, v1
	v_mov_b32_e32 v1, 0
	v_lshlrev_b64 v[0:1], 1, v[0:1]
	v_mov_b32_e32 v2, s13
	v_add_co_u32_e32 v0, vcc, s12, v0
	v_addc_co_u32_e32 v1, vcc, v2, v1, vcc
	global_store_short v[0:1], v3, off
	s_endpgm
	.section	.rodata,"a",@progbits
	.p2align	6, 0x0
	.amdhsa_kernel _ZL8moe_q6_KIN3c104HalfELb0EEvPKvS3_PT_PKiS7_S7_iiiiiii
		.amdhsa_group_segment_fixed_size 37072
		.amdhsa_private_segment_fixed_size 0
		.amdhsa_kernarg_size 76
		.amdhsa_user_sgpr_count 6
		.amdhsa_user_sgpr_private_segment_buffer 1
		.amdhsa_user_sgpr_dispatch_ptr 0
		.amdhsa_user_sgpr_queue_ptr 0
		.amdhsa_user_sgpr_kernarg_segment_ptr 1
		.amdhsa_user_sgpr_dispatch_id 0
		.amdhsa_user_sgpr_flat_scratch_init 0
		.amdhsa_user_sgpr_kernarg_preload_length 0
		.amdhsa_user_sgpr_kernarg_preload_offset 0
		.amdhsa_user_sgpr_private_segment_size 0
		.amdhsa_uses_dynamic_stack 0
		.amdhsa_system_sgpr_private_segment_wavefront_offset 0
		.amdhsa_system_sgpr_workgroup_id_x 1
		.amdhsa_system_sgpr_workgroup_id_y 1
		.amdhsa_system_sgpr_workgroup_id_z 0
		.amdhsa_system_sgpr_workgroup_info 0
		.amdhsa_system_vgpr_workitem_id 1
		.amdhsa_next_free_vgpr 169
		.amdhsa_next_free_sgpr 30
		.amdhsa_accum_offset 172
		.amdhsa_reserve_vcc 1
		.amdhsa_reserve_flat_scratch 0
		.amdhsa_float_round_mode_32 0
		.amdhsa_float_round_mode_16_64 0
		.amdhsa_float_denorm_mode_32 3
		.amdhsa_float_denorm_mode_16_64 3
		.amdhsa_dx10_clamp 1
		.amdhsa_ieee_mode 1
		.amdhsa_fp16_overflow 0
		.amdhsa_tg_split 0
		.amdhsa_exception_fp_ieee_invalid_op 0
		.amdhsa_exception_fp_denorm_src 0
		.amdhsa_exception_fp_ieee_div_zero 0
		.amdhsa_exception_fp_ieee_overflow 0
		.amdhsa_exception_fp_ieee_underflow 0
		.amdhsa_exception_fp_ieee_inexact 0
		.amdhsa_exception_int_div_zero 0
	.end_amdhsa_kernel
	.section	.text._ZL8moe_q6_KIN3c104HalfELb0EEvPKvS3_PT_PKiS7_S7_iiiiiii,"axG",@progbits,_ZL8moe_q6_KIN3c104HalfELb0EEvPKvS3_PT_PKiS7_S7_iiiiiii,comdat
.Lfunc_end215:
	.size	_ZL8moe_q6_KIN3c104HalfELb0EEvPKvS3_PT_PKiS7_S7_iiiiiii, .Lfunc_end215-_ZL8moe_q6_KIN3c104HalfELb0EEvPKvS3_PT_PKiS7_S7_iiiiiii
                                        ; -- End function
	.section	.AMDGPU.csdata,"",@progbits
; Kernel info:
; codeLenInByte = 12196
; NumSgprs: 34
; NumVgprs: 169
; NumAgprs: 0
; TotalNumVgprs: 169
; ScratchSize: 0
; MemoryBound: 0
; FloatMode: 240
; IeeeMode: 1
; LDSByteSize: 37072 bytes/workgroup (compile time only)
; SGPRBlocks: 4
; VGPRBlocks: 21
; NumSGPRsForWavesPerEU: 34
; NumVGPRsForWavesPerEU: 169
; AccumOffset: 172
; Occupancy: 1
; WaveLimiterHint : 1
; COMPUTE_PGM_RSRC2:SCRATCH_EN: 0
; COMPUTE_PGM_RSRC2:USER_SGPR: 6
; COMPUTE_PGM_RSRC2:TRAP_HANDLER: 0
; COMPUTE_PGM_RSRC2:TGID_X_EN: 1
; COMPUTE_PGM_RSRC2:TGID_Y_EN: 1
; COMPUTE_PGM_RSRC2:TGID_Z_EN: 0
; COMPUTE_PGM_RSRC2:TIDIG_COMP_CNT: 1
; COMPUTE_PGM_RSRC3_GFX90A:ACCUM_OFFSET: 42
; COMPUTE_PGM_RSRC3_GFX90A:TG_SPLIT: 0
	.section	.text._ZL8moe_q6_KIN3c104HalfELb1EEvPKvS3_PT_PKiS7_S7_iiiiiii,"axG",@progbits,_ZL8moe_q6_KIN3c104HalfELb1EEvPKvS3_PT_PKiS7_S7_iiiiiii,comdat
	.globl	_ZL8moe_q6_KIN3c104HalfELb1EEvPKvS3_PT_PKiS7_S7_iiiiiii ; -- Begin function _ZL8moe_q6_KIN3c104HalfELb1EEvPKvS3_PT_PKiS7_S7_iiiiiii
	.p2align	8
	.type	_ZL8moe_q6_KIN3c104HalfELb1EEvPKvS3_PT_PKiS7_S7_iiiiiii,@function
_ZL8moe_q6_KIN3c104HalfELb1EEvPKvS3_PT_PKiS7_S7_iiiiiii: ; @_ZL8moe_q6_KIN3c104HalfELb1EEvPKvS3_PT_PKiS7_S7_iiiiiii
; %bb.0:
	s_load_dwordx4 s[0:3], s[4:5], 0x18
	s_mov_b32 s8, s7
	s_mov_b32 s9, 0
	s_lshl_b64 s[10:11], s[8:9], 2
	s_waitcnt lgkmcnt(0)
	s_add_u32 s2, s2, s10
	s_addc_u32 s3, s3, s11
	s_load_dword s2, s[2:3], 0x0
	s_waitcnt lgkmcnt(0)
	s_cmpk_gt_u32 s2, 0xff
	s_cbranch_scc1 .LBB216_19
; %bb.1:
	s_load_dwordx2 s[10:11], s[4:5], 0x28
	s_lshl_b32 s3, s8, 3
	s_waitcnt lgkmcnt(0)
	s_load_dword s7, s[10:11], 0x0
	s_waitcnt lgkmcnt(0)
	s_cmp_gt_u32 s3, s7
	s_cbranch_scc1 .LBB216_19
; %bb.2:
	v_bfe_u32 v1, v0, 10, 10
	v_add_u32_e32 v2, s3, v1
	v_mov_b32_e32 v3, 0
	v_lshlrev_b64 v[4:5], 2, v[2:3]
	v_mov_b32_e32 v2, s1
	v_add_co_u32_e32 v4, vcc, s0, v4
	v_addc_co_u32_e32 v5, vcc, v2, v5, vcc
	global_load_dword v95, v[4:5], off
	s_load_dwordx8 s[8:15], s[4:5], 0x30
	s_load_dwordx2 s[16:17], s[4:5], 0x10
	s_waitcnt lgkmcnt(0)
	s_lshl_b32 s15, s6, 7
	s_cmpk_lt_i32 s9, 0x100
	s_cbranch_scc1 .LBB216_18
; %bb.3:
	v_and_b32_e32 v97, 0x3ff, v0
	s_ashr_i32 s0, s9, 31
	v_and_b32_e32 v3, 31, v97
	s_lshr_b32 s0, s0, 24
	v_add_u16_e32 v2, -16, v3
	v_cmp_gt_u32_e32 vcc, 16, v3
	s_add_i32 s0, s9, s0
	v_cndmask_b32_e32 v2, v2, v3, vcc
	s_ashr_i32 s20, s0, 8
	s_ashr_i32 s0, s12, 31
	v_cmp_lt_u16_e32 vcc, 7, v2
	s_lshr_b32 s0, s0, 27
	v_cndmask_b32_e64 v2, 0, 1, vcc
	v_cmp_lt_u32_e32 vcc, 15, v3
	s_add_i32 s0, s12, s0
	v_lshlrev_b32_e32 v99, 1, v2
	v_cndmask_b32_e64 v2, 0, 1, vcc
	s_ashr_i32 s12, s0, 5
	s_not_b32 s0, s15
	v_lshlrev_b32_e32 v9, 5, v2
	s_mul_i32 s8, s2, s8
	s_add_i32 s2, s0, s10
	v_and_or_b32 v2, v97, 15, v9
	v_min_i32_e32 v6, s2, v1
	v_lshlrev_b32_e32 v2, 2, v2
	s_movk_i32 s3, 0x104
	v_mul_lo_u32 v7, v6, s20
	v_mad_u64_u32 v[22:23], s[0:1], v6, s3, v[2:3]
	v_add_u32_e32 v6, 8, v1
	v_min_i32_e32 v6, s2, v6
	v_mul_lo_u32 v10, v6, s20
	v_mad_u64_u32 v[24:25], s[0:1], v6, s3, v[2:3]
	v_add_u32_e32 v6, 16, v1
	v_min_i32_e32 v6, s2, v6
	;; [unrolled: 4-line block ×15, first 2 shown]
	v_mad_u64_u32 v[52:53], s[0:1], v6, s3, v[2:3]
	v_lshlrev_b32_e32 v2, 5, v1
	v_mul_lo_u32 v43, v6, s20
	v_add_u32_e32 v6, v2, v97
	v_and_b32_e32 v23, 0x7f, v6
	v_min_i32_e32 v23, s2, v23
	v_ashrrev_i32_e32 v25, 31, v23
	v_lshrrev_b32_e32 v25, 27, v25
	v_add_u32_e32 v25, v23, v25
	v_ashrrev_i32_e32 v25, 5, v25
	v_mul_lo_u32 v37, v23, s20
	v_lshlrev_b32_e32 v25, 2, v25
	v_lshlrev_b32_e32 v23, 2, v23
	s_mov_b32 s3, 0x8e40
	v_add3_u32 v101, v25, v23, s3
	v_lshrrev_b32_e32 v23, 2, v97
	v_lshl_add_u32 v23, v1, 3, v23
	v_and_b32_e32 v25, 3, v97
	v_and_b32_e32 v23, 0x7f, v23
	v_lshlrev_b32_e32 v31, 2, v25
	v_min_i32_e32 v25, s2, v23
	v_ashrrev_i32_e32 v27, 31, v25
	v_lshrrev_b32_e32 v27, 29, v27
	v_add_u32_e32 v27, v25, v27
	s_load_dwordx4 s[4:7], s[4:5], 0x0
	v_ashrrev_i32_e32 v27, 3, v27
	v_xor_b32_e32 v23, 64, v23
	v_lshlrev_b32_e32 v27, 2, v27
	s_mov_b32 s10, 0x8200
	v_min_i32_e32 v23, s2, v23
	v_add3_u32 v128, v27, v31, s10
	v_ashrrev_i32_e32 v27, 31, v23
	v_lshlrev_b32_e32 v4, 2, v3
	v_lshrrev_b32_e32 v27, 29, v27
	v_or_b32_e32 v2, v2, v3
	v_lshlrev_b32_e32 v3, 2, v97
	v_mul_lo_u32 v33, v25, s20
	v_lshlrev_b32_e32 v129, 4, v25
	v_mul_lo_u32 v25, v23, s20
	v_add_u32_e32 v27, v23, v27
	v_lshlrev_b32_e32 v131, 4, v23
	v_and_b32_e32 v23, 28, v3
	s_waitcnt lgkmcnt(0)
	v_add_co_u32_e32 v54, vcc, s6, v23
	v_mov_b32_e32 v23, 0x8a40
	s_movk_i32 s2, 0xffe4
	v_lshl_add_u32 v103, v2, 2, v23
	v_mad_i32_i24 v2, v1, s2, v6
	v_mov_b32_e32 v6, 0x9050
	v_lshrrev_b32_e32 v107, 3, v97
	v_lshrrev_b32_e32 v5, 5, v97
	v_lshl_add_u32 v105, v2, 2, v6
	v_lshl_add_u32 v109, v1, 7, v23
	v_lshlrev_b32_e32 v111, 4, v1
	v_lshlrev_b32_e32 v1, 2, v107
	;; [unrolled: 1-line block ×3, first 2 shown]
	v_add3_u32 v113, v2, v1, s10
	v_lshlrev_b32_e32 v1, 2, v5
	v_add3_u32 v117, v1, v3, s3
	v_add_u32_e32 v1, 32, v97
	v_lshrrev_b32_e32 v119, 3, v1
	v_lshlrev_b32_e32 v2, 2, v119
	v_lshlrev_b32_e32 v1, 4, v1
	v_add3_u32 v121, v2, v1, s10
	v_and_b32_e32 v1, 60, v119
	v_add3_u32 v123, v3, v1, s3
	v_add_u32_e32 v1, 64, v97
	v_lshrrev_b32_e32 v2, 3, v1
	v_lshlrev_b32_e32 v6, 2, v2
	v_lshlrev_b32_e32 v1, 4, v1
	s_abs_i32 s2, s14
	v_add3_u32 v125, v6, v1, s10
	v_and_b32_e32 v1, 60, v2
	v_cvt_f32_u32_e32 v23, s2
	v_add3_u32 v127, v3, v1, s3
	v_add_u32_e32 v1, 0x60, v97
	v_lshrrev_b32_e32 v2, 3, v1
	v_lshlrev_b32_e32 v6, 2, v2
	v_lshlrev_b32_e32 v1, 4, v1
	v_add3_u32 v136, v6, v1, s10
	v_and_b32_e32 v1, 60, v2
	v_rcp_iflag_f32_e32 v2, v23
	v_add3_u32 v137, v3, v1, s3
	s_sub_i32 s3, 0, s2
	s_waitcnt vmcnt(0)
	v_sub_u32_e32 v3, 0, v95
	v_mul_f32_e32 v2, 0x4f7ffffe, v2
	v_cvt_u32_f32_e32 v2, v2
	v_ashrrev_i32_e32 v27, 3, v27
	v_max_i32_e32 v3, v95, v3
	v_lshlrev_b32_e32 v27, 2, v27
	v_mul_lo_u32 v6, s3, v2
	v_mul_hi_u32 v6, v2, v6
	v_add_u32_e32 v2, v2, v6
	v_mul_hi_u32 v2, v3, v2
	v_add3_u32 v130, v27, v31, s10
	v_mov_b32_e32 v27, s7
	v_mul_lo_u32 v6, v2, s2
	v_addc_co_u32_e32 v55, vcc, 0, v27, vcc
	v_sub_u32_e32 v3, v3, v6
	v_add_u32_e32 v6, 1, v2
	v_cmp_le_u32_e32 vcc, s2, v3
	v_cndmask_b32_e32 v2, v2, v6, vcc
	v_subrev_u32_e32 v6, s2, v3
	v_cndmask_b32_e32 v3, v3, v6, vcc
	v_xor_b32_e32 v1, s14, v95
	v_add_u32_e32 v6, 1, v2
	v_cmp_le_u32_e32 vcc, s2, v3
	s_mul_i32 s23, s20, s15
	v_ashrrev_i32_e32 v1, 31, v1
	v_cndmask_b32_e32 v2, v2, v6, vcc
	v_xor_b32_e32 v2, v2, v1
	s_mul_hi_i32 s25, s23, 0xd2
	s_mul_i32 s24, s23, 0xd2
	v_sub_u32_e32 v1, v2, v1
	s_movk_i32 s22, 0xd2
	v_pk_mov_b32 v[2:3], s[24:25], s[24:25] op_sel:[0,1]
	v_and_b32_e32 v8, 7, v97
	v_mad_u64_u32 v[2:3], s[26:27], v5, s22, v[2:3]
	v_mad_i64_i32 v[6:7], s[26:27], v7, s22, v[2:3]
	v_lshl_or_b32 v5, v8, 2, v9
	v_add_co_u32_e32 v8, vcc, v6, v5
	v_addc_co_u32_e32 v9, vcc, 0, v7, vcc
	v_mov_b32_e32 v93, s5
	v_add_co_u32_e32 v8, vcc, s4, v8
	v_addc_co_u32_e32 v9, vcc, v9, v93, vcc
	s_movk_i32 s10, 0x80
	v_add_co_u32_e32 v58, vcc, s10, v8
	v_addc_co_u32_e32 v23, vcc, 0, v9, vcc
	v_mad_i64_i32 v[8:9], s[26:27], v25, s22, 0
	v_mov_b32_e32 v35, 0xd2
	v_mad_i64_i32 v[8:9], s[26:27], s23, v35, v[8:9]
	v_add_co_u32_e32 v8, vcc, v8, v31
	v_addc_co_u32_e32 v9, vcc, 0, v9, vcc
	v_add_co_u32_e32 v8, vcc, s4, v8
	v_addc_co_u32_e32 v9, vcc, v9, v93, vcc
	s_movk_i32 s28, 0xc0
	v_add_co_u32_e32 v60, vcc, s28, v8
	v_addc_co_u32_e32 v25, vcc, 0, v9, vcc
	v_add_co_u32_e32 v6, vcc, v6, v4
	v_addc_co_u32_e32 v7, vcc, 0, v7, vcc
	;; [unrolled: 2-line block ×4, first 2 shown]
	v_mad_i64_i32 v[6:7], s[26:27], v10, s22, v[2:3]
	v_add_co_u32_e32 v8, vcc, v6, v5
	v_addc_co_u32_e32 v9, vcc, 0, v7, vcc
	v_add_co_u32_e32 v8, vcc, s4, v8
	v_addc_co_u32_e32 v9, vcc, v9, v93, vcc
	;; [unrolled: 2-line block ×3, first 2 shown]
	v_mad_i64_i32 v[8:9], s[26:27], v33, s22, 0
	v_mad_i64_i32 v[8:9], s[26:27], s23, v35, v[8:9]
	v_add_co_u32_e32 v8, vcc, v8, v31
	v_addc_co_u32_e32 v9, vcc, 0, v9, vcc
	v_add_co_u32_e32 v8, vcc, s4, v8
	v_addc_co_u32_e32 v9, vcc, v9, v93, vcc
	;; [unrolled: 2-line block ×6, first 2 shown]
	v_mad_i64_i32 v[6:7], s[26:27], v11, s22, v[2:3]
	s_ashr_i32 s21, s8, 31
	v_add_co_u32_e32 v8, vcc, v6, v5
	s_add_u32 s18, s6, 0x90
	v_addc_co_u32_e32 v9, vcc, 0, v7, vcc
	s_addc_u32 s19, s7, 0
	v_add_co_u32_e32 v8, vcc, s4, v8
	v_addc_co_u32_e32 v9, vcc, v9, v93, vcc
	s_add_u32 s24, s4, s24
	v_add_co_u32_e32 v70, vcc, s10, v8
	s_addc_u32 s25, s5, s25
	v_addc_co_u32_e32 v35, vcc, 0, v9, vcc
	v_pk_mov_b32 v[8:9], s[24:25], s[24:25] op_sel:[0,1]
	v_mad_i64_i32 v[8:9], s[24:25], v37, s22, v[8:9]
	s_movk_i32 s23, 0xd0
	v_add_co_u32_e32 v72, vcc, s23, v8
	v_addc_co_u32_e32 v37, vcc, 0, v9, vcc
	v_add_co_u32_e32 v6, vcc, v6, v4
	v_addc_co_u32_e32 v7, vcc, 0, v7, vcc
	;; [unrolled: 2-line block ×4, first 2 shown]
	v_mad_i64_i32 v[6:7], s[24:25], v12, s22, v[2:3]
	v_add_co_u32_e32 v8, vcc, v6, v5
	v_addc_co_u32_e32 v9, vcc, 0, v7, vcc
	v_add_co_u32_e32 v8, vcc, s4, v8
	v_addc_co_u32_e32 v9, vcc, v9, v93, vcc
	;; [unrolled: 2-line block ×3, first 2 shown]
	v_mad_i64_i32 v[8:9], s[24:25], v43, s22, v[2:3]
	v_add_co_u32_e32 v10, vcc, v8, v4
	v_addc_co_u32_e32 v11, vcc, 0, v9, vcc
	v_mov_b32_e32 v12, s5
	v_add_co_u32_e32 v78, vcc, s4, v10
	v_addc_co_u32_e32 v43, vcc, v12, v11, vcc
	v_add_co_u32_e32 v6, vcc, v6, v4
	v_addc_co_u32_e32 v7, vcc, 0, v7, vcc
	v_add_co_u32_e32 v6, vcc, s4, v6
	v_addc_co_u32_e32 v7, vcc, v7, v93, vcc
	v_add_co_u32_e32 v80, vcc, 2, v6
	v_addc_co_u32_e32 v45, vcc, 0, v7, vcc
	v_mad_i64_i32 v[6:7], s[24:25], v13, s22, v[2:3]
	v_add_co_u32_e32 v10, vcc, v6, v5
	v_addc_co_u32_e32 v11, vcc, 0, v7, vcc
	v_add_co_u32_e32 v10, vcc, s4, v10
	v_addc_co_u32_e32 v11, vcc, v11, v93, vcc
	v_add_co_u32_e32 v82, vcc, s10, v10
	v_addc_co_u32_e32 v47, vcc, 0, v11, vcc
	v_add_co_u32_e32 v8, vcc, v8, v5
	v_addc_co_u32_e32 v9, vcc, 0, v9, vcc
	v_add_co_u32_e32 v8, vcc, s4, v8
	v_addc_co_u32_e32 v9, vcc, v9, v93, vcc
	v_add_co_u32_e32 v84, vcc, s10, v8
	v_addc_co_u32_e32 v49, vcc, 0, v9, vcc
	v_add_co_u32_e32 v6, vcc, v6, v4
	v_addc_co_u32_e32 v7, vcc, 0, v7, vcc
	v_add_co_u32_e32 v6, vcc, s4, v6
	v_addc_co_u32_e32 v7, vcc, v7, v93, vcc
	v_add_co_u32_e32 v86, vcc, 2, v6
	v_addc_co_u32_e32 v51, vcc, 0, v7, vcc
	v_mad_i64_i32 v[6:7], s[24:25], v14, s22, v[2:3]
	v_add_co_u32_e32 v8, vcc, v6, v5
	v_addc_co_u32_e32 v9, vcc, 0, v7, vcc
	v_add_co_u32_e32 v8, vcc, s4, v8
	v_addc_co_u32_e32 v9, vcc, v9, v93, vcc
	v_add_co_u32_e32 v88, vcc, s10, v8
	v_addc_co_u32_e32 v53, vcc, 0, v9, vcc
	v_mad_i64_i32 v[8:9], s[24:25], v57, s22, v[2:3]
	v_add_co_u32_e32 v10, vcc, v8, v4
	v_addc_co_u32_e32 v11, vcc, 0, v9, vcc
	v_add_co_u32_e32 v90, vcc, s4, v10
	v_addc_co_u32_e32 v57, vcc, v12, v11, vcc
	v_add_co_u32_e32 v6, vcc, v6, v4
	v_addc_co_u32_e32 v7, vcc, 0, v7, vcc
	v_add_co_u32_e32 v6, vcc, s4, v6
	v_addc_co_u32_e32 v7, vcc, v7, v93, vcc
	v_add_co_u32_e32 v92, vcc, 2, v6
	v_addc_co_u32_e32 v59, vcc, 0, v7, vcc
	v_mad_i64_i32 v[6:7], s[24:25], v15, s22, v[2:3]
	v_add_co_u32_e32 v10, vcc, v6, v5
	v_addc_co_u32_e32 v11, vcc, 0, v7, vcc
	v_add_co_u32_e32 v10, vcc, s4, v10
	v_addc_co_u32_e32 v11, vcc, v11, v93, vcc
	v_add_co_u32_e32 v94, vcc, s10, v10
	v_addc_co_u32_e32 v61, vcc, 0, v11, vcc
	v_add_co_u32_e32 v8, vcc, v8, v5
	v_addc_co_u32_e32 v9, vcc, 0, v9, vcc
	v_add_co_u32_e32 v8, vcc, s4, v8
	v_addc_co_u32_e32 v9, vcc, v9, v93, vcc
	v_add_co_u32_e32 v96, vcc, s10, v8
	v_addc_co_u32_e32 v63, vcc, 0, v9, vcc
	v_add_co_u32_e32 v6, vcc, v6, v4
	v_addc_co_u32_e32 v7, vcc, 0, v7, vcc
	v_add_co_u32_e32 v6, vcc, s4, v6
	v_addc_co_u32_e32 v7, vcc, v7, v93, vcc
	v_add_co_u32_e32 v98, vcc, 2, v6
	v_addc_co_u32_e32 v65, vcc, 0, v7, vcc
	v_mad_i64_i32 v[6:7], s[24:25], v16, s22, v[2:3]
	v_add_co_u32_e32 v8, vcc, v6, v5
	v_addc_co_u32_e32 v9, vcc, 0, v7, vcc
	v_add_co_u32_e32 v8, vcc, s4, v8
	v_addc_co_u32_e32 v9, vcc, v9, v93, vcc
	v_add_co_u32_e32 v100, vcc, s10, v8
	v_addc_co_u32_e32 v67, vcc, 0, v9, vcc
	v_mad_i64_i32 v[8:9], s[24:25], v69, s22, v[2:3]
	v_add_co_u32_e32 v10, vcc, v8, v4
	v_addc_co_u32_e32 v11, vcc, 0, v9, vcc
	v_add_co_u32_e32 v102, vcc, s4, v10
	v_addc_co_u32_e32 v69, vcc, v12, v11, vcc
	v_add_co_u32_e32 v6, vcc, v6, v4
	v_addc_co_u32_e32 v7, vcc, 0, v7, vcc
	v_add_co_u32_e32 v6, vcc, s4, v6
	v_addc_co_u32_e32 v7, vcc, v7, v93, vcc
	v_add_co_u32_e32 v104, vcc, 2, v6
	v_addc_co_u32_e32 v71, vcc, 0, v7, vcc
	v_mad_i64_i32 v[6:7], s[24:25], v17, s22, v[2:3]
	v_add_co_u32_e32 v10, vcc, v6, v5
	v_addc_co_u32_e32 v11, vcc, 0, v7, vcc
	v_add_co_u32_e32 v10, vcc, s4, v10
	v_addc_co_u32_e32 v11, vcc, v11, v93, vcc
	v_add_co_u32_e32 v106, vcc, s10, v10
	v_addc_co_u32_e32 v73, vcc, 0, v11, vcc
	v_add_co_u32_e32 v8, vcc, v8, v5
	v_addc_co_u32_e32 v9, vcc, 0, v9, vcc
	v_add_co_u32_e32 v8, vcc, s4, v8
	v_addc_co_u32_e32 v9, vcc, v9, v93, vcc
	v_add_co_u32_e32 v108, vcc, s10, v8
	v_addc_co_u32_e32 v75, vcc, 0, v9, vcc
	v_add_co_u32_e32 v6, vcc, v6, v4
	v_addc_co_u32_e32 v7, vcc, 0, v7, vcc
	v_add_co_u32_e32 v6, vcc, s4, v6
	v_addc_co_u32_e32 v7, vcc, v7, v93, vcc
	v_add_co_u32_e32 v110, vcc, 2, v6
	v_addc_co_u32_e32 v77, vcc, 0, v7, vcc
	v_mad_i64_i32 v[6:7], s[24:25], v18, s22, v[2:3]
	v_add_co_u32_e32 v8, vcc, v6, v5
	v_addc_co_u32_e32 v9, vcc, 0, v7, vcc
	v_add_co_u32_e32 v8, vcc, s4, v8
	v_addc_co_u32_e32 v9, vcc, v9, v93, vcc
	v_add_co_u32_e32 v112, vcc, s10, v8
	v_addc_co_u32_e32 v79, vcc, 0, v9, vcc
	v_mad_i64_i32 v[8:9], s[24:25], v21, s22, v[2:3]
	v_add_co_u32_e32 v10, vcc, v8, v4
	v_addc_co_u32_e32 v11, vcc, 0, v9, vcc
	v_add_co_u32_e32 v114, vcc, s4, v10
	v_addc_co_u32_e32 v81, vcc, v12, v11, vcc
	v_add_co_u32_e32 v6, vcc, v6, v4
	v_addc_co_u32_e32 v7, vcc, 0, v7, vcc
	;; [unrolled: 2-line block ×4, first 2 shown]
	v_mad_i64_i32 v[6:7], s[24:25], v19, s22, v[2:3]
	v_add_co_u32_e32 v10, vcc, v6, v5
	v_addc_co_u32_e32 v11, vcc, 0, v7, vcc
	v_add_co_u32_e32 v10, vcc, s4, v10
	v_addc_co_u32_e32 v11, vcc, v11, v93, vcc
	;; [unrolled: 2-line block ×9, first 2 shown]
	v_mad_i64_i32 v[2:3], s[22:23], v20, s22, v[2:3]
	v_add_co_u32_e32 v5, vcc, v2, v5
	v_addc_co_u32_e32 v6, vcc, 0, v3, vcc
	v_add_co_u32_e32 v5, vcc, s4, v5
	v_addc_co_u32_e32 v6, vcc, v6, v93, vcc
	;; [unrolled: 2-line block ×5, first 2 shown]
	v_mul_lo_u32 v56, v1, s12
	v_add_co_u32_e32 v126, vcc, 2, v2
	v_cmp_gt_u32_e64 s[0:1], 4, v97
	v_mul_u32_u24_e32 v115, 0x104, v97
	v_cmp_gt_i32_e64 s[2:3], s11, v1
	v_ashrrev_i32_e32 v1, 31, v56
	v_addc_co_u32_e32 v93, vcc, 0, v3, vcc
	v_mov_b32_e32 v138, 0
	s_mov_b32 s22, 0xf0f0f0f
	s_mov_b32 s23, 0x30303030
	s_movk_i32 s24, 0x3f00
	s_movk_i32 s25, 0xe000
	v_add_u32_e32 v139, v128, v129
	v_add_u32_e32 v140, v130, v131
	v_mov_b32_e32 v141, 8
	v_mov_b32_e32 v142, 0
	;; [unrolled: 1-line block ×4, first 2 shown]
	s_branch .LBB216_6
.LBB216_4:                              ;   in Loop: Header=BB216_6 Depth=1
	s_or_b64 exec, exec, s[4:5]
	s_waitcnt lgkmcnt(0)
	s_barrier
	ds_read_b128 v[6:9], v109
	ds_read_b128 v[10:13], v109 offset:16
	ds_read_b128 v[14:17], v109 offset:32
	ds_read_b128 v[18:21], v109 offset:48
	ds_read_b32 v145, v117
	ds_read2_b32 v[128:129], v115 offset0:38 offset1:39
	ds_read2_b32 v[132:133], v115 offset0:36 offset1:37
	;; [unrolled: 1-line block ×6, first 2 shown]
	ds_read_b128 v[2:5], v111 offset:36944
	ds_read2_b32 v[130:131], v113 offset0:2 offset1:3
	v_mov_b32_e32 v156, 0
	ds_read2_b32 v[152:153], v115 offset0:42 offset1:43
	ds_read2_b32 v[154:155], v115 offset0:40 offset1:41
	s_waitcnt lgkmcnt(4)
	v_dot4c_i32_i8_e32 v156, v150, v18
	v_dot4c_i32_i8_e32 v156, v151, v19
	;; [unrolled: 1-line block ×4, first 2 shown]
	v_mov_b32_e32 v149, 0
	v_dot4c_i32_i8_e32 v149, v132, v10
	v_dot4c_i32_i8_e32 v149, v133, v11
	;; [unrolled: 1-line block ×4, first 2 shown]
	v_mov_b32_e32 v129, 0
	v_dot4c_i32_i8_e32 v129, v146, v6
	v_dot4c_i32_i8_e32 v129, v147, v7
	s_waitcnt lgkmcnt(2)
	v_bfe_i32 v128, v130, 8, 8
	v_dot4c_i32_i8_e32 v129, v134, v8
	v_mul_lo_u32 v128, v149, v128
	v_dot4c_i32_i8_e32 v129, v135, v9
	v_bfe_i32 v132, v130, 0, 8
	v_mov_b32_e32 v148, 0
	s_waitcnt lgkmcnt(0)
	v_dot4c_i32_i8_e32 v148, v154, v14
	v_mad_u64_u32 v[128:129], s[4:5], v129, v132, v[128:129]
	v_cvt_f32_i32_e32 v128, v128
	v_dot4c_i32_i8_e32 v148, v155, v15
	v_dot4c_i32_i8_e32 v148, v152, v16
	;; [unrolled: 1-line block ×3, first 2 shown]
	v_fma_f32 v160, v2, v128, 0
	v_ashrrev_i32_e32 v128, 24, v130
	v_bfe_i32 v129, v130, 16, 8
	v_mul_lo_u32 v128, v156, v128
	v_mad_u64_u32 v[128:129], s[4:5], v148, v129, v[128:129]
	v_add_u32_e32 v132, 0x2110, v115
	v_add_u32_e32 v146, 0x2108, v115
	;; [unrolled: 1-line block ×5, first 2 shown]
	v_cvt_f32_i32_e32 v161, v128
	ds_read2_b32 v[128:129], v125 offset0:2 offset1:3
	ds_read_b32 v164, v123 offset:128
	ds_read2_b32 v[134:135], v121 offset0:2 offset1:3
	ds_read2_b32 v[132:133], v132 offset1:1
	ds_read2_b32 v[146:147], v146 offset1:1
	;; [unrolled: 1-line block ×5, first 2 shown]
	v_mov_b32_e32 v162, 0
	v_add_u32_e32 v130, 0x2118, v115
	v_add_u32_e32 v154, 0x2128, v115
	;; [unrolled: 1-line block ×3, first 2 shown]
	s_waitcnt lgkmcnt(0)
	v_dot4c_i32_i8_e32 v162, v152, v18
	v_dot4c_i32_i8_e32 v162, v153, v19
	v_add_u32_e32 v158, 0x4198, v115
	v_dot4c_i32_i8_e32 v162, v150, v20
	ds_read2_b32 v[154:155], v154 offset1:1
	ds_read2_b32 v[156:157], v156 offset1:1
	;; [unrolled: 1-line block ×3, first 2 shown]
	v_dot4c_i32_i8_e32 v162, v151, v21
	ds_read2_b32 v[150:151], v130 offset1:1
	v_mov_b32_e32 v153, 0
	v_dot4c_i32_i8_e32 v153, v132, v10
	v_dot4c_i32_i8_e32 v153, v133, v11
	v_mov_b32_e32 v133, 0
	v_dot4c_i32_i8_e32 v133, v148, v6
	s_waitcnt lgkmcnt(0)
	v_dot4c_i32_i8_e32 v153, v150, v12
	v_dot4c_i32_i8_e32 v133, v149, v7
	v_mov_b32_e32 v152, 0
	v_dot4c_i32_i8_e32 v153, v151, v13
	v_bfe_i32 v132, v134, 8, 8
	v_dot4c_i32_i8_e32 v133, v146, v8
	v_dot4c_i32_i8_e32 v152, v156, v14
	v_mul_lo_u32 v132, v153, v132
	v_dot4c_i32_i8_e32 v133, v147, v9
	v_bfe_i32 v146, v134, 0, 8
	v_dot4c_i32_i8_e32 v152, v157, v15
	v_dot4c_i32_i8_e32 v152, v154, v16
	v_mad_u64_u32 v[132:133], s[4:5], v133, v146, v[132:133]
	v_cvt_f32_i32_e32 v146, v132
	v_ashrrev_i32_e32 v132, 24, v134
	v_dot4c_i32_i8_e32 v152, v155, v17
	v_bfe_i32 v133, v134, 16, 8
	v_mul_lo_u32 v132, v162, v132
	v_add_u32_e32 v148, 0x4180, v115
	v_mad_u64_u32 v[132:133], s[4:5], v152, v133, v[132:133]
	v_cvt_f32_i32_e32 v132, v132
	v_fma_f32 v133, v2, v146, 0
	v_add_u32_e32 v146, 0x4188, v115
	v_add_u32_e32 v150, 0x41b8, v115
	v_fmac_f32_e32 v133, v3, v132
	v_add_u32_e32 v132, 0x4190, v115
	v_add_u32_e32 v152, 0x41b0, v115
	ds_read_b32 v130, v137 offset:384
	ds_read_b32 v134, v127 offset:256
	v_fmac_f32_e32 v142, v164, v133
	ds_read2_b32 v[132:133], v132 offset1:1
	ds_read2_b32 v[146:147], v146 offset1:1
	;; [unrolled: 1-line block ×5, first 2 shown]
	v_mov_b32_e32 v162, 0
	v_fmac_f32_e32 v160, v3, v161
	v_fmac_f32_e32 v138, v145, v160
	v_add_u32_e32 v154, 0x41a8, v115
	s_waitcnt lgkmcnt(0)
	v_dot4c_i32_i8_e32 v162, v152, v18
	v_dot4c_i32_i8_e32 v162, v153, v19
	;; [unrolled: 1-line block ×4, first 2 shown]
	v_mov_b32_e32 v151, 0
	v_dot4c_i32_i8_e32 v151, v132, v10
	v_dot4c_i32_i8_e32 v151, v133, v11
	v_mov_b32_e32 v133, 0
	v_dot4c_i32_i8_e32 v133, v148, v6
	v_dot4c_i32_i8_e32 v151, v158, v12
	v_dot4c_i32_i8_e32 v133, v149, v7
	v_add_u32_e32 v156, 0x41a0, v115
	v_add_u32_e32 v160, 0x6218, v115
	v_dot4c_i32_i8_e32 v151, v159, v13
	v_bfe_i32 v132, v128, 8, 8
	v_dot4c_i32_i8_e32 v133, v146, v8
	ds_read2_b32 v[154:155], v154 offset1:1
	ds_read2_b32 v[156:157], v156 offset1:1
	;; [unrolled: 1-line block ×3, first 2 shown]
	v_mul_lo_u32 v132, v151, v132
	v_dot4c_i32_i8_e32 v133, v147, v9
	v_bfe_i32 v146, v128, 0, 8
	v_mov_b32_e32 v150, 0
	s_waitcnt lgkmcnt(1)
	v_dot4c_i32_i8_e32 v150, v156, v14
	v_mad_u64_u32 v[132:133], s[4:5], v133, v146, v[132:133]
	v_cvt_f32_i32_e32 v132, v132
	v_dot4c_i32_i8_e32 v150, v157, v15
	v_dot4c_i32_i8_e32 v150, v154, v16
	;; [unrolled: 1-line block ×3, first 2 shown]
	v_fma_f32 v165, v2, v132, 0
	v_bfe_i32 v132, v128, 16, 8
	v_ashrrev_i32_e32 v128, 24, v128
	v_mul_lo_u32 v128, v162, v128
	v_mad_u64_u32 v[132:133], s[4:5], v150, v132, v[128:129]
	v_add_u32_e32 v146, 0x6210, v115
	v_add_u32_e32 v148, 0x6208, v115
	;; [unrolled: 1-line block ×5, first 2 shown]
	v_cvt_f32_i32_e32 v128, v132
	ds_read2_b32 v[132:133], v136 offset0:2 offset1:3
	ds_read2_b32 v[146:147], v146 offset1:1
	ds_read2_b32 v[148:149], v148 offset1:1
	ds_read2_b32 v[150:151], v150 offset1:1
	ds_read2_b32 v[152:153], v152 offset1:1
	ds_read2_b32 v[154:155], v154 offset1:1
	v_add_u32_e32 v156, 0x6228, v115
	v_add_u32_e32 v158, 0x6220, v115
	;; [unrolled: 1-line block ×3, first 2 shown]
	ds_read2_b32 v[156:157], v156 offset1:1
	ds_read2_b32 v[158:159], v158 offset1:1
	;; [unrolled: 1-line block ×3, first 2 shown]
	v_mov_b32_e32 v166, 0
	s_waitcnt lgkmcnt(3)
	v_dot4c_i32_i8_e32 v166, v154, v18
	v_mov_b32_e32 v18, 0
	s_waitcnt lgkmcnt(1)
	v_dot4c_i32_i8_e32 v18, v158, v14
	v_mov_b32_e32 v14, 0
	v_dot4c_i32_i8_e32 v14, v146, v10
	v_dot4c_i32_i8_e32 v14, v147, v11
	v_mov_b32_e32 v11, 0
	v_dot4c_i32_i8_e32 v11, v150, v6
	v_dot4c_i32_i8_e32 v14, v160, v12
	;; [unrolled: 1-line block ×4, first 2 shown]
	v_bfe_i32 v10, v132, 8, 8
	v_dot4c_i32_i8_e32 v11, v148, v8
	v_dot4c_i32_i8_e32 v166, v155, v19
	v_mul_lo_u32 v10, v14, v10
	v_dot4c_i32_i8_e32 v11, v149, v9
	v_bfe_i32 v6, v132, 0, 8
	v_dot4c_i32_i8_e32 v166, v152, v20
	v_dot4c_i32_i8_e32 v18, v159, v15
	v_mad_u64_u32 v[6:7], s[4:5], v11, v6, v[10:11]
	v_dot4c_i32_i8_e32 v166, v153, v21
	v_dot4c_i32_i8_e32 v18, v156, v16
	v_cvt_f32_i32_e32 v8, v6
	v_ashrrev_i32_e32 v6, 24, v132
	v_dot4c_i32_i8_e32 v18, v157, v17
	v_bfe_i32 v7, v132, 16, 8
	v_mul_lo_u32 v6, v166, v6
	v_fma_f32 v2, v2, v8, 0
	v_mad_u64_u32 v[6:7], s[4:5], v18, v7, v[6:7]
	v_cvt_f32_i32_e32 v6, v6
	v_fmac_f32_e32 v165, v3, v128
	v_mov_b32_e32 v128, 0
	v_mov_b32_e32 v132, 0
	v_fmac_f32_e32 v2, v3, v6
	v_fmac_f32_e32 v144, v130, v2
	ds_read_b128 v[10:13], v109 offset:80
	ds_read_b128 v[6:9], v109 offset:64
	;; [unrolled: 1-line block ×4, first 2 shown]
	ds_read2_b32 v[2:3], v115 offset0:62 offset1:63
	ds_read2_b32 v[146:147], v115 offset0:60 offset1:61
	;; [unrolled: 1-line block ×6, first 2 shown]
	s_waitcnt lgkmcnt(4)
	v_dot4c_i32_i8_e32 v128, v146, v18
	v_dot4c_i32_i8_e32 v128, v147, v19
	;; [unrolled: 1-line block ×3, first 2 shown]
	v_mov_b32_e32 v2, 0
	s_waitcnt lgkmcnt(2)
	v_dot4c_i32_i8_e32 v2, v150, v10
	v_dot4c_i32_i8_e32 v2, v151, v11
	;; [unrolled: 1-line block ×5, first 2 shown]
	v_bfe_i32 v3, v131, 8, 8
	ds_read2_b32 v[156:157], v115 offset0:58 offset1:59
	ds_read2_b32 v[158:159], v115 offset0:56 offset1:57
	v_mul_lo_u32 v2, v2, v3
	v_mov_b32_e32 v3, 0
	s_waitcnt lgkmcnt(2)
	v_dot4c_i32_i8_e32 v3, v154, v6
	v_dot4c_i32_i8_e32 v3, v155, v7
	;; [unrolled: 1-line block ×4, first 2 shown]
	v_bfe_i32 v146, v131, 0, 8
	s_waitcnt lgkmcnt(0)
	v_dot4c_i32_i8_e32 v132, v158, v14
	v_dot4c_i32_i8_e32 v132, v159, v15
	v_mad_u64_u32 v[2:3], s[4:5], v3, v146, v[2:3]
	v_cvt_f32_i32_e32 v2, v2
	v_dot4c_i32_i8_e32 v132, v156, v16
	v_dot4c_i32_i8_e32 v132, v157, v17
	v_bfe_i32 v3, v131, 16, 8
	v_fma_f32 v160, v4, v2, 0
	v_ashrrev_i32_e32 v2, 24, v131
	v_mul_lo_u32 v2, v128, v2
	v_mad_u64_u32 v[2:3], s[4:5], v132, v3, v[2:3]
	v_cvt_f32_i32_e32 v128, v2
	v_add_u32_e32 v2, 0x2150, v115
	v_add_u32_e32 v131, 0x2148, v115
	v_add_u32_e32 v150, 0x2178, v115
	v_add_u32_e32 v132, 0x2140, v115
	ds_read2_b32 v[2:3], v2 offset1:1
	ds_read2_b32 v[146:147], v131 offset1:1
	ds_read2_b32 v[148:149], v132 offset1:1
	ds_read2_b32 v[150:151], v150 offset1:1
	v_add_u32_e32 v131, 0x2170, v115
	ds_read2_b32 v[152:153], v131 offset1:1
	v_mov_b32_e32 v132, 0
	v_add_u32_e32 v154, 0x2168, v115
	v_add_u32_e32 v156, 0x2160, v115
	;; [unrolled: 1-line block ×3, first 2 shown]
	s_waitcnt lgkmcnt(0)
	v_dot4c_i32_i8_e32 v132, v152, v18
	v_dot4c_i32_i8_e32 v132, v153, v19
	;; [unrolled: 1-line block ×3, first 2 shown]
	v_mov_b32_e32 v150, 0
	v_dot4c_i32_i8_e32 v150, v2, v10
	ds_read2_b32 v[154:155], v154 offset1:1
	ds_read2_b32 v[156:157], v156 offset1:1
	;; [unrolled: 1-line block ×3, first 2 shown]
	v_dot4c_i32_i8_e32 v150, v3, v11
	v_mov_b32_e32 v3, 0
	v_dot4c_i32_i8_e32 v3, v148, v6
	v_dot4c_i32_i8_e32 v150, v162, v12
	;; [unrolled: 1-line block ×3, first 2 shown]
	v_mov_b32_e32 v131, 0
	v_dot4c_i32_i8_e32 v150, v163, v13
	v_bfe_i32 v2, v135, 8, 8
	v_dot4c_i32_i8_e32 v3, v146, v8
	s_waitcnt lgkmcnt(1)
	v_dot4c_i32_i8_e32 v131, v156, v14
	v_mul_lo_u32 v2, v150, v2
	v_dot4c_i32_i8_e32 v3, v147, v9
	v_bfe_i32 v146, v135, 0, 8
	v_dot4c_i32_i8_e32 v131, v157, v15
	v_dot4c_i32_i8_e32 v132, v151, v21
	v_mad_u64_u32 v[2:3], s[4:5], v3, v146, v[2:3]
	v_dot4c_i32_i8_e32 v131, v154, v16
	v_cvt_f32_i32_e32 v146, v2
	v_ashrrev_i32_e32 v2, 24, v135
	v_dot4c_i32_i8_e32 v131, v155, v17
	v_bfe_i32 v3, v135, 16, 8
	v_mul_lo_u32 v2, v132, v2
	v_fmac_f32_e32 v160, v5, v128
	v_mad_u64_u32 v[2:3], s[4:5], v131, v3, v[2:3]
	v_cvt_f32_i32_e32 v2, v2
	v_fma_f32 v3, v4, v146, 0
	v_add_u32_e32 v128, 0x41c8, v115
	v_add_u32_e32 v132, 0x41f8, v115
	v_fmac_f32_e32 v3, v5, v2
	v_add_u32_e32 v2, 0x41d0, v115
	v_fmac_f32_e32 v142, v164, v3
	v_add_u32_e32 v131, 0x41c0, v115
	ds_read2_b32 v[2:3], v2 offset1:1
	ds_read2_b32 v[146:147], v128 offset1:1
	;; [unrolled: 1-line block ×4, first 2 shown]
	v_add_u32_e32 v128, 0x41f0, v115
	v_add_u32_e32 v132, 0x41e8, v115
	v_fmac_f32_e32 v138, v145, v160
	v_add_u32_e32 v135, 0x41e0, v115
	ds_read2_b32 v[152:153], v128 offset1:1
	v_add_u32_e32 v128, 0x6258, v115
	ds_read2_b32 v[154:155], v132 offset1:1
	ds_read2_b32 v[156:157], v135 offset1:1
	;; [unrolled: 1-line block ×3, first 2 shown]
	v_mov_b32_e32 v132, 0
	s_waitcnt lgkmcnt(7)
	v_dot4c_i32_i8_e32 v132, v2, v10
	v_dot4c_i32_i8_e32 v132, v3, v11
	v_mov_b32_e32 v3, 0
	s_waitcnt lgkmcnt(5)
	v_dot4c_i32_i8_e32 v3, v148, v6
	v_dot4c_i32_i8_e32 v132, v158, v12
	;; [unrolled: 1-line block ×4, first 2 shown]
	v_bfe_i32 v2, v129, 8, 8
	v_dot4c_i32_i8_e32 v3, v146, v8
	v_dot4c_i32_i8_e32 v3, v147, v9
	v_mul_lo_u32 v2, v132, v2
	v_bfe_i32 v132, v129, 0, 8
	v_mov_b32_e32 v131, 0
	v_mad_u64_u32 v[2:3], s[4:5], v3, v132, v[2:3]
	v_cvt_f32_i32_e32 v2, v2
	s_waitcnt lgkmcnt(3)
	v_dot4c_i32_i8_e32 v131, v152, v18
	v_mov_b32_e32 v128, 0
	v_dot4c_i32_i8_e32 v131, v153, v19
	s_waitcnt lgkmcnt(1)
	v_dot4c_i32_i8_e32 v128, v156, v14
	v_dot4c_i32_i8_e32 v131, v150, v20
	;; [unrolled: 1-line block ×5, first 2 shown]
	v_fma_f32 v132, v4, v2, 0
	v_ashrrev_i32_e32 v2, 24, v129
	v_dot4c_i32_i8_e32 v128, v155, v17
	v_bfe_i32 v3, v129, 16, 8
	v_mul_lo_u32 v2, v131, v2
	v_add_u32_e32 v135, 0x6240, v115
	v_mad_u64_u32 v[2:3], s[4:5], v128, v3, v[2:3]
	v_cvt_f32_i32_e32 v131, v2
	v_add_u32_e32 v2, 0x6250, v115
	v_add_u32_e32 v128, 0x6248, v115
	;; [unrolled: 1-line block ×3, first 2 shown]
	ds_read2_b32 v[2:3], v2 offset1:1
	ds_read2_b32 v[128:129], v128 offset1:1
	;; [unrolled: 1-line block ×4, first 2 shown]
	v_add_u32_e32 v135, 0x6270, v115
	ds_read2_b32 v[150:151], v135 offset1:1
	v_add_u32_e32 v135, 0x6268, v115
	v_add_u32_e32 v154, 0x6260, v115
	ds_read2_b32 v[152:153], v135 offset1:1
	ds_read2_b32 v[154:155], v154 offset1:1
	v_mov_b32_e32 v145, 0
	s_waitcnt lgkmcnt(2)
	v_dot4c_i32_i8_e32 v145, v150, v18
	v_mov_b32_e32 v18, 0
	v_dot4c_i32_i8_e32 v145, v151, v19
	s_waitcnt lgkmcnt(0)
	v_dot4c_i32_i8_e32 v18, v154, v14
	v_mov_b32_e32 v14, 0
	v_dot4c_i32_i8_e32 v14, v2, v10
	v_dot4c_i32_i8_e32 v14, v3, v11
	v_mov_b32_e32 v3, 0
	v_dot4c_i32_i8_e32 v3, v146, v6
	v_dot4c_i32_i8_e32 v14, v160, v12
	;; [unrolled: 1-line block ×4, first 2 shown]
	v_bfe_i32 v2, v133, 8, 8
	v_dot4c_i32_i8_e32 v3, v128, v8
	v_dot4c_i32_i8_e32 v3, v129, v9
	v_mul_lo_u32 v2, v14, v2
	v_bfe_i32 v6, v133, 0, 8
	v_dot4c_i32_i8_e32 v145, v148, v20
	v_dot4c_i32_i8_e32 v18, v155, v15
	v_mad_u64_u32 v[2:3], s[4:5], v3, v6, v[2:3]
	v_dot4c_i32_i8_e32 v145, v149, v21
	v_dot4c_i32_i8_e32 v18, v152, v16
	v_cvt_f32_i32_e32 v6, v2
	v_ashrrev_i32_e32 v2, 24, v133
	v_dot4c_i32_i8_e32 v18, v153, v17
	v_bfe_i32 v3, v133, 16, 8
	v_mul_lo_u32 v2, v145, v2
	v_fmac_f32_e32 v143, v134, v165
	v_mad_u64_u32 v[2:3], s[4:5], v18, v3, v[2:3]
	v_cvt_f32_i32_e32 v2, v2
	v_fma_f32 v3, v4, v6, 0
	v_fmac_f32_e32 v132, v5, v131
	v_fmac_f32_e32 v143, v134, v132
	;; [unrolled: 1-line block ×4, first 2 shown]
	s_barrier
.LBB216_5:                              ;   in Loop: Header=BB216_6 Depth=1
	v_add_co_u32_e32 v58, vcc, 0xd2, v58
	v_addc_co_u32_e32 v23, vcc, 0, v23, vcc
	v_add_co_u32_e32 v60, vcc, 0xd2, v60
	v_addc_co_u32_e32 v25, vcc, 0, v25, vcc
	;; [unrolled: 2-line block ×34, first 2 shown]
	s_add_i32 s20, s20, -1
	s_addk_i32 s10, 0x100
	v_add_co_u32_e32 v126, vcc, 0xd2, v126
	v_add_u32_e32 v97, 8, v97
	v_add_u32_e32 v119, 8, v119
	;; [unrolled: 1-line block ×3, first 2 shown]
	s_cmp_eq_u32 s20, 0
	v_addc_co_u32_e32 v93, vcc, 0, v93, vcc
	s_cbranch_scc1 .LBB216_20
.LBB216_6:                              ; =>This Inner Loop Header: Depth=1
	v_mov_b32_e32 v2, s21
	v_add_co_u32_e32 v4, vcc, s8, v62
	v_addc_co_u32_e32 v5, vcc, v27, v2, vcc
	global_load_dword v3, v[4:5], off offset:-2
	v_add_co_u32_e32 v4, vcc, s8, v58
	v_addc_co_u32_e32 v5, vcc, v23, v2, vcc
	global_load_dword v8, v[4:5], off
	v_add_co_u32_e32 v4, vcc, s8, v68
	v_addc_co_u32_e32 v5, vcc, v33, v2, vcc
	global_load_dword v9, v[4:5], off offset:-2
	v_add_co_u32_e32 v4, vcc, s8, v64
	v_addc_co_u32_e32 v5, vcc, v29, v2, vcc
	global_load_dword v10, v[4:5], off
	v_add_co_u32_e32 v4, vcc, s8, v74
	v_addc_co_u32_e32 v5, vcc, v39, v2, vcc
	v_add_co_u32_e32 v6, vcc, s8, v70
	v_addc_co_u32_e32 v7, vcc, v35, v2, vcc
	global_load_dword v11, v[4:5], off offset:-2
	global_load_dword v12, v[6:7], off
	v_add_co_u32_e32 v4, vcc, s8, v80
	v_addc_co_u32_e32 v5, vcc, v45, v2, vcc
	v_add_co_u32_e32 v6, vcc, s8, v76
	v_addc_co_u32_e32 v7, vcc, v41, v2, vcc
	global_load_dword v13, v[4:5], off offset:-2
	s_nop 0
	global_load_dword v6, v[6:7], off
	s_add_i32 s4, s10, 0xffffff80
	s_cmp_lt_i32 s4, s9
	s_waitcnt vmcnt(7)
	v_and_b32_e32 v4, 0xf0f0f0f, v3
	v_lshrrev_b32_e32 v3, 4, v3
	s_waitcnt vmcnt(6)
	v_ashrrev_i32_e32 v5, v99, v8
	s_waitcnt vmcnt(5)
	v_and_b32_e32 v7, 0xf0f0f0f, v9
	v_lshrrev_b32_e32 v8, 4, v9
	s_waitcnt vmcnt(4)
	v_ashrrev_i32_e32 v9, v99, v10
	v_lshlrev_b32_e32 v10, 4, v5
	v_and_b32_e32 v5, 0x30303030, v5
	v_lshlrev_b32_e32 v14, 4, v9
	v_and_b32_e32 v9, 0x30303030, v9
	v_and_or_b32 v4, v10, s23, v4
	v_and_or_b32 v3, v3, s22, v5
	;; [unrolled: 1-line block ×4, first 2 shown]
	v_and_b32_e32 v8, 0x3f00, v4
	v_lshlrev_b16_e32 v9, 8, v4
	v_and_b32_sdwa v10, v4, s24 dst_sel:DWORD dst_unused:UNUSED_PAD src0_sel:WORD_1 src1_sel:DWORD
	v_lshlrev_b16_sdwa v4, v141, v4 dst_sel:DWORD dst_unused:UNUSED_PAD src0_sel:DWORD src1_sel:WORD_1
	v_and_b32_e32 v14, 0x3f00, v3
	v_lshlrev_b16_e32 v15, 8, v3
	v_and_b32_sdwa v16, v3, s24 dst_sel:DWORD dst_unused:UNUSED_PAD src0_sel:WORD_1 src1_sel:DWORD
	v_lshlrev_b16_sdwa v3, v141, v3 dst_sel:DWORD dst_unused:UNUSED_PAD src0_sel:DWORD src1_sel:WORD_1
	v_add_u16_e32 v9, 0xe000, v9
	v_add_u16_e32 v4, 0xe000, v4
	;; [unrolled: 1-line block ×4, first 2 shown]
	v_and_b32_e32 v17, 0x3f00, v5
	v_lshlrev_b16_e32 v18, 8, v5
	v_and_b32_sdwa v19, v5, s24 dst_sel:DWORD dst_unused:UNUSED_PAD src0_sel:WORD_1 src1_sel:DWORD
	v_lshlrev_b16_sdwa v5, v141, v5 dst_sel:DWORD dst_unused:UNUSED_PAD src0_sel:DWORD src1_sel:WORD_1
	v_or_b32_sdwa v8, v8, v9 dst_sel:DWORD dst_unused:UNUSED_PAD src0_sel:DWORD src1_sel:BYTE_1
	v_or_b32_sdwa v4, v10, v4 dst_sel:DWORD dst_unused:UNUSED_PAD src0_sel:DWORD src1_sel:BYTE_1
	;; [unrolled: 1-line block ×4, first 2 shown]
	v_add_u16_e32 v18, 0xe000, v18
	v_add_u16_e32 v5, 0xe000, v5
	v_add_u16_e32 v8, 0xe000, v8
	v_add_u16_sdwa v4, v4, s25 dst_sel:WORD_1 dst_unused:UNUSED_PAD src0_sel:DWORD src1_sel:DWORD
	v_add_u16_e32 v9, 0xe000, v9
	v_add_u16_sdwa v3, v3, s25 dst_sel:WORD_1 dst_unused:UNUSED_PAD src0_sel:DWORD src1_sel:DWORD
	v_or_b32_sdwa v10, v17, v18 dst_sel:DWORD dst_unused:UNUSED_PAD src0_sel:DWORD src1_sel:BYTE_1
	v_or_b32_sdwa v5, v19, v5 dst_sel:DWORD dst_unused:UNUSED_PAD src0_sel:DWORD src1_sel:BYTE_1
	v_or_b32_e32 v4, v8, v4
	v_or_b32_e32 v3, v9, v3
	v_add_u16_e32 v10, 0xe000, v10
	v_add_u16_sdwa v5, v5, s25 dst_sel:WORD_1 dst_unused:UNUSED_PAD src0_sel:DWORD src1_sel:DWORD
	ds_write2_b32 v22, v4, v3 offset1:16
	v_add_co_u32_e32 v4, vcc, s8, v86
	v_or_b32_e32 v8, v10, v5
	v_addc_co_u32_e32 v5, vcc, v51, v2, vcc
	global_load_dword v9, v[4:5], off offset:-2
	v_add_co_u32_e32 v4, vcc, s8, v82
	v_addc_co_u32_e32 v5, vcc, v47, v2, vcc
	v_lshlrev_b16_e32 v21, 8, v7
	global_load_dword v10, v[4:5], off
	v_lshlrev_b16_sdwa v5, v141, v7 dst_sel:DWORD dst_unused:UNUSED_PAD src0_sel:DWORD src1_sel:WORD_1
	v_and_b32_e32 v20, 0x3f00, v7
	v_add_u16_e32 v3, 0xe000, v21
	v_and_b32_sdwa v4, v7, s24 dst_sel:DWORD dst_unused:UNUSED_PAD src0_sel:WORD_1 src1_sel:DWORD
	v_add_u16_e32 v5, 0xe000, v5
	v_or_b32_sdwa v3, v20, v3 dst_sel:DWORD dst_unused:UNUSED_PAD src0_sel:DWORD src1_sel:BYTE_1
	v_or_b32_sdwa v4, v4, v5 dst_sel:DWORD dst_unused:UNUSED_PAD src0_sel:DWORD src1_sel:BYTE_1
	v_add_u16_e32 v3, 0xe000, v3
	v_add_u16_sdwa v4, v4, s25 dst_sel:WORD_1 dst_unused:UNUSED_PAD src0_sel:DWORD src1_sel:DWORD
	v_or_b32_e32 v3, v3, v4
	s_waitcnt vmcnt(4)
	v_ashrrev_i32_e32 v5, v99, v12
	ds_write2_b32 v24, v8, v3 offset1:16
	v_and_b32_e32 v3, 0xf0f0f0f, v11
	v_lshlrev_b32_e32 v7, 4, v5
	v_and_or_b32 v3, v7, s23, v3
	v_lshlrev_b16_e32 v8, 8, v3
	v_and_b32_e32 v7, 0x3f00, v3
	v_add_u16_e32 v8, 0xe000, v8
	v_or_b32_sdwa v7, v7, v8 dst_sel:DWORD dst_unused:UNUSED_PAD src0_sel:DWORD src1_sel:BYTE_1
	v_and_b32_sdwa v8, v3, s24 dst_sel:DWORD dst_unused:UNUSED_PAD src0_sel:WORD_1 src1_sel:DWORD
	v_lshlrev_b16_sdwa v3, v141, v3 dst_sel:DWORD dst_unused:UNUSED_PAD src0_sel:DWORD src1_sel:WORD_1
	v_add_u16_e32 v3, 0xe000, v3
	v_lshrrev_b32_e32 v4, 4, v11
	v_and_b32_e32 v5, 0x30303030, v5
	v_or_b32_sdwa v3, v8, v3 dst_sel:DWORD dst_unused:UNUSED_PAD src0_sel:DWORD src1_sel:BYTE_1
	v_add_u16_e32 v7, 0xe000, v7
	v_add_u16_sdwa v3, v3, s25 dst_sel:WORD_1 dst_unused:UNUSED_PAD src0_sel:DWORD src1_sel:DWORD
	v_and_or_b32 v4, v4, s22, v5
	v_or_b32_e32 v3, v7, v3
	v_lshlrev_b16_e32 v7, 8, v4
	v_and_b32_e32 v5, 0x3f00, v4
	v_add_u16_e32 v7, 0xe000, v7
	v_or_b32_sdwa v5, v5, v7 dst_sel:DWORD dst_unused:UNUSED_PAD src0_sel:DWORD src1_sel:BYTE_1
	v_and_b32_sdwa v7, v4, s24 dst_sel:DWORD dst_unused:UNUSED_PAD src0_sel:WORD_1 src1_sel:DWORD
	v_lshlrev_b16_sdwa v4, v141, v4 dst_sel:DWORD dst_unused:UNUSED_PAD src0_sel:DWORD src1_sel:WORD_1
	v_add_u16_e32 v4, 0xe000, v4
	v_or_b32_sdwa v4, v7, v4 dst_sel:DWORD dst_unused:UNUSED_PAD src0_sel:DWORD src1_sel:BYTE_1
	v_add_u16_e32 v5, 0xe000, v5
	v_add_u16_sdwa v4, v4, s25 dst_sel:WORD_1 dst_unused:UNUSED_PAD src0_sel:DWORD src1_sel:DWORD
	v_or_b32_e32 v4, v5, v4
	ds_write2_b32 v26, v3, v4 offset1:16
	v_add_co_u32_e32 v4, vcc, s8, v92
	v_addc_co_u32_e32 v5, vcc, v59, v2, vcc
	global_load_dword v8, v[4:5], off offset:-2
	v_add_co_u32_e32 v4, vcc, s8, v88
	v_addc_co_u32_e32 v5, vcc, v53, v2, vcc
	global_load_dword v11, v[4:5], off
	s_waitcnt vmcnt(4)
	v_ashrrev_i32_e32 v6, v99, v6
	v_and_b32_e32 v3, 0xf0f0f0f, v13
	v_lshlrev_b32_e32 v4, 4, v6
	v_and_or_b32 v3, v4, s23, v3
	v_and_b32_e32 v5, 0x30303030, v6
	v_lshlrev_b16_e32 v6, 8, v3
	v_and_b32_e32 v4, 0x3f00, v3
	v_add_u16_e32 v6, 0xe000, v6
	v_or_b32_sdwa v4, v4, v6 dst_sel:DWORD dst_unused:UNUSED_PAD src0_sel:DWORD src1_sel:BYTE_1
	v_and_b32_sdwa v6, v3, s24 dst_sel:DWORD dst_unused:UNUSED_PAD src0_sel:WORD_1 src1_sel:DWORD
	v_lshlrev_b16_sdwa v3, v141, v3 dst_sel:DWORD dst_unused:UNUSED_PAD src0_sel:DWORD src1_sel:WORD_1
	v_add_u16_e32 v3, 0xe000, v3
	v_or_b32_sdwa v3, v6, v3 dst_sel:DWORD dst_unused:UNUSED_PAD src0_sel:DWORD src1_sel:BYTE_1
	v_lshrrev_b32_e32 v7, 4, v13
	v_add_u16_e32 v4, 0xe000, v4
	v_add_u16_sdwa v3, v3, s25 dst_sel:WORD_1 dst_unused:UNUSED_PAD src0_sel:DWORD src1_sel:DWORD
	v_or_b32_e32 v3, v4, v3
	v_and_or_b32 v4, v7, s22, v5
	v_lshlrev_b16_e32 v6, 8, v4
	v_and_b32_e32 v5, 0x3f00, v4
	v_add_u16_e32 v6, 0xe000, v6
	v_or_b32_sdwa v5, v5, v6 dst_sel:DWORD dst_unused:UNUSED_PAD src0_sel:DWORD src1_sel:BYTE_1
	v_and_b32_sdwa v6, v4, s24 dst_sel:DWORD dst_unused:UNUSED_PAD src0_sel:WORD_1 src1_sel:DWORD
	v_lshlrev_b16_sdwa v4, v141, v4 dst_sel:DWORD dst_unused:UNUSED_PAD src0_sel:DWORD src1_sel:WORD_1
	v_add_u16_e32 v4, 0xe000, v4
	v_or_b32_sdwa v4, v6, v4 dst_sel:DWORD dst_unused:UNUSED_PAD src0_sel:DWORD src1_sel:BYTE_1
	v_add_u16_e32 v5, 0xe000, v5
	v_add_u16_sdwa v4, v4, s25 dst_sel:WORD_1 dst_unused:UNUSED_PAD src0_sel:DWORD src1_sel:DWORD
	v_or_b32_e32 v4, v5, v4
	ds_write2_b32 v28, v3, v4 offset1:16
	v_add_co_u32_e32 v4, vcc, s8, v98
	v_addc_co_u32_e32 v5, vcc, v65, v2, vcc
	s_waitcnt vmcnt(3)
	v_and_b32_e32 v3, 0xf0f0f0f, v9
	v_lshrrev_b32_e32 v6, 4, v9
	global_load_dword v9, v[4:5], off offset:-2
	v_add_co_u32_e32 v4, vcc, s8, v94
	v_addc_co_u32_e32 v5, vcc, v61, v2, vcc
	s_waitcnt vmcnt(3)
	v_ashrrev_i32_e32 v7, v99, v10
	global_load_dword v10, v[4:5], off
	v_lshlrev_b32_e32 v4, 4, v7
	v_and_or_b32 v3, v4, s23, v3
	v_and_b32_e32 v5, 0x30303030, v7
	v_lshlrev_b16_e32 v7, 8, v3
	v_and_b32_e32 v4, 0x3f00, v3
	v_add_u16_e32 v7, 0xe000, v7
	v_or_b32_sdwa v4, v4, v7 dst_sel:DWORD dst_unused:UNUSED_PAD src0_sel:DWORD src1_sel:BYTE_1
	v_and_b32_sdwa v7, v3, s24 dst_sel:DWORD dst_unused:UNUSED_PAD src0_sel:WORD_1 src1_sel:DWORD
	v_lshlrev_b16_sdwa v3, v141, v3 dst_sel:DWORD dst_unused:UNUSED_PAD src0_sel:DWORD src1_sel:WORD_1
	v_add_u16_e32 v3, 0xe000, v3
	v_or_b32_sdwa v3, v7, v3 dst_sel:DWORD dst_unused:UNUSED_PAD src0_sel:DWORD src1_sel:BYTE_1
	v_and_or_b32 v6, v6, s22, v5
	v_add_u16_e32 v4, 0xe000, v4
	v_add_u16_sdwa v3, v3, s25 dst_sel:WORD_1 dst_unused:UNUSED_PAD src0_sel:DWORD src1_sel:DWORD
	v_lshlrev_b16_e32 v5, 8, v6
	v_or_b32_e32 v3, v4, v3
	v_and_b32_e32 v4, 0x3f00, v6
	v_add_u16_e32 v5, 0xe000, v5
	v_or_b32_sdwa v4, v4, v5 dst_sel:DWORD dst_unused:UNUSED_PAD src0_sel:DWORD src1_sel:BYTE_1
	v_add_u16_e32 v7, 0xe000, v4
	v_add_co_u32_e32 v4, vcc, s8, v104
	v_addc_co_u32_e32 v5, vcc, v71, v2, vcc
	global_load_dword v12, v[4:5], off offset:-2
	v_add_co_u32_e32 v4, vcc, s8, v100
	v_addc_co_u32_e32 v5, vcc, v67, v2, vcc
	global_load_dword v13, v[4:5], off
	v_lshlrev_b16_sdwa v5, v141, v6 dst_sel:DWORD dst_unused:UNUSED_PAD src0_sel:DWORD src1_sel:WORD_1
	v_and_b32_sdwa v4, v6, s24 dst_sel:DWORD dst_unused:UNUSED_PAD src0_sel:WORD_1 src1_sel:DWORD
	v_add_u16_e32 v5, 0xe000, v5
	v_or_b32_sdwa v4, v4, v5 dst_sel:DWORD dst_unused:UNUSED_PAD src0_sel:DWORD src1_sel:BYTE_1
	v_add_u16_sdwa v4, v4, s25 dst_sel:WORD_1 dst_unused:UNUSED_PAD src0_sel:DWORD src1_sel:DWORD
	v_or_b32_e32 v4, v7, v4
	s_waitcnt vmcnt(4)
	v_ashrrev_i32_e32 v5, v99, v11
	ds_write2_b32 v30, v3, v4 offset1:16
	v_and_b32_e32 v3, 0xf0f0f0f, v8
	v_lshlrev_b32_e32 v6, 4, v5
	v_and_or_b32 v3, v6, s23, v3
	v_lshlrev_b16_e32 v7, 8, v3
	v_and_b32_e32 v6, 0x3f00, v3
	v_add_u16_e32 v7, 0xe000, v7
	v_or_b32_sdwa v6, v6, v7 dst_sel:DWORD dst_unused:UNUSED_PAD src0_sel:DWORD src1_sel:BYTE_1
	v_and_b32_sdwa v7, v3, s24 dst_sel:DWORD dst_unused:UNUSED_PAD src0_sel:WORD_1 src1_sel:DWORD
	v_lshlrev_b16_sdwa v3, v141, v3 dst_sel:DWORD dst_unused:UNUSED_PAD src0_sel:DWORD src1_sel:WORD_1
	v_add_u16_e32 v3, 0xe000, v3
	v_or_b32_sdwa v3, v7, v3 dst_sel:DWORD dst_unused:UNUSED_PAD src0_sel:DWORD src1_sel:BYTE_1
	v_lshrrev_b32_e32 v4, 4, v8
	v_and_b32_e32 v5, 0x30303030, v5
	v_add_u16_e32 v6, 0xe000, v6
	v_add_u16_sdwa v3, v3, s25 dst_sel:WORD_1 dst_unused:UNUSED_PAD src0_sel:DWORD src1_sel:DWORD
	v_or_b32_e32 v3, v6, v3
	v_and_or_b32 v6, v4, s22, v5
	v_lshlrev_b16_e32 v5, 8, v6
	v_and_b32_e32 v4, 0x3f00, v6
	v_add_u16_e32 v5, 0xe000, v5
	v_or_b32_sdwa v4, v4, v5 dst_sel:DWORD dst_unused:UNUSED_PAD src0_sel:DWORD src1_sel:BYTE_1
	v_add_u16_e32 v7, 0xe000, v4
	v_add_co_u32_e32 v4, vcc, s8, v110
	v_addc_co_u32_e32 v5, vcc, v77, v2, vcc
	global_load_dword v8, v[4:5], off offset:-2
	v_add_co_u32_e32 v4, vcc, s8, v106
	v_addc_co_u32_e32 v5, vcc, v73, v2, vcc
	global_load_dword v11, v[4:5], off
	v_lshlrev_b16_sdwa v5, v141, v6 dst_sel:DWORD dst_unused:UNUSED_PAD src0_sel:DWORD src1_sel:WORD_1
	v_and_b32_sdwa v4, v6, s24 dst_sel:DWORD dst_unused:UNUSED_PAD src0_sel:WORD_1 src1_sel:DWORD
	v_add_u16_e32 v5, 0xe000, v5
	v_or_b32_sdwa v4, v4, v5 dst_sel:DWORD dst_unused:UNUSED_PAD src0_sel:DWORD src1_sel:BYTE_1
	v_add_u16_sdwa v4, v4, s25 dst_sel:WORD_1 dst_unused:UNUSED_PAD src0_sel:DWORD src1_sel:DWORD
	v_or_b32_e32 v4, v7, v4
	ds_write2_b32 v32, v3, v4 offset1:16
	s_waitcnt vmcnt(5)
	v_and_b32_e32 v3, 0xf0f0f0f, v9
	v_lshrrev_b32_e32 v4, 4, v9
	s_waitcnt vmcnt(4)
	v_ashrrev_i32_e32 v5, v99, v10
	v_lshlrev_b32_e32 v6, 4, v5
	v_and_or_b32 v3, v6, s23, v3
	v_lshlrev_b16_e32 v7, 8, v3
	v_and_b32_e32 v6, 0x3f00, v3
	v_add_u16_e32 v7, 0xe000, v7
	v_or_b32_sdwa v6, v6, v7 dst_sel:DWORD dst_unused:UNUSED_PAD src0_sel:DWORD src1_sel:BYTE_1
	v_and_b32_sdwa v7, v3, s24 dst_sel:DWORD dst_unused:UNUSED_PAD src0_sel:WORD_1 src1_sel:DWORD
	v_lshlrev_b16_sdwa v3, v141, v3 dst_sel:DWORD dst_unused:UNUSED_PAD src0_sel:DWORD src1_sel:WORD_1
	v_add_u16_e32 v3, 0xe000, v3
	v_and_b32_e32 v5, 0x30303030, v5
	v_or_b32_sdwa v3, v7, v3 dst_sel:DWORD dst_unused:UNUSED_PAD src0_sel:DWORD src1_sel:BYTE_1
	v_add_u16_e32 v6, 0xe000, v6
	v_add_u16_sdwa v3, v3, s25 dst_sel:WORD_1 dst_unused:UNUSED_PAD src0_sel:DWORD src1_sel:DWORD
	v_and_or_b32 v4, v4, s22, v5
	v_or_b32_e32 v3, v6, v3
	v_lshlrev_b16_e32 v6, 8, v4
	v_and_b32_e32 v5, 0x3f00, v4
	v_add_u16_e32 v6, 0xe000, v6
	v_or_b32_sdwa v5, v5, v6 dst_sel:DWORD dst_unused:UNUSED_PAD src0_sel:DWORD src1_sel:BYTE_1
	v_and_b32_sdwa v6, v4, s24 dst_sel:DWORD dst_unused:UNUSED_PAD src0_sel:WORD_1 src1_sel:DWORD
	v_lshlrev_b16_sdwa v4, v141, v4 dst_sel:DWORD dst_unused:UNUSED_PAD src0_sel:DWORD src1_sel:WORD_1
	v_add_u16_e32 v4, 0xe000, v4
	v_or_b32_sdwa v4, v6, v4 dst_sel:DWORD dst_unused:UNUSED_PAD src0_sel:DWORD src1_sel:BYTE_1
	v_add_u16_e32 v5, 0xe000, v5
	v_add_u16_sdwa v4, v4, s25 dst_sel:WORD_1 dst_unused:UNUSED_PAD src0_sel:DWORD src1_sel:DWORD
	v_or_b32_e32 v4, v5, v4
	ds_write2_b32 v34, v3, v4 offset1:16
	v_add_co_u32_e32 v4, vcc, s8, v116
	v_addc_co_u32_e32 v5, vcc, v83, v2, vcc
	global_load_dword v9, v[4:5], off offset:-2
	v_add_co_u32_e32 v4, vcc, s8, v112
	v_addc_co_u32_e32 v5, vcc, v79, v2, vcc
	s_waitcnt vmcnt(3)
	v_ashrrev_i32_e32 v7, v99, v13
	global_load_dword v10, v[4:5], off
	v_and_b32_e32 v3, 0xf0f0f0f, v12
	v_lshlrev_b32_e32 v4, 4, v7
	v_and_or_b32 v3, v4, s23, v3
	v_and_b32_e32 v5, 0x30303030, v7
	v_lshlrev_b16_e32 v7, 8, v3
	v_and_b32_e32 v4, 0x3f00, v3
	v_add_u16_e32 v7, 0xe000, v7
	v_or_b32_sdwa v4, v4, v7 dst_sel:DWORD dst_unused:UNUSED_PAD src0_sel:DWORD src1_sel:BYTE_1
	v_and_b32_sdwa v7, v3, s24 dst_sel:DWORD dst_unused:UNUSED_PAD src0_sel:WORD_1 src1_sel:DWORD
	v_lshlrev_b16_sdwa v3, v141, v3 dst_sel:DWORD dst_unused:UNUSED_PAD src0_sel:DWORD src1_sel:WORD_1
	v_add_u16_e32 v3, 0xe000, v3
	v_or_b32_sdwa v3, v7, v3 dst_sel:DWORD dst_unused:UNUSED_PAD src0_sel:DWORD src1_sel:BYTE_1
	v_lshrrev_b32_e32 v6, 4, v12
	v_add_u16_e32 v4, 0xe000, v4
	v_add_u16_sdwa v3, v3, s25 dst_sel:WORD_1 dst_unused:UNUSED_PAD src0_sel:DWORD src1_sel:DWORD
	v_or_b32_e32 v3, v4, v3
	v_and_or_b32 v4, v6, s22, v5
	v_lshlrev_b16_e32 v6, 8, v4
	v_and_b32_e32 v5, 0x3f00, v4
	v_add_u16_e32 v6, 0xe000, v6
	v_or_b32_sdwa v5, v5, v6 dst_sel:DWORD dst_unused:UNUSED_PAD src0_sel:DWORD src1_sel:BYTE_1
	v_and_b32_sdwa v6, v4, s24 dst_sel:DWORD dst_unused:UNUSED_PAD src0_sel:WORD_1 src1_sel:DWORD
	v_lshlrev_b16_sdwa v4, v141, v4 dst_sel:DWORD dst_unused:UNUSED_PAD src0_sel:DWORD src1_sel:WORD_1
	v_add_u16_e32 v4, 0xe000, v4
	v_or_b32_sdwa v4, v6, v4 dst_sel:DWORD dst_unused:UNUSED_PAD src0_sel:DWORD src1_sel:BYTE_1
	v_add_u16_e32 v5, 0xe000, v5
	v_add_u16_sdwa v4, v4, s25 dst_sel:WORD_1 dst_unused:UNUSED_PAD src0_sel:DWORD src1_sel:DWORD
	v_or_b32_e32 v4, v5, v4
	ds_write2_b32 v36, v3, v4 offset1:16
	v_add_co_u32_e32 v4, vcc, s8, v122
	v_addc_co_u32_e32 v5, vcc, v89, v2, vcc
	s_waitcnt vmcnt(3)
	v_and_b32_e32 v3, 0xf0f0f0f, v8
	v_lshrrev_b32_e32 v6, 4, v8
	global_load_dword v8, v[4:5], off offset:-2
	v_add_co_u32_e32 v4, vcc, s8, v118
	v_addc_co_u32_e32 v5, vcc, v85, v2, vcc
	s_waitcnt vmcnt(3)
	v_ashrrev_i32_e32 v7, v99, v11
	global_load_dword v11, v[4:5], off
	v_lshlrev_b32_e32 v4, 4, v7
	v_and_or_b32 v3, v4, s23, v3
	v_and_b32_e32 v5, 0x30303030, v7
	v_lshlrev_b16_e32 v7, 8, v3
	v_and_b32_e32 v4, 0x3f00, v3
	v_add_u16_e32 v7, 0xe000, v7
	v_or_b32_sdwa v4, v4, v7 dst_sel:DWORD dst_unused:UNUSED_PAD src0_sel:DWORD src1_sel:BYTE_1
	v_and_b32_sdwa v7, v3, s24 dst_sel:DWORD dst_unused:UNUSED_PAD src0_sel:WORD_1 src1_sel:DWORD
	v_lshlrev_b16_sdwa v3, v141, v3 dst_sel:DWORD dst_unused:UNUSED_PAD src0_sel:DWORD src1_sel:WORD_1
	v_add_u16_e32 v3, 0xe000, v3
	v_or_b32_sdwa v3, v7, v3 dst_sel:DWORD dst_unused:UNUSED_PAD src0_sel:DWORD src1_sel:BYTE_1
	v_and_or_b32 v6, v6, s22, v5
	v_add_u16_e32 v4, 0xe000, v4
	v_add_u16_sdwa v3, v3, s25 dst_sel:WORD_1 dst_unused:UNUSED_PAD src0_sel:DWORD src1_sel:DWORD
	v_lshlrev_b16_e32 v5, 8, v6
	v_or_b32_e32 v3, v4, v3
	v_and_b32_e32 v4, 0x3f00, v6
	v_add_u16_e32 v5, 0xe000, v5
	v_or_b32_sdwa v4, v4, v5 dst_sel:DWORD dst_unused:UNUSED_PAD src0_sel:DWORD src1_sel:BYTE_1
	v_add_u16_e32 v7, 0xe000, v4
	v_add_co_u32_e32 v4, vcc, s8, v126
	v_addc_co_u32_e32 v5, vcc, v93, v2, vcc
	global_load_dword v12, v[4:5], off offset:-2
	v_add_co_u32_e32 v4, vcc, s8, v124
	v_addc_co_u32_e32 v5, vcc, v91, v2, vcc
	global_load_dword v13, v[4:5], off
	v_lshlrev_b16_sdwa v5, v141, v6 dst_sel:DWORD dst_unused:UNUSED_PAD src0_sel:DWORD src1_sel:WORD_1
	v_and_b32_sdwa v4, v6, s24 dst_sel:DWORD dst_unused:UNUSED_PAD src0_sel:WORD_1 src1_sel:DWORD
	v_add_u16_e32 v5, 0xe000, v5
	v_or_b32_sdwa v4, v4, v5 dst_sel:DWORD dst_unused:UNUSED_PAD src0_sel:DWORD src1_sel:BYTE_1
	v_add_u16_sdwa v4, v4, s25 dst_sel:WORD_1 dst_unused:UNUSED_PAD src0_sel:DWORD src1_sel:DWORD
	v_or_b32_e32 v4, v7, v4
	ds_write2_b32 v38, v3, v4 offset1:16
	s_waitcnt vmcnt(4)
	v_ashrrev_i32_e32 v5, v99, v10
	v_and_b32_e32 v3, 0xf0f0f0f, v9
	v_lshlrev_b32_e32 v6, 4, v5
	v_and_or_b32 v3, v6, s23, v3
	v_lshlrev_b16_e32 v7, 8, v3
	v_and_b32_e32 v6, 0x3f00, v3
	v_add_u16_e32 v7, 0xe000, v7
	v_or_b32_sdwa v6, v6, v7 dst_sel:DWORD dst_unused:UNUSED_PAD src0_sel:DWORD src1_sel:BYTE_1
	v_and_b32_sdwa v7, v3, s24 dst_sel:DWORD dst_unused:UNUSED_PAD src0_sel:WORD_1 src1_sel:DWORD
	v_lshlrev_b16_sdwa v3, v141, v3 dst_sel:DWORD dst_unused:UNUSED_PAD src0_sel:DWORD src1_sel:WORD_1
	v_add_u16_e32 v3, 0xe000, v3
	v_or_b32_sdwa v3, v7, v3 dst_sel:DWORD dst_unused:UNUSED_PAD src0_sel:DWORD src1_sel:BYTE_1
	v_lshrrev_b32_e32 v4, 4, v9
	v_and_b32_e32 v5, 0x30303030, v5
	v_add_u16_e32 v6, 0xe000, v6
	v_add_u16_sdwa v3, v3, s25 dst_sel:WORD_1 dst_unused:UNUSED_PAD src0_sel:DWORD src1_sel:DWORD
	v_or_b32_e32 v3, v6, v3
	v_and_or_b32 v6, v4, s22, v5
	v_lshlrev_b16_e32 v5, 8, v6
	v_and_b32_e32 v4, 0x3f00, v6
	v_add_u16_e32 v5, 0xe000, v5
	v_or_b32_sdwa v4, v4, v5 dst_sel:DWORD dst_unused:UNUSED_PAD src0_sel:DWORD src1_sel:BYTE_1
	v_add_u16_e32 v7, 0xe000, v4
	v_add_co_u32_e32 v4, vcc, s8, v114
	v_addc_co_u32_e32 v5, vcc, v81, v2, vcc
	global_load_dword v9, v[4:5], off
	v_add_co_u32_e32 v4, vcc, s8, v120
	v_addc_co_u32_e32 v5, vcc, v87, v2, vcc
	global_load_dword v10, v[4:5], off
	v_lshlrev_b16_sdwa v5, v141, v6 dst_sel:DWORD dst_unused:UNUSED_PAD src0_sel:DWORD src1_sel:WORD_1
	v_and_b32_sdwa v4, v6, s24 dst_sel:DWORD dst_unused:UNUSED_PAD src0_sel:WORD_1 src1_sel:DWORD
	v_add_u16_e32 v5, 0xe000, v5
	v_or_b32_sdwa v4, v4, v5 dst_sel:DWORD dst_unused:UNUSED_PAD src0_sel:DWORD src1_sel:BYTE_1
	v_add_u16_sdwa v4, v4, s25 dst_sel:WORD_1 dst_unused:UNUSED_PAD src0_sel:DWORD src1_sel:DWORD
	v_or_b32_e32 v4, v7, v4
	ds_write2_b32 v40, v3, v4 offset1:16
	s_waitcnt vmcnt(5)
	v_and_b32_e32 v3, 0xf0f0f0f, v8
	v_lshrrev_b32_e32 v4, 4, v8
	s_waitcnt vmcnt(4)
	v_ashrrev_i32_e32 v5, v99, v11
	v_lshlrev_b32_e32 v6, 4, v5
	v_and_or_b32 v3, v6, s23, v3
	v_lshlrev_b16_e32 v7, 8, v3
	v_and_b32_e32 v6, 0x3f00, v3
	v_add_u16_e32 v7, 0xe000, v7
	v_or_b32_sdwa v6, v6, v7 dst_sel:DWORD dst_unused:UNUSED_PAD src0_sel:DWORD src1_sel:BYTE_1
	v_and_b32_sdwa v7, v3, s24 dst_sel:DWORD dst_unused:UNUSED_PAD src0_sel:WORD_1 src1_sel:DWORD
	v_lshlrev_b16_sdwa v3, v141, v3 dst_sel:DWORD dst_unused:UNUSED_PAD src0_sel:DWORD src1_sel:WORD_1
	v_add_u16_e32 v3, 0xe000, v3
	v_and_b32_e32 v5, 0x30303030, v5
	v_or_b32_sdwa v3, v7, v3 dst_sel:DWORD dst_unused:UNUSED_PAD src0_sel:DWORD src1_sel:BYTE_1
	v_add_u16_e32 v6, 0xe000, v6
	v_add_u16_sdwa v3, v3, s25 dst_sel:WORD_1 dst_unused:UNUSED_PAD src0_sel:DWORD src1_sel:DWORD
	v_and_or_b32 v4, v4, s22, v5
	v_or_b32_e32 v3, v6, v3
	v_lshlrev_b16_e32 v6, 8, v4
	v_and_b32_e32 v5, 0x3f00, v4
	v_add_u16_e32 v6, 0xe000, v6
	v_or_b32_sdwa v5, v5, v6 dst_sel:DWORD dst_unused:UNUSED_PAD src0_sel:DWORD src1_sel:BYTE_1
	v_and_b32_sdwa v6, v4, s24 dst_sel:DWORD dst_unused:UNUSED_PAD src0_sel:WORD_1 src1_sel:DWORD
	v_lshlrev_b16_sdwa v4, v141, v4 dst_sel:DWORD dst_unused:UNUSED_PAD src0_sel:DWORD src1_sel:WORD_1
	v_add_u16_e32 v4, 0xe000, v4
	v_or_b32_sdwa v4, v6, v4 dst_sel:DWORD dst_unused:UNUSED_PAD src0_sel:DWORD src1_sel:BYTE_1
	v_add_u16_e32 v5, 0xe000, v5
	v_add_u16_sdwa v4, v4, s25 dst_sel:WORD_1 dst_unused:UNUSED_PAD src0_sel:DWORD src1_sel:DWORD
	v_or_b32_e32 v4, v5, v4
	ds_write2_b32 v42, v3, v4 offset1:16
	v_add_co_u32_e32 v4, vcc, s8, v102
	v_addc_co_u32_e32 v5, vcc, v69, v2, vcc
	global_load_dword v8, v[4:5], off
	v_add_co_u32_e32 v4, vcc, s8, v108
	v_addc_co_u32_e32 v5, vcc, v75, v2, vcc
	global_load_dword v11, v[4:5], off
	s_waitcnt vmcnt(4)
	v_ashrrev_i32_e32 v7, v99, v13
	v_and_b32_e32 v3, 0xf0f0f0f, v12
	v_lshlrev_b32_e32 v4, 4, v7
	v_and_or_b32 v3, v4, s23, v3
	v_and_b32_e32 v5, 0x30303030, v7
	v_lshlrev_b16_e32 v7, 8, v3
	v_and_b32_e32 v4, 0x3f00, v3
	v_add_u16_e32 v7, 0xe000, v7
	v_or_b32_sdwa v4, v4, v7 dst_sel:DWORD dst_unused:UNUSED_PAD src0_sel:DWORD src1_sel:BYTE_1
	v_and_b32_sdwa v7, v3, s24 dst_sel:DWORD dst_unused:UNUSED_PAD src0_sel:WORD_1 src1_sel:DWORD
	v_lshlrev_b16_sdwa v3, v141, v3 dst_sel:DWORD dst_unused:UNUSED_PAD src0_sel:DWORD src1_sel:WORD_1
	v_add_u16_e32 v3, 0xe000, v3
	v_or_b32_sdwa v3, v7, v3 dst_sel:DWORD dst_unused:UNUSED_PAD src0_sel:DWORD src1_sel:BYTE_1
	v_lshrrev_b32_e32 v6, 4, v12
	v_add_u16_e32 v4, 0xe000, v4
	v_add_u16_sdwa v3, v3, s25 dst_sel:WORD_1 dst_unused:UNUSED_PAD src0_sel:DWORD src1_sel:DWORD
	v_or_b32_e32 v3, v4, v3
	v_and_or_b32 v4, v6, s22, v5
	v_lshlrev_b16_e32 v6, 8, v4
	v_and_b32_e32 v5, 0x3f00, v4
	v_add_u16_e32 v6, 0xe000, v6
	v_or_b32_sdwa v5, v5, v6 dst_sel:DWORD dst_unused:UNUSED_PAD src0_sel:DWORD src1_sel:BYTE_1
	v_and_b32_sdwa v6, v4, s24 dst_sel:DWORD dst_unused:UNUSED_PAD src0_sel:WORD_1 src1_sel:DWORD
	v_lshlrev_b16_sdwa v4, v141, v4 dst_sel:DWORD dst_unused:UNUSED_PAD src0_sel:DWORD src1_sel:WORD_1
	v_add_u16_e32 v4, 0xe000, v4
	v_or_b32_sdwa v4, v6, v4 dst_sel:DWORD dst_unused:UNUSED_PAD src0_sel:DWORD src1_sel:BYTE_1
	v_add_u16_e32 v5, 0xe000, v5
	v_add_u16_sdwa v4, v4, s25 dst_sel:WORD_1 dst_unused:UNUSED_PAD src0_sel:DWORD src1_sel:DWORD
	v_or_b32_e32 v4, v5, v4
	ds_write2_b32 v44, v3, v4 offset1:16
	s_waitcnt vmcnt(3)
	v_and_b32_e32 v3, 0xf0f0f0f, v9
	v_lshrrev_b32_e32 v6, 4, v9
	s_waitcnt vmcnt(2)
	v_ashrrev_i32_e32 v4, v99, v10
	v_lshlrev_b32_e32 v5, 4, v4
	v_and_b32_e32 v7, 0x30303030, v4
	v_add_co_u32_e32 v4, vcc, s8, v90
	v_and_or_b32 v3, v5, s23, v3
	v_addc_co_u32_e32 v5, vcc, v57, v2, vcc
	global_load_dword v12, v[4:5], off
	v_add_co_u32_e32 v4, vcc, s8, v96
	v_addc_co_u32_e32 v5, vcc, v63, v2, vcc
	v_and_b32_e32 v9, 0x3f00, v3
	v_lshlrev_b16_e32 v10, 8, v3
	global_load_dword v13, v[4:5], off
	v_and_b32_sdwa v5, v3, s24 dst_sel:DWORD dst_unused:UNUSED_PAD src0_sel:WORD_1 src1_sel:DWORD
	v_lshlrev_b16_sdwa v3, v141, v3 dst_sel:DWORD dst_unused:UNUSED_PAD src0_sel:DWORD src1_sel:WORD_1
	v_add_u16_e32 v4, 0xe000, v10
	v_add_u16_e32 v3, 0xe000, v3
	v_or_b32_sdwa v4, v9, v4 dst_sel:DWORD dst_unused:UNUSED_PAD src0_sel:DWORD src1_sel:BYTE_1
	v_or_b32_sdwa v3, v5, v3 dst_sel:DWORD dst_unused:UNUSED_PAD src0_sel:DWORD src1_sel:BYTE_1
	v_add_u16_e32 v4, 0xe000, v4
	v_add_u16_sdwa v3, v3, s25 dst_sel:WORD_1 dst_unused:UNUSED_PAD src0_sel:DWORD src1_sel:DWORD
	v_or_b32_e32 v3, v4, v3
	v_and_or_b32 v4, v6, s22, v7
	v_lshlrev_b16_e32 v6, 8, v4
	v_and_b32_e32 v5, 0x3f00, v4
	v_add_u16_e32 v6, 0xe000, v6
	v_or_b32_sdwa v5, v5, v6 dst_sel:DWORD dst_unused:UNUSED_PAD src0_sel:DWORD src1_sel:BYTE_1
	v_add_u16_e32 v6, 0xe000, v5
	v_and_b32_sdwa v5, v4, s24 dst_sel:DWORD dst_unused:UNUSED_PAD src0_sel:WORD_1 src1_sel:DWORD
	v_lshlrev_b16_sdwa v4, v141, v4 dst_sel:DWORD dst_unused:UNUSED_PAD src0_sel:DWORD src1_sel:WORD_1
	v_add_u16_e32 v4, 0xe000, v4
	v_or_b32_sdwa v4, v5, v4 dst_sel:DWORD dst_unused:UNUSED_PAD src0_sel:DWORD src1_sel:BYTE_1
	v_add_u16_sdwa v7, v4, s25 dst_sel:WORD_1 dst_unused:UNUSED_PAD src0_sel:DWORD src1_sel:DWORD
	v_add_co_u32_e32 v4, vcc, s8, v78
	v_addc_co_u32_e32 v5, vcc, v43, v2, vcc
	global_load_dword v9, v[4:5], off
	v_add_co_u32_e32 v4, vcc, s8, v84
	v_addc_co_u32_e32 v5, vcc, v49, v2, vcc
	global_load_dword v10, v[4:5], off
	v_or_b32_e32 v4, v6, v7
	ds_write2_b32 v46, v3, v4 offset1:16
	s_waitcnt vmcnt(4)
	v_ashrrev_i32_e32 v4, v99, v11
	v_and_b32_e32 v3, 0xf0f0f0f, v8
	v_lshlrev_b32_e32 v5, 4, v4
	v_and_or_b32 v3, v5, s23, v3
	v_lshlrev_b16_e32 v5, 8, v3
	v_and_b32_e32 v7, 0x30303030, v4
	v_and_b32_e32 v4, 0x3f00, v3
	v_add_u16_e32 v5, 0xe000, v5
	v_or_b32_sdwa v4, v4, v5 dst_sel:DWORD dst_unused:UNUSED_PAD src0_sel:DWORD src1_sel:BYTE_1
	v_lshrrev_b32_e32 v6, 4, v8
	v_add_u16_e32 v8, 0xe000, v4
	v_and_b32_sdwa v4, v3, s24 dst_sel:DWORD dst_unused:UNUSED_PAD src0_sel:WORD_1 src1_sel:DWORD
	v_lshlrev_b16_sdwa v3, v141, v3 dst_sel:DWORD dst_unused:UNUSED_PAD src0_sel:DWORD src1_sel:WORD_1
	v_add_u16_e32 v3, 0xe000, v3
	v_or_b32_sdwa v3, v4, v3 dst_sel:DWORD dst_unused:UNUSED_PAD src0_sel:DWORD src1_sel:BYTE_1
	v_add_co_u32_e32 v4, vcc, s8, v72
	v_addc_co_u32_e32 v5, vcc, v37, v2, vcc
	global_load_ushort v11, v[4:5], off
	v_add_co_u32_e32 v4, vcc, s8, v66
	v_addc_co_u32_e32 v5, vcc, v31, v2, vcc
	global_load_dword v14, v[4:5], off
	v_add_co_u32_e32 v4, vcc, s8, v60
	v_addc_co_u32_e32 v5, vcc, v25, v2, vcc
	global_load_dword v2, v[4:5], off
	v_and_or_b32 v4, v6, s22, v7
	v_lshlrev_b16_e32 v6, 8, v4
	v_and_b32_e32 v5, 0x3f00, v4
	v_add_u16_e32 v6, 0xe000, v6
	v_or_b32_sdwa v5, v5, v6 dst_sel:DWORD dst_unused:UNUSED_PAD src0_sel:DWORD src1_sel:BYTE_1
	v_and_b32_sdwa v6, v4, s24 dst_sel:DWORD dst_unused:UNUSED_PAD src0_sel:WORD_1 src1_sel:DWORD
	v_lshlrev_b16_sdwa v4, v141, v4 dst_sel:DWORD dst_unused:UNUSED_PAD src0_sel:DWORD src1_sel:WORD_1
	v_add_u16_e32 v4, 0xe000, v4
	v_or_b32_sdwa v4, v6, v4 dst_sel:DWORD dst_unused:UNUSED_PAD src0_sel:DWORD src1_sel:BYTE_1
	v_add_u16_sdwa v3, v3, s25 dst_sel:WORD_1 dst_unused:UNUSED_PAD src0_sel:DWORD src1_sel:DWORD
	v_add_u16_e32 v5, 0xe000, v5
	v_add_u16_sdwa v4, v4, s25 dst_sel:WORD_1 dst_unused:UNUSED_PAD src0_sel:DWORD src1_sel:DWORD
	v_or_b32_e32 v3, v8, v3
	v_or_b32_e32 v4, v5, v4
	ds_write2_b32 v48, v3, v4 offset1:16
	s_waitcnt vmcnt(6)
	v_and_b32_e32 v3, 0xf0f0f0f, v12
	v_lshrrev_b32_e32 v4, 4, v12
	s_waitcnt vmcnt(5)
	v_ashrrev_i32_e32 v5, v99, v13
	v_lshlrev_b32_e32 v6, 4, v5
	v_and_or_b32 v3, v6, s23, v3
	v_lshlrev_b16_e32 v7, 8, v3
	v_and_b32_e32 v6, 0x3f00, v3
	v_add_u16_e32 v7, 0xe000, v7
	v_or_b32_sdwa v6, v6, v7 dst_sel:DWORD dst_unused:UNUSED_PAD src0_sel:DWORD src1_sel:BYTE_1
	v_and_b32_sdwa v7, v3, s24 dst_sel:DWORD dst_unused:UNUSED_PAD src0_sel:WORD_1 src1_sel:DWORD
	v_lshlrev_b16_sdwa v3, v141, v3 dst_sel:DWORD dst_unused:UNUSED_PAD src0_sel:DWORD src1_sel:WORD_1
	v_add_u16_e32 v3, 0xe000, v3
	v_and_b32_e32 v5, 0x30303030, v5
	v_or_b32_sdwa v3, v7, v3 dst_sel:DWORD dst_unused:UNUSED_PAD src0_sel:DWORD src1_sel:BYTE_1
	v_add_u16_e32 v6, 0xe000, v6
	v_add_u16_sdwa v3, v3, s25 dst_sel:WORD_1 dst_unused:UNUSED_PAD src0_sel:DWORD src1_sel:DWORD
	v_and_or_b32 v4, v4, s22, v5
	v_or_b32_e32 v3, v6, v3
	v_lshlrev_b16_e32 v6, 8, v4
	v_and_b32_e32 v5, 0x3f00, v4
	v_add_u16_e32 v6, 0xe000, v6
	v_or_b32_sdwa v5, v5, v6 dst_sel:DWORD dst_unused:UNUSED_PAD src0_sel:DWORD src1_sel:BYTE_1
	v_and_b32_sdwa v6, v4, s24 dst_sel:DWORD dst_unused:UNUSED_PAD src0_sel:WORD_1 src1_sel:DWORD
	v_lshlrev_b16_sdwa v4, v141, v4 dst_sel:DWORD dst_unused:UNUSED_PAD src0_sel:DWORD src1_sel:WORD_1
	v_add_u16_e32 v4, 0xe000, v4
	v_or_b32_sdwa v4, v6, v4 dst_sel:DWORD dst_unused:UNUSED_PAD src0_sel:DWORD src1_sel:BYTE_1
	v_add_u16_e32 v5, 0xe000, v5
	v_add_u16_sdwa v4, v4, s25 dst_sel:WORD_1 dst_unused:UNUSED_PAD src0_sel:DWORD src1_sel:DWORD
	v_or_b32_e32 v4, v5, v4
	ds_write2_b32 v50, v3, v4 offset1:16
	s_waitcnt vmcnt(4)
	v_and_b32_e32 v3, 0xf0f0f0f, v9
	v_lshrrev_b32_e32 v4, 4, v9
	s_waitcnt vmcnt(3)
	v_ashrrev_i32_e32 v5, v99, v10
	v_lshlrev_b32_e32 v6, 4, v5
	v_and_or_b32 v3, v6, s23, v3
	v_lshlrev_b16_e32 v7, 8, v3
	v_and_b32_e32 v6, 0x3f00, v3
	v_add_u16_e32 v7, 0xe000, v7
	v_or_b32_sdwa v6, v6, v7 dst_sel:DWORD dst_unused:UNUSED_PAD src0_sel:DWORD src1_sel:BYTE_1
	v_and_b32_sdwa v7, v3, s24 dst_sel:DWORD dst_unused:UNUSED_PAD src0_sel:WORD_1 src1_sel:DWORD
	v_lshlrev_b16_sdwa v3, v141, v3 dst_sel:DWORD dst_unused:UNUSED_PAD src0_sel:DWORD src1_sel:WORD_1
	v_add_u16_e32 v3, 0xe000, v3
	v_and_b32_e32 v5, 0x30303030, v5
	v_or_b32_sdwa v3, v7, v3 dst_sel:DWORD dst_unused:UNUSED_PAD src0_sel:DWORD src1_sel:BYTE_1
	v_add_u16_e32 v6, 0xe000, v6
	v_add_u16_sdwa v3, v3, s25 dst_sel:WORD_1 dst_unused:UNUSED_PAD src0_sel:DWORD src1_sel:DWORD
	v_and_or_b32 v4, v4, s22, v5
	v_or_b32_e32 v3, v6, v3
	v_lshlrev_b16_e32 v6, 8, v4
	v_and_b32_e32 v5, 0x3f00, v4
	v_add_u16_e32 v6, 0xe000, v6
	v_or_b32_sdwa v5, v5, v6 dst_sel:DWORD dst_unused:UNUSED_PAD src0_sel:DWORD src1_sel:BYTE_1
	v_and_b32_sdwa v6, v4, s24 dst_sel:DWORD dst_unused:UNUSED_PAD src0_sel:WORD_1 src1_sel:DWORD
	v_lshlrev_b16_sdwa v4, v141, v4 dst_sel:DWORD dst_unused:UNUSED_PAD src0_sel:DWORD src1_sel:WORD_1
	v_add_u16_e32 v4, 0xe000, v4
	v_or_b32_sdwa v4, v6, v4 dst_sel:DWORD dst_unused:UNUSED_PAD src0_sel:DWORD src1_sel:BYTE_1
	s_waitcnt vmcnt(2)
	v_cvt_f32_f16_e32 v6, v11
	v_add_u16_e32 v5, 0xe000, v5
	v_add_u16_sdwa v4, v4, s25 dst_sel:WORD_1 dst_unused:UNUSED_PAD src0_sel:DWORD src1_sel:DWORD
	v_or_b32_e32 v4, v5, v4
	ds_write2_b32 v52, v3, v4 offset1:16
	ds_write_b32 v101, v6
	s_waitcnt vmcnt(1)
	ds_write_b32 v139, v14
	s_waitcnt vmcnt(0)
	ds_write_b32 v140, v2
	s_cbranch_scc0 .LBB216_5
; %bb.7:                                ;   in Loop: Header=BB216_6 Depth=1
	v_cmp_gt_i32_e32 vcc, s12, v107
	s_and_b64 s[26:27], s[2:3], vcc
	s_and_saveexec_b64 s[4:5], s[26:27]
	s_cbranch_execz .LBB216_9
; %bb.8:                                ;   in Loop: Header=BB216_6 Depth=1
	v_add_u32_e32 v2, v56, v107
	v_mad_i64_i32 v[2:3], s[26:27], v2, 36, v[54:55]
	global_load_dword v2, v[2:3], off offset:4
	s_waitcnt vmcnt(0)
	ds_write_b32 v103, v2
.LBB216_9:                              ;   in Loop: Header=BB216_6 Depth=1
	s_or_b64 exec, exec, s[4:5]
	s_and_saveexec_b64 s[4:5], s[0:1]
	s_cbranch_execz .LBB216_12
; %bb.10:                               ;   in Loop: Header=BB216_6 Depth=1
	v_cmp_gt_i32_e32 vcc, s12, v97
	s_and_b64 s[26:27], s[2:3], vcc
	s_and_b64 exec, exec, s[26:27]
	s_cbranch_execz .LBB216_12
; %bb.11:                               ;   in Loop: Header=BB216_6 Depth=1
	v_add_u32_e32 v2, v56, v97
	v_mad_i64_i32 v[2:3], s[26:27], v2, 36, s[6:7]
	global_load_dword v2, v[2:3], off
	s_waitcnt vmcnt(0)
	v_cvt_f32_f16_e32 v2, v2
	ds_write_b32 v105, v2
.LBB216_12:                             ;   in Loop: Header=BB216_6 Depth=1
	s_or_b64 exec, exec, s[4:5]
	s_waitcnt lgkmcnt(0)
	s_barrier
	ds_read_b128 v[6:9], v109
	ds_read_b128 v[10:13], v109 offset:16
	ds_read_b128 v[14:17], v109 offset:32
	;; [unrolled: 1-line block ×3, first 2 shown]
	ds_read_b32 v145, v117
	ds_read2_b32 v[128:129], v115 offset0:6 offset1:7
	ds_read2_b32 v[132:133], v115 offset0:4 offset1:5
	ds_read2_b32 v[134:135], v115 offset0:2 offset1:3
	ds_read2_b32 v[146:147], v115 offset1:1
	ds_read2_b32 v[148:149], v115 offset0:14 offset1:15
	ds_read2_b32 v[150:151], v115 offset0:12 offset1:13
	ds_read_b128 v[2:5], v111 offset:36944
	ds_read2_b32 v[130:131], v113 offset1:1
	v_mov_b32_e32 v156, 0
	ds_read2_b32 v[152:153], v115 offset0:10 offset1:11
	ds_read2_b32 v[154:155], v115 offset0:8 offset1:9
	s_waitcnt lgkmcnt(4)
	v_dot4c_i32_i8_e32 v156, v150, v18
	v_dot4c_i32_i8_e32 v156, v151, v19
	;; [unrolled: 1-line block ×4, first 2 shown]
	v_mov_b32_e32 v149, 0
	v_dot4c_i32_i8_e32 v149, v132, v10
	v_dot4c_i32_i8_e32 v149, v133, v11
	;; [unrolled: 1-line block ×4, first 2 shown]
	v_mov_b32_e32 v129, 0
	v_dot4c_i32_i8_e32 v129, v146, v6
	v_dot4c_i32_i8_e32 v129, v147, v7
	s_waitcnt lgkmcnt(2)
	v_bfe_i32 v128, v130, 8, 8
	v_dot4c_i32_i8_e32 v129, v134, v8
	v_mul_lo_u32 v128, v149, v128
	v_dot4c_i32_i8_e32 v129, v135, v9
	v_bfe_i32 v132, v130, 0, 8
	v_mov_b32_e32 v148, 0
	s_waitcnt lgkmcnt(0)
	v_dot4c_i32_i8_e32 v148, v154, v14
	v_mad_u64_u32 v[128:129], s[4:5], v129, v132, v[128:129]
	v_cvt_f32_i32_e32 v128, v128
	v_dot4c_i32_i8_e32 v148, v155, v15
	v_dot4c_i32_i8_e32 v148, v152, v16
	;; [unrolled: 1-line block ×3, first 2 shown]
	v_fma_f32 v160, v2, v128, 0
	v_ashrrev_i32_e32 v128, 24, v130
	v_bfe_i32 v129, v130, 16, 8
	v_mul_lo_u32 v128, v156, v128
	v_mad_u64_u32 v[128:129], s[4:5], v148, v129, v[128:129]
	v_add_u32_e32 v132, 0x2090, v115
	v_add_u32_e32 v146, 0x2088, v115
	v_add_u32_e32 v148, 0x2080, v115
	v_add_u32_e32 v150, 0x20b8, v115
	v_add_u32_e32 v152, 0x20b0, v115
	v_cvt_f32_i32_e32 v161, v128
	ds_read2_b32 v[128:129], v125 offset1:1
	ds_read_b32 v164, v123 offset:128
	ds_read2_b32 v[134:135], v121 offset1:1
	ds_read2_b32 v[132:133], v132 offset1:1
	;; [unrolled: 1-line block ×6, first 2 shown]
	v_mov_b32_e32 v162, 0
	v_add_u32_e32 v130, 0x2098, v115
	v_add_u32_e32 v154, 0x20a8, v115
	v_add_u32_e32 v156, 0x20a0, v115
	s_waitcnt lgkmcnt(0)
	v_dot4c_i32_i8_e32 v162, v152, v18
	v_dot4c_i32_i8_e32 v162, v153, v19
	v_add_u32_e32 v158, 0x4118, v115
	v_dot4c_i32_i8_e32 v162, v150, v20
	ds_read2_b32 v[154:155], v154 offset1:1
	ds_read2_b32 v[156:157], v156 offset1:1
	;; [unrolled: 1-line block ×3, first 2 shown]
	v_dot4c_i32_i8_e32 v162, v151, v21
	ds_read2_b32 v[150:151], v130 offset1:1
	v_mov_b32_e32 v153, 0
	v_dot4c_i32_i8_e32 v153, v132, v10
	v_dot4c_i32_i8_e32 v153, v133, v11
	v_mov_b32_e32 v133, 0
	v_dot4c_i32_i8_e32 v133, v148, v6
	s_waitcnt lgkmcnt(0)
	v_dot4c_i32_i8_e32 v153, v150, v12
	v_dot4c_i32_i8_e32 v133, v149, v7
	v_mov_b32_e32 v152, 0
	v_dot4c_i32_i8_e32 v153, v151, v13
	v_bfe_i32 v132, v134, 8, 8
	v_dot4c_i32_i8_e32 v133, v146, v8
	v_dot4c_i32_i8_e32 v152, v156, v14
	v_mul_lo_u32 v132, v153, v132
	v_dot4c_i32_i8_e32 v133, v147, v9
	v_bfe_i32 v146, v134, 0, 8
	v_dot4c_i32_i8_e32 v152, v157, v15
	v_dot4c_i32_i8_e32 v152, v154, v16
	v_mad_u64_u32 v[132:133], s[4:5], v133, v146, v[132:133]
	v_cvt_f32_i32_e32 v146, v132
	v_ashrrev_i32_e32 v132, 24, v134
	v_dot4c_i32_i8_e32 v152, v155, v17
	v_bfe_i32 v133, v134, 16, 8
	v_mul_lo_u32 v132, v162, v132
	v_add_u32_e32 v148, 0x4100, v115
	v_mad_u64_u32 v[132:133], s[4:5], v152, v133, v[132:133]
	v_cvt_f32_i32_e32 v132, v132
	v_fma_f32 v133, v2, v146, 0
	v_add_u32_e32 v146, 0x4108, v115
	v_add_u32_e32 v150, 0x4138, v115
	v_fmac_f32_e32 v133, v3, v132
	v_add_u32_e32 v132, 0x4110, v115
	v_add_u32_e32 v152, 0x4130, v115
	ds_read_b32 v130, v137 offset:384
	ds_read_b32 v134, v127 offset:256
	v_fmac_f32_e32 v142, v164, v133
	ds_read2_b32 v[132:133], v132 offset1:1
	ds_read2_b32 v[146:147], v146 offset1:1
	;; [unrolled: 1-line block ×5, first 2 shown]
	v_mov_b32_e32 v162, 0
	v_fmac_f32_e32 v160, v3, v161
	v_fmac_f32_e32 v138, v145, v160
	v_add_u32_e32 v154, 0x4128, v115
	s_waitcnt lgkmcnt(0)
	v_dot4c_i32_i8_e32 v162, v152, v18
	v_dot4c_i32_i8_e32 v162, v153, v19
	;; [unrolled: 1-line block ×4, first 2 shown]
	v_mov_b32_e32 v151, 0
	v_dot4c_i32_i8_e32 v151, v132, v10
	v_dot4c_i32_i8_e32 v151, v133, v11
	v_mov_b32_e32 v133, 0
	v_dot4c_i32_i8_e32 v133, v148, v6
	v_dot4c_i32_i8_e32 v151, v158, v12
	v_dot4c_i32_i8_e32 v133, v149, v7
	v_add_u32_e32 v156, 0x4120, v115
	v_add_u32_e32 v160, 0x6198, v115
	v_dot4c_i32_i8_e32 v151, v159, v13
	v_bfe_i32 v132, v128, 8, 8
	v_dot4c_i32_i8_e32 v133, v146, v8
	ds_read2_b32 v[154:155], v154 offset1:1
	ds_read2_b32 v[156:157], v156 offset1:1
	;; [unrolled: 1-line block ×3, first 2 shown]
	v_mul_lo_u32 v132, v151, v132
	v_dot4c_i32_i8_e32 v133, v147, v9
	v_bfe_i32 v146, v128, 0, 8
	v_mov_b32_e32 v150, 0
	s_waitcnt lgkmcnt(1)
	v_dot4c_i32_i8_e32 v150, v156, v14
	v_mad_u64_u32 v[132:133], s[4:5], v133, v146, v[132:133]
	v_cvt_f32_i32_e32 v132, v132
	v_dot4c_i32_i8_e32 v150, v157, v15
	v_dot4c_i32_i8_e32 v150, v154, v16
	v_dot4c_i32_i8_e32 v150, v155, v17
	v_fma_f32 v165, v2, v132, 0
	v_bfe_i32 v132, v128, 16, 8
	v_ashrrev_i32_e32 v128, 24, v128
	v_mul_lo_u32 v128, v162, v128
	v_mad_u64_u32 v[132:133], s[4:5], v150, v132, v[128:129]
	v_add_u32_e32 v146, 0x6190, v115
	v_add_u32_e32 v148, 0x6188, v115
	;; [unrolled: 1-line block ×5, first 2 shown]
	v_cvt_f32_i32_e32 v128, v132
	ds_read2_b32 v[132:133], v136 offset1:1
	ds_read2_b32 v[146:147], v146 offset1:1
	;; [unrolled: 1-line block ×6, first 2 shown]
	v_add_u32_e32 v156, 0x61a8, v115
	v_add_u32_e32 v158, 0x61a0, v115
	;; [unrolled: 1-line block ×3, first 2 shown]
	ds_read2_b32 v[156:157], v156 offset1:1
	ds_read2_b32 v[158:159], v158 offset1:1
	;; [unrolled: 1-line block ×3, first 2 shown]
	v_mov_b32_e32 v166, 0
	s_waitcnt lgkmcnt(3)
	v_dot4c_i32_i8_e32 v166, v154, v18
	v_mov_b32_e32 v18, 0
	s_waitcnt lgkmcnt(1)
	v_dot4c_i32_i8_e32 v18, v158, v14
	v_mov_b32_e32 v14, 0
	v_dot4c_i32_i8_e32 v14, v146, v10
	v_dot4c_i32_i8_e32 v14, v147, v11
	v_mov_b32_e32 v11, 0
	v_dot4c_i32_i8_e32 v11, v150, v6
	v_dot4c_i32_i8_e32 v14, v160, v12
	;; [unrolled: 1-line block ×4, first 2 shown]
	v_bfe_i32 v10, v132, 8, 8
	v_dot4c_i32_i8_e32 v11, v148, v8
	v_dot4c_i32_i8_e32 v166, v155, v19
	v_mul_lo_u32 v10, v14, v10
	v_dot4c_i32_i8_e32 v11, v149, v9
	v_bfe_i32 v6, v132, 0, 8
	v_dot4c_i32_i8_e32 v166, v152, v20
	v_dot4c_i32_i8_e32 v18, v159, v15
	v_mad_u64_u32 v[6:7], s[4:5], v11, v6, v[10:11]
	v_dot4c_i32_i8_e32 v166, v153, v21
	v_dot4c_i32_i8_e32 v18, v156, v16
	v_cvt_f32_i32_e32 v8, v6
	v_ashrrev_i32_e32 v6, 24, v132
	v_dot4c_i32_i8_e32 v18, v157, v17
	v_bfe_i32 v7, v132, 16, 8
	v_mul_lo_u32 v6, v166, v6
	v_fma_f32 v2, v2, v8, 0
	v_mad_u64_u32 v[6:7], s[4:5], v18, v7, v[6:7]
	v_cvt_f32_i32_e32 v6, v6
	v_fmac_f32_e32 v165, v3, v128
	v_mov_b32_e32 v128, 0
	v_mov_b32_e32 v132, 0
	v_fmac_f32_e32 v2, v3, v6
	v_fmac_f32_e32 v144, v130, v2
	ds_read_b128 v[10:13], v109 offset:80
	ds_read_b128 v[6:9], v109 offset:64
	;; [unrolled: 1-line block ×4, first 2 shown]
	ds_read2_b32 v[2:3], v115 offset0:30 offset1:31
	ds_read2_b32 v[146:147], v115 offset0:28 offset1:29
	;; [unrolled: 1-line block ×6, first 2 shown]
	s_waitcnt lgkmcnt(4)
	v_dot4c_i32_i8_e32 v128, v146, v18
	v_dot4c_i32_i8_e32 v128, v147, v19
	;; [unrolled: 1-line block ×3, first 2 shown]
	v_mov_b32_e32 v2, 0
	s_waitcnt lgkmcnt(2)
	v_dot4c_i32_i8_e32 v2, v150, v10
	v_dot4c_i32_i8_e32 v2, v151, v11
	;; [unrolled: 1-line block ×5, first 2 shown]
	v_bfe_i32 v3, v131, 8, 8
	ds_read2_b32 v[156:157], v115 offset0:26 offset1:27
	ds_read2_b32 v[158:159], v115 offset0:24 offset1:25
	v_mul_lo_u32 v2, v2, v3
	v_mov_b32_e32 v3, 0
	s_waitcnt lgkmcnt(2)
	v_dot4c_i32_i8_e32 v3, v154, v6
	v_dot4c_i32_i8_e32 v3, v155, v7
	;; [unrolled: 1-line block ×4, first 2 shown]
	v_bfe_i32 v146, v131, 0, 8
	s_waitcnt lgkmcnt(0)
	v_dot4c_i32_i8_e32 v132, v158, v14
	v_dot4c_i32_i8_e32 v132, v159, v15
	v_mad_u64_u32 v[2:3], s[4:5], v3, v146, v[2:3]
	v_cvt_f32_i32_e32 v2, v2
	v_dot4c_i32_i8_e32 v132, v156, v16
	v_dot4c_i32_i8_e32 v132, v157, v17
	v_bfe_i32 v3, v131, 16, 8
	v_fma_f32 v160, v4, v2, 0
	v_ashrrev_i32_e32 v2, 24, v131
	v_mul_lo_u32 v2, v128, v2
	v_mad_u64_u32 v[2:3], s[4:5], v132, v3, v[2:3]
	v_cvt_f32_i32_e32 v128, v2
	v_add_u32_e32 v2, 0x20d0, v115
	v_add_u32_e32 v131, 0x20c8, v115
	;; [unrolled: 1-line block ×4, first 2 shown]
	ds_read2_b32 v[2:3], v2 offset1:1
	ds_read2_b32 v[146:147], v131 offset1:1
	;; [unrolled: 1-line block ×4, first 2 shown]
	v_add_u32_e32 v131, 0x20f0, v115
	ds_read2_b32 v[152:153], v131 offset1:1
	v_mov_b32_e32 v132, 0
	v_add_u32_e32 v154, 0x20e8, v115
	v_add_u32_e32 v156, 0x20e0, v115
	;; [unrolled: 1-line block ×3, first 2 shown]
	s_waitcnt lgkmcnt(0)
	v_dot4c_i32_i8_e32 v132, v152, v18
	v_dot4c_i32_i8_e32 v132, v153, v19
	;; [unrolled: 1-line block ×3, first 2 shown]
	v_mov_b32_e32 v150, 0
	v_dot4c_i32_i8_e32 v150, v2, v10
	ds_read2_b32 v[154:155], v154 offset1:1
	ds_read2_b32 v[156:157], v156 offset1:1
	;; [unrolled: 1-line block ×3, first 2 shown]
	v_dot4c_i32_i8_e32 v150, v3, v11
	v_mov_b32_e32 v3, 0
	v_dot4c_i32_i8_e32 v3, v148, v6
	v_dot4c_i32_i8_e32 v150, v162, v12
	;; [unrolled: 1-line block ×3, first 2 shown]
	v_mov_b32_e32 v131, 0
	v_dot4c_i32_i8_e32 v150, v163, v13
	v_bfe_i32 v2, v135, 8, 8
	v_dot4c_i32_i8_e32 v3, v146, v8
	s_waitcnt lgkmcnt(1)
	v_dot4c_i32_i8_e32 v131, v156, v14
	v_mul_lo_u32 v2, v150, v2
	v_dot4c_i32_i8_e32 v3, v147, v9
	v_bfe_i32 v146, v135, 0, 8
	v_dot4c_i32_i8_e32 v131, v157, v15
	v_dot4c_i32_i8_e32 v132, v151, v21
	v_mad_u64_u32 v[2:3], s[4:5], v3, v146, v[2:3]
	v_dot4c_i32_i8_e32 v131, v154, v16
	v_cvt_f32_i32_e32 v146, v2
	v_ashrrev_i32_e32 v2, 24, v135
	v_dot4c_i32_i8_e32 v131, v155, v17
	v_bfe_i32 v3, v135, 16, 8
	v_mul_lo_u32 v2, v132, v2
	v_fmac_f32_e32 v160, v5, v128
	v_mad_u64_u32 v[2:3], s[4:5], v131, v3, v[2:3]
	v_cvt_f32_i32_e32 v2, v2
	v_fma_f32 v3, v4, v146, 0
	v_add_u32_e32 v128, 0x4148, v115
	v_add_u32_e32 v132, 0x4178, v115
	v_fmac_f32_e32 v3, v5, v2
	v_add_u32_e32 v2, 0x4150, v115
	v_fmac_f32_e32 v142, v164, v3
	v_add_u32_e32 v131, 0x4140, v115
	ds_read2_b32 v[2:3], v2 offset1:1
	ds_read2_b32 v[146:147], v128 offset1:1
	;; [unrolled: 1-line block ×4, first 2 shown]
	v_add_u32_e32 v128, 0x4170, v115
	v_add_u32_e32 v132, 0x4168, v115
	v_fmac_f32_e32 v138, v145, v160
	v_add_u32_e32 v135, 0x4160, v115
	ds_read2_b32 v[152:153], v128 offset1:1
	v_add_u32_e32 v128, 0x61d8, v115
	ds_read2_b32 v[154:155], v132 offset1:1
	ds_read2_b32 v[156:157], v135 offset1:1
	;; [unrolled: 1-line block ×3, first 2 shown]
	v_mov_b32_e32 v132, 0
	s_waitcnt lgkmcnt(7)
	v_dot4c_i32_i8_e32 v132, v2, v10
	v_dot4c_i32_i8_e32 v132, v3, v11
	v_mov_b32_e32 v3, 0
	s_waitcnt lgkmcnt(5)
	v_dot4c_i32_i8_e32 v3, v148, v6
	v_dot4c_i32_i8_e32 v132, v158, v12
	;; [unrolled: 1-line block ×4, first 2 shown]
	v_bfe_i32 v2, v129, 8, 8
	v_dot4c_i32_i8_e32 v3, v146, v8
	v_dot4c_i32_i8_e32 v3, v147, v9
	v_mul_lo_u32 v2, v132, v2
	v_bfe_i32 v132, v129, 0, 8
	v_mov_b32_e32 v131, 0
	v_mad_u64_u32 v[2:3], s[4:5], v3, v132, v[2:3]
	v_cvt_f32_i32_e32 v2, v2
	s_waitcnt lgkmcnt(3)
	v_dot4c_i32_i8_e32 v131, v152, v18
	v_mov_b32_e32 v128, 0
	v_dot4c_i32_i8_e32 v131, v153, v19
	s_waitcnt lgkmcnt(1)
	v_dot4c_i32_i8_e32 v128, v156, v14
	v_dot4c_i32_i8_e32 v131, v150, v20
	;; [unrolled: 1-line block ×5, first 2 shown]
	v_fma_f32 v132, v4, v2, 0
	v_ashrrev_i32_e32 v2, 24, v129
	v_dot4c_i32_i8_e32 v128, v155, v17
	v_bfe_i32 v3, v129, 16, 8
	v_mul_lo_u32 v2, v131, v2
	v_add_u32_e32 v135, 0x61c0, v115
	v_mad_u64_u32 v[2:3], s[4:5], v128, v3, v[2:3]
	v_cvt_f32_i32_e32 v131, v2
	v_add_u32_e32 v2, 0x61d0, v115
	v_add_u32_e32 v128, 0x61c8, v115
	;; [unrolled: 1-line block ×3, first 2 shown]
	ds_read2_b32 v[2:3], v2 offset1:1
	ds_read2_b32 v[128:129], v128 offset1:1
	;; [unrolled: 1-line block ×4, first 2 shown]
	v_add_u32_e32 v135, 0x61f0, v115
	ds_read2_b32 v[150:151], v135 offset1:1
	v_add_u32_e32 v135, 0x61e8, v115
	v_add_u32_e32 v154, 0x61e0, v115
	ds_read2_b32 v[152:153], v135 offset1:1
	ds_read2_b32 v[154:155], v154 offset1:1
	v_mov_b32_e32 v145, 0
	s_waitcnt lgkmcnt(2)
	v_dot4c_i32_i8_e32 v145, v150, v18
	v_mov_b32_e32 v18, 0
	v_dot4c_i32_i8_e32 v145, v151, v19
	s_waitcnt lgkmcnt(0)
	v_dot4c_i32_i8_e32 v18, v154, v14
	v_mov_b32_e32 v14, 0
	v_dot4c_i32_i8_e32 v14, v2, v10
	v_dot4c_i32_i8_e32 v14, v3, v11
	v_mov_b32_e32 v3, 0
	v_dot4c_i32_i8_e32 v3, v146, v6
	v_dot4c_i32_i8_e32 v14, v160, v12
	;; [unrolled: 1-line block ×4, first 2 shown]
	v_bfe_i32 v2, v133, 8, 8
	v_dot4c_i32_i8_e32 v3, v128, v8
	v_dot4c_i32_i8_e32 v3, v129, v9
	v_mul_lo_u32 v2, v14, v2
	v_bfe_i32 v6, v133, 0, 8
	v_dot4c_i32_i8_e32 v145, v148, v20
	v_dot4c_i32_i8_e32 v18, v155, v15
	v_mad_u64_u32 v[2:3], s[4:5], v3, v6, v[2:3]
	v_dot4c_i32_i8_e32 v145, v149, v21
	v_dot4c_i32_i8_e32 v18, v152, v16
	v_cvt_f32_i32_e32 v6, v2
	v_ashrrev_i32_e32 v2, 24, v133
	v_dot4c_i32_i8_e32 v18, v153, v17
	v_bfe_i32 v3, v133, 16, 8
	v_mul_lo_u32 v2, v145, v2
	v_fmac_f32_e32 v143, v134, v165
	v_mad_u64_u32 v[2:3], s[4:5], v18, v3, v[2:3]
	v_cvt_f32_i32_e32 v2, v2
	v_fma_f32 v3, v4, v6, 0
	v_fmac_f32_e32 v132, v5, v131
	v_fmac_f32_e32 v143, v134, v132
	;; [unrolled: 1-line block ×4, first 2 shown]
	s_cmp_ge_i32 s10, s9
	s_barrier
	s_cbranch_scc1 .LBB216_5
; %bb.13:                               ;   in Loop: Header=BB216_6 Depth=1
	v_cmp_gt_i32_e32 vcc, s12, v119
	s_and_b64 s[26:27], s[2:3], vcc
	s_and_saveexec_b64 s[4:5], s[26:27]
	s_cbranch_execz .LBB216_15
; %bb.14:                               ;   in Loop: Header=BB216_6 Depth=1
	v_add_u32_e32 v2, v56, v119
	v_mad_i64_i32 v[2:3], s[26:27], v2, 36, v[54:55]
	global_load_dword v2, v[2:3], off offset:4
	s_waitcnt vmcnt(0)
	ds_write_b32 v103, v2
.LBB216_15:                             ;   in Loop: Header=BB216_6 Depth=1
	s_or_b64 exec, exec, s[4:5]
	s_and_saveexec_b64 s[4:5], s[0:1]
	s_cbranch_execz .LBB216_4
; %bb.16:                               ;   in Loop: Header=BB216_6 Depth=1
	v_add_u32_e32 v2, 4, v97
	v_cmp_gt_i32_e32 vcc, s12, v2
	s_and_b64 s[26:27], s[2:3], vcc
	s_and_b64 exec, exec, s[26:27]
	s_cbranch_execz .LBB216_4
; %bb.17:                               ;   in Loop: Header=BB216_6 Depth=1
	v_ashrrev_i32_e32 v2, 31, v97
	v_add_co_u32_e32 v3, vcc, v56, v97
	v_addc_co_u32_e32 v4, vcc, v1, v2, vcc
	v_mad_u64_u32 v[2:3], s[26:27], v3, 36, s[18:19]
	v_mad_i32_i24 v3, v4, 36, v3
	global_load_dword v2, v[2:3], off
	s_waitcnt vmcnt(0)
	v_cvt_f32_f16_e32 v2, v2
	ds_write_b32 v105, v2
	s_branch .LBB216_4
.LBB216_18:
	v_mov_b32_e32 v1, 0
	v_mov_b32_e32 v2, 0
	;; [unrolled: 1-line block ×3, first 2 shown]
	s_mul_i32 s0, s14, s11
	s_waitcnt vmcnt(0)
	v_cmp_gt_i32_e32 vcc, s0, v95
	s_and_saveexec_b64 s[0:1], vcc
	s_cbranch_execnz .LBB216_21
.LBB216_19:
	s_endpgm
.LBB216_20:
	v_cvt_f16_f32_e32 v5, v138
	v_cvt_f16_f32_e32 v2, v142
	;; [unrolled: 1-line block ×4, first 2 shown]
	s_mul_i32 s0, s14, s11
	v_cmp_gt_i32_e32 vcc, s0, v95
	s_and_saveexec_b64 s[0:1], vcc
	s_cbranch_execz .LBB216_19
.LBB216_21:
	v_and_b32_e32 v0, 0x3ff, v0
	v_add_u32_e32 v4, s15, v0
	v_mul_lo_u32 v0, v95, s13
	v_cmp_gt_u32_e32 vcc, s13, v4
	s_and_saveexec_b64 s[0:1], vcc
	s_cbranch_execz .LBB216_23
; %bb.22:
	v_add_u32_e32 v6, v0, v4
	v_mov_b32_e32 v7, 0
	v_lshlrev_b64 v[6:7], 1, v[6:7]
	v_mov_b32_e32 v8, s17
	v_add_co_u32_e32 v6, vcc, s16, v6
	v_addc_co_u32_e32 v7, vcc, v8, v7, vcc
	global_store_short v[6:7], v5, off
.LBB216_23:
	s_or_b64 exec, exec, s[0:1]
	v_add_u32_e32 v5, 32, v4
	v_cmp_gt_u32_e32 vcc, s13, v5
	s_and_saveexec_b64 s[0:1], vcc
	s_cbranch_execz .LBB216_25
; %bb.24:
	v_add_u32_e32 v6, v0, v5
	v_mov_b32_e32 v7, 0
	v_lshlrev_b64 v[6:7], 1, v[6:7]
	v_mov_b32_e32 v5, s17
	v_add_co_u32_e32 v6, vcc, s16, v6
	v_addc_co_u32_e32 v7, vcc, v5, v7, vcc
	global_store_short v[6:7], v2, off
.LBB216_25:
	s_or_b64 exec, exec, s[0:1]
	v_add_u32_e32 v2, 64, v4
	;; [unrolled: 14-line block ×3, first 2 shown]
	v_cmp_gt_u32_e32 vcc, s13, v1
	s_and_b64 exec, exec, vcc
	s_cbranch_execz .LBB216_19
; %bb.28:
	v_add_u32_e32 v0, v0, v1
	v_mov_b32_e32 v1, 0
	v_lshlrev_b64 v[0:1], 1, v[0:1]
	v_mov_b32_e32 v2, s17
	v_add_co_u32_e32 v0, vcc, s16, v0
	v_addc_co_u32_e32 v1, vcc, v2, v1, vcc
	global_store_short v[0:1], v3, off
	s_endpgm
	.section	.rodata,"a",@progbits
	.p2align	6, 0x0
	.amdhsa_kernel _ZL8moe_q6_KIN3c104HalfELb1EEvPKvS3_PT_PKiS7_S7_iiiiiii
		.amdhsa_group_segment_fixed_size 37072
		.amdhsa_private_segment_fixed_size 0
		.amdhsa_kernarg_size 76
		.amdhsa_user_sgpr_count 6
		.amdhsa_user_sgpr_private_segment_buffer 1
		.amdhsa_user_sgpr_dispatch_ptr 0
		.amdhsa_user_sgpr_queue_ptr 0
		.amdhsa_user_sgpr_kernarg_segment_ptr 1
		.amdhsa_user_sgpr_dispatch_id 0
		.amdhsa_user_sgpr_flat_scratch_init 0
		.amdhsa_user_sgpr_kernarg_preload_length 0
		.amdhsa_user_sgpr_kernarg_preload_offset 0
		.amdhsa_user_sgpr_private_segment_size 0
		.amdhsa_uses_dynamic_stack 0
		.amdhsa_system_sgpr_private_segment_wavefront_offset 0
		.amdhsa_system_sgpr_workgroup_id_x 1
		.amdhsa_system_sgpr_workgroup_id_y 1
		.amdhsa_system_sgpr_workgroup_id_z 0
		.amdhsa_system_sgpr_workgroup_info 0
		.amdhsa_system_vgpr_workitem_id 1
		.amdhsa_next_free_vgpr 167
		.amdhsa_next_free_sgpr 29
		.amdhsa_accum_offset 168
		.amdhsa_reserve_vcc 1
		.amdhsa_reserve_flat_scratch 0
		.amdhsa_float_round_mode_32 0
		.amdhsa_float_round_mode_16_64 0
		.amdhsa_float_denorm_mode_32 3
		.amdhsa_float_denorm_mode_16_64 3
		.amdhsa_dx10_clamp 1
		.amdhsa_ieee_mode 1
		.amdhsa_fp16_overflow 0
		.amdhsa_tg_split 0
		.amdhsa_exception_fp_ieee_invalid_op 0
		.amdhsa_exception_fp_denorm_src 0
		.amdhsa_exception_fp_ieee_div_zero 0
		.amdhsa_exception_fp_ieee_overflow 0
		.amdhsa_exception_fp_ieee_underflow 0
		.amdhsa_exception_fp_ieee_inexact 0
		.amdhsa_exception_int_div_zero 0
	.end_amdhsa_kernel
	.section	.text._ZL8moe_q6_KIN3c104HalfELb1EEvPKvS3_PT_PKiS7_S7_iiiiiii,"axG",@progbits,_ZL8moe_q6_KIN3c104HalfELb1EEvPKvS3_PT_PKiS7_S7_iiiiiii,comdat
.Lfunc_end216:
	.size	_ZL8moe_q6_KIN3c104HalfELb1EEvPKvS3_PT_PKiS7_S7_iiiiiii, .Lfunc_end216-_ZL8moe_q6_KIN3c104HalfELb1EEvPKvS3_PT_PKiS7_S7_iiiiiii
                                        ; -- End function
	.section	.AMDGPU.csdata,"",@progbits
; Kernel info:
; codeLenInByte = 12440
; NumSgprs: 33
; NumVgprs: 167
; NumAgprs: 0
; TotalNumVgprs: 167
; ScratchSize: 0
; MemoryBound: 0
; FloatMode: 240
; IeeeMode: 1
; LDSByteSize: 37072 bytes/workgroup (compile time only)
; SGPRBlocks: 4
; VGPRBlocks: 20
; NumSGPRsForWavesPerEU: 33
; NumVGPRsForWavesPerEU: 167
; AccumOffset: 168
; Occupancy: 1
; WaveLimiterHint : 1
; COMPUTE_PGM_RSRC2:SCRATCH_EN: 0
; COMPUTE_PGM_RSRC2:USER_SGPR: 6
; COMPUTE_PGM_RSRC2:TRAP_HANDLER: 0
; COMPUTE_PGM_RSRC2:TGID_X_EN: 1
; COMPUTE_PGM_RSRC2:TGID_Y_EN: 1
; COMPUTE_PGM_RSRC2:TGID_Z_EN: 0
; COMPUTE_PGM_RSRC2:TIDIG_COMP_CNT: 1
; COMPUTE_PGM_RSRC3_GFX90A:ACCUM_OFFSET: 41
; COMPUTE_PGM_RSRC3_GFX90A:TG_SPLIT: 0
	.section	.text._ZL8moe_q4_0IN3c108BFloat16ELb0EEvPKvS3_PT_PKiS7_S7_iiiiiii,"axG",@progbits,_ZL8moe_q4_0IN3c108BFloat16ELb0EEvPKvS3_PT_PKiS7_S7_iiiiiii,comdat
	.globl	_ZL8moe_q4_0IN3c108BFloat16ELb0EEvPKvS3_PT_PKiS7_S7_iiiiiii ; -- Begin function _ZL8moe_q4_0IN3c108BFloat16ELb0EEvPKvS3_PT_PKiS7_S7_iiiiiii
	.p2align	8
	.type	_ZL8moe_q4_0IN3c108BFloat16ELb0EEvPKvS3_PT_PKiS7_S7_iiiiiii,@function
_ZL8moe_q4_0IN3c108BFloat16ELb0EEvPKvS3_PT_PKiS7_S7_iiiiiii: ; @_ZL8moe_q4_0IN3c108BFloat16ELb0EEvPKvS3_PT_PKiS7_S7_iiiiiii
; %bb.0:
	s_load_dwordx4 s[0:3], s[4:5], 0x18
	s_mov_b32 s8, s7
	s_mov_b32 s9, 0
	s_lshl_b64 s[10:11], s[8:9], 2
	s_waitcnt lgkmcnt(0)
	s_add_u32 s2, s2, s10
	s_addc_u32 s3, s3, s11
	s_load_dword s2, s[2:3], 0x0
	s_waitcnt lgkmcnt(0)
	s_cmpk_gt_u32 s2, 0xff
	s_cbranch_scc1 .LBB217_28
; %bb.1:
	s_load_dwordx2 s[10:11], s[4:5], 0x28
	s_lshl_b32 s3, s8, 3
	s_waitcnt lgkmcnt(0)
	s_load_dword s7, s[10:11], 0x0
	s_waitcnt lgkmcnt(0)
	s_cmp_gt_u32 s3, s7
	s_cbranch_scc1 .LBB217_28
; %bb.2:
	v_bfe_u32 v1, v0, 10, 10
	v_add_u32_e32 v54, s3, v1
	v_mov_b32_e32 v55, 0
	v_lshlrev_b64 v[2:3], 2, v[54:55]
	v_mov_b32_e32 v4, s1
	v_add_co_u32_e32 v2, vcc, s0, v2
	v_addc_co_u32_e32 v3, vcc, v4, v3, vcc
	global_load_dword v69, v[2:3], off
	s_load_dwordx2 s[14:15], s[4:5], 0x30
	s_load_dwordx2 s[12:13], s[4:5], 0x10
	s_load_dwordx4 s[8:11], s[4:5], 0x3c
	s_lshl_b32 s16, s6, 7
	s_waitcnt lgkmcnt(0)
	s_cmp_lt_i32 s15, 32
	s_cbranch_scc1 .LBB217_18
; %bb.3:
	v_and_b32_e32 v71, 0x3ff, v0
	s_ashr_i32 s0, s15, 31
	v_lshlrev_b32_e32 v3, 2, v1
	v_lshrrev_b32_e32 v100, 3, v71
	s_load_dwordx4 s[4:7], s[4:5], 0x0
	s_lshr_b32 s0, s0, 27
	s_ashr_i32 s1, s9, 31
	v_and_b32_e32 v54, 7, v71
	v_add_u32_e32 v22, v100, v3
	s_add_i32 s0, s15, s0
	s_lshr_b32 s1, s1, 27
	s_mul_i32 s14, s2, s14
	v_and_b32_e32 v23, 0x1ffc, v22
	v_lshlrev_b32_e32 v24, 2, v54
	s_movk_i32 s2, 0x4200
	s_ashr_i32 s17, s0, 5
	s_add_i32 s1, s9, s1
	v_add3_u32 v61, v23, v24, s2
	v_add_u32_e32 v23, 32, v22
	s_ashr_i32 s9, s1, 5
	v_lshlrev_b32_e32 v2, 2, v71
	s_movk_i32 s1, 0x84
	v_mul_lo_u32 v55, s17, v22
	v_lshlrev_b32_e32 v70, 5, v22
	v_and_b32_e32 v25, 0x3ffc, v23
	v_lshlrev_b32_e32 v73, 5, v23
	v_add_u32_e32 v23, 64, v22
	v_add_u32_e32 v22, 0x60, v22
	v_and_b32_e32 v6, 12, v2
	v_mad_u32_u24 v84, v1, s1, v2
	v_add3_u32 v72, v25, v24, s2
	v_and_b32_e32 v25, 0x3ffc, v23
	v_lshlrev_b32_e32 v75, 5, v23
	v_and_b32_e32 v23, 0x3ffc, v22
	v_and_b32_e32 v2, 28, v2
	v_add3_u32 v74, v25, v24, s2
	v_add3_u32 v76, v23, v24, s2
	v_lshlrev_b32_e32 v77, 5, v22
	v_and_b32_e32 v24, 31, v71
	s_waitcnt lgkmcnt(0)
	v_add_co_u32_e32 v22, vcc, s6, v2
	v_lshlrev_b32_e32 v2, 7, v1
	v_lshl_or_b32 v24, v24, 2, v2
	v_add_u32_e32 v101, 0x5280, v24
	v_mov_b32_e32 v24, 0x5680
	v_mul_lo_u32 v5, s17, v1
	v_add_u32_e32 v103, 0x5280, v2
	v_lshl_add_u32 v104, v1, 4, v24
	v_and_b32_e32 v1, 0xfc, v71
	v_lshlrev_b32_e32 v2, 5, v71
	v_or_b32_e32 v3, v3, v71
	v_add3_u32 v106, v2, v1, s2
	v_add_u32_e32 v1, 32, v71
	v_lshl_add_u32 v102, v3, 2, v24
	v_and_b32_e32 v2, 0x1fc, v1
	v_lshlrev_b32_e32 v3, 5, v1
	v_add3_u32 v107, v3, v2, s2
	v_add_u32_e32 v2, 64, v71
	v_and_b32_e32 v3, 0x1fc, v2
	v_lshlrev_b32_e32 v2, 5, v2
	s_abs_i32 s3, s11
	v_add3_u32 v108, v2, v3, s2
	v_cvt_f32_u32_e32 v3, s3
	v_add_u32_e32 v2, 0x60, v71
	v_and_b32_e32 v24, 0x1fc, v2
	v_lshlrev_b32_e32 v2, 5, v2
	v_add3_u32 v109, v2, v24, s2
	v_rcp_iflag_f32_e32 v2, v3
	s_sub_i32 s2, 0, s3
	s_waitcnt vmcnt(0)
	v_sub_u32_e32 v3, 0, v69
	v_max_i32_e32 v3, v69, v3
	v_mul_f32_e32 v2, 0x4f7ffffe, v2
	v_cvt_u32_f32_e32 v2, v2
	v_mov_b32_e32 v23, s7
	v_addc_co_u32_e32 v23, vcc, 0, v23, vcc
	v_mul_lo_u32 v24, s2, v2
	v_mul_hi_u32 v24, v2, v24
	v_add_u32_e32 v2, v2, v24
	v_mul_hi_u32 v2, v3, v2
	v_mul_lo_u32 v24, v2, s3
	v_sub_u32_e32 v3, v3, v24
	v_add_u32_e32 v24, 1, v2
	v_cmp_le_u32_e32 vcc, s3, v3
	v_cndmask_b32_e32 v2, v2, v24, vcc
	v_subrev_u32_e32 v24, s3, v3
	v_cndmask_b32_e32 v3, v3, v24, vcc
	v_lshrrev_b32_e32 v110, 3, v1
	v_xor_b32_e32 v1, s11, v69
	v_add_u32_e32 v24, 1, v2
	v_cmp_le_u32_e32 vcc, s3, v3
	v_ashrrev_i32_e32 v1, 31, v1
	v_cndmask_b32_e32 v2, v2, v24, vcc
	v_xor_b32_e32 v2, v2, v1
	v_sub_u32_e32 v1, v2, v1
	v_cmp_gt_i32_e64 s[2:3], s8, v1
	v_mul_lo_u32 v1, v1, s9
	v_ashrrev_i32_e32 v2, 31, v1
	v_add_co_u32_e32 v3, vcc, v1, v71
	s_mul_i32 s19, s17, s16
	v_addc_co_u32_e32 v24, vcc, 0, v2, vcc
	v_mad_u64_u32 v[2:3], s[22:23], v3, 36, s[6:7]
	s_movk_i32 s21, 0x90
	v_mad_i32_i24 v3, v24, 36, v3
	v_add_co_u32_e32 v24, vcc, s21, v2
	s_mul_hi_i32 s21, s19, 18
	s_mul_i32 s22, s19, 18
	v_lshrrev_b32_e32 v4, 2, v71
	v_addc_co_u32_e32 v25, vcc, 0, v3, vcc
	v_mov_b32_e32 v2, s22
	v_mov_b32_e32 v3, s21
	s_lshl_b32 s1, s17, 3
	v_mad_u64_u32 v[2:3], s[22:23], v4, 18, v[2:3]
	v_add_u32_e32 v7, s1, v5
	v_mad_u64_u32 v[4:5], s[22:23], v5, 18, v[2:3]
	v_add_u32_e32 v111, v71, v1
	v_add_u32_e32 v112, v110, v1
	;; [unrolled: 1-line block ×3, first 2 shown]
	v_add_co_u32_e32 v1, vcc, v4, v6
	v_addc_co_u32_e32 v4, vcc, 0, v5, vcc
	v_mov_b32_e32 v57, s5
	v_add_co_u32_e32 v1, vcc, s4, v1
	v_addc_co_u32_e32 v4, vcc, v4, v57, vcc
	v_add_co_u32_e32 v26, vcc, 2, v1
	v_addc_co_u32_e32 v1, vcc, 0, v4, vcc
	v_mad_u64_u32 v[4:5], s[22:23], v7, 18, v[2:3]
	v_add_co_u32_e32 v4, vcc, v4, v6
	v_addc_co_u32_e32 v5, vcc, 0, v5, vcc
	v_add_co_u32_e32 v4, vcc, s4, v4
	v_addc_co_u32_e32 v5, vcc, v5, v57, vcc
	v_add_u32_e32 v8, s1, v7
	v_add_co_u32_e32 v28, vcc, 2, v4
	v_addc_co_u32_e32 v27, vcc, 0, v5, vcc
	v_mad_u64_u32 v[4:5], s[22:23], v8, 18, v[2:3]
	v_add_co_u32_e32 v4, vcc, v4, v6
	v_addc_co_u32_e32 v5, vcc, 0, v5, vcc
	v_add_co_u32_e32 v4, vcc, s4, v4
	v_addc_co_u32_e32 v5, vcc, v5, v57, vcc
	v_add_u32_e32 v9, s1, v8
	;; [unrolled: 8-line block ×14, first 2 shown]
	v_add_co_u32_e32 v56, vcc, 2, v4
	v_addc_co_u32_e32 v53, vcc, 0, v5, vcc
	v_mad_u64_u32 v[2:3], s[22:23], v21, 18, v[2:3]
	v_add_co_u32_e32 v2, vcc, v2, v6
	v_addc_co_u32_e32 v3, vcc, 0, v3, vcc
	v_add_co_u32_e32 v2, vcc, s4, v2
	v_addc_co_u32_e32 v3, vcc, v3, v57, vcc
	;; [unrolled: 2-line block ×3, first 2 shown]
	v_mad_u64_u32 v[2:3], s[22:23], v55, 18, 0
	v_mad_i64_i32 v[2:3], s[22:23], s19, 18, v[2:3]
	s_andn2_b32 s0, s0, 31
	v_mad_u64_u32 v[2:3], s[22:23], v54, 18, v[2:3]
	v_add_u32_e32 v60, s0, v55
	v_mov_b32_e32 v4, s5
	v_add_co_u32_e32 v62, vcc, s4, v2
	v_addc_co_u32_e32 v59, vcc, v4, v3, vcc
	v_mad_u64_u32 v[2:3], s[22:23], v60, 18, 0
	v_mad_i64_i32 v[2:3], s[22:23], s19, 18, v[2:3]
	v_mad_u64_u32 v[2:3], s[22:23], v54, 18, v[2:3]
	v_add_u32_e32 v65, s0, v60
	v_add_co_u32_e32 v64, vcc, s4, v2
	v_addc_co_u32_e32 v63, vcc, v4, v3, vcc
	v_mad_u64_u32 v[2:3], s[22:23], v65, 18, 0
	v_mad_i64_i32 v[2:3], s[22:23], s19, 18, v[2:3]
	v_mad_u64_u32 v[2:3], s[22:23], v54, 18, v[2:3]
	v_add_u32_e32 v67, s0, v65
	v_add_co_u32_e32 v66, vcc, s4, v2
	v_addc_co_u32_e32 v65, vcc, v4, v3, vcc
	v_mad_u64_u32 v[2:3], s[22:23], v67, 18, 0
	v_mad_i64_i32 v[2:3], s[22:23], s19, 18, v[2:3]
	v_mad_u64_u32 v[2:3], s[22:23], v54, 18, v[2:3]
	s_ashr_i32 s20, s14, 31
	v_mul_u32_u24_e32 v105, 0x84, v71
	v_add_co_u32_e32 v68, vcc, s4, v2
	v_mov_b32_e32 v60, 0
	s_mov_b32 s18, 0
	v_add_u32_e32 v85, 0x420, v84
	v_add_u32_e32 v86, 0x840, v84
	;; [unrolled: 1-line block ×15, first 2 shown]
	v_cmp_gt_u32_e64 s[0:1], 4, v71
	v_addc_co_u32_e32 v67, vcc, v4, v3, vcc
	s_movk_i32 s19, 0x80
	v_add_u32_e32 v114, v61, v70
	v_add_u32_e32 v115, v72, v73
	;; [unrolled: 1-line block ×4, first 2 shown]
	v_mov_b32_e32 v118, s20
	v_add_u32_e32 v119, 0x1080, v105
	v_add_u32_e32 v120, 0x1088, v105
	v_mov_b32_e32 v61, v60
	v_mov_b32_e32 v54, v60
	;; [unrolled: 1-line block ×3, first 2 shown]
	s_branch .LBB217_6
.LBB217_4:                              ;   in Loop: Header=BB217_6 Depth=1
	s_or_b64 exec, exec, s[4:5]
	s_waitcnt lgkmcnt(0)
	s_barrier
	ds_read_b128 v[2:5], v104
	ds_read_b128 v[14:17], v103
	ds_read_b128 v[18:21], v103 offset:16
	ds_read2_b32 v[72:73], v105 offset0:16 offset1:17
	v_mov_b32_e32 v80, 0
	ds_read_b128 v[6:9], v103 offset:32
	ds_read_b128 v[10:13], v103 offset:48
	v_mov_b32_e32 v121, 0
	v_add_u32_e32 v122, 0x2140, v105
	s_waitcnt lgkmcnt(2)
	v_and_b32_e32 v74, 0xf0f0f0f, v72
	v_lshrrev_b32_e32 v72, 4, v72
	v_and_b32_e32 v72, 0xf0f0f0f, v72
	v_dot4c_i32_i8_e32 v80, v74, v14
	v_dot4c_i32_i8_e32 v80, v72, v18
	v_and_b32_e32 v72, 0xf0f0f0f, v73
	v_lshrrev_b32_e32 v73, 4, v73
	v_and_b32_e32 v74, 0xf0f0f0f, v73
	v_dot4c_i32_i8_e32 v80, v72, v15
	ds_read2_b32 v[72:73], v105 offset0:18 offset1:19
	v_dot4c_i32_i8_e32 v80, v74, v19
	ds_read2_b32 v[74:75], v105 offset0:20 offset1:21
	ds_read2_b32 v[76:77], v105 offset0:22 offset1:23
	;; [unrolled: 1-line block ×3, first 2 shown]
	v_add_u32_e32 v124, 0x2148, v105
	v_mov_b32_e32 v141, 0
	s_waitcnt lgkmcnt(3)
	v_and_b32_e32 v81, 0xf0f0f0f, v72
	v_dot4c_i32_i8_e32 v80, v81, v16
	v_add_u32_e32 v81, 0x10c0, v105
	ds_read2_b32 v[82:83], v81 offset1:1
	v_lshrrev_b32_e32 v72, 4, v72
	v_and_b32_e32 v72, 0xf0f0f0f, v72
	v_dot4c_i32_i8_e32 v80, v72, v20
	v_and_b32_e32 v72, 0xf0f0f0f, v73
	v_lshrrev_b32_e32 v73, 4, v73
	v_and_b32_e32 v73, 0xf0f0f0f, v73
	v_dot4c_i32_i8_e32 v80, v72, v17
	v_dot4c_i32_i8_e32 v80, v73, v21
	ds_read2_b32 v[72:73], v109 offset0:6 offset1:7
	s_waitcnt lgkmcnt(1)
	v_and_b32_e32 v81, 0xf0f0f0f, v82
	v_lshrrev_b32_e32 v82, 4, v82
	v_and_b32_e32 v82, 0xf0f0f0f, v82
	v_dot4c_i32_i8_e32 v121, v81, v14
	v_dot4c_i32_i8_e32 v121, v82, v18
	v_and_b32_e32 v81, 0xf0f0f0f, v83
	v_lshrrev_b32_e32 v82, 4, v83
	v_and_b32_e32 v82, 0xf0f0f0f, v82
	v_dot4c_i32_i8_e32 v121, v81, v15
	v_add_u32_e32 v81, 0x10c8, v105
	v_dot4c_i32_i8_e32 v121, v82, v19
	ds_read2_b32 v[82:83], v81 offset1:1
	v_add_u32_e32 v81, 0x31c0, v105
	ds_read2_b32 v[122:123], v122 offset1:1
	ds_read2_b32 v[124:125], v124 offset1:1
	;; [unrolled: 1-line block ×3, first 2 shown]
	v_mov_b32_e32 v142, 0
	v_mov_b32_e32 v143, 0
	s_waitcnt lgkmcnt(3)
	v_and_b32_e32 v81, 0xf0f0f0f, v82
	v_lshrrev_b32_e32 v82, 4, v82
	v_and_b32_e32 v82, 0xf0f0f0f, v82
	v_dot4c_i32_i8_e32 v121, v81, v16
	v_dot4c_i32_i8_e32 v121, v82, v20
	v_and_b32_e32 v81, 0xf0f0f0f, v83
	v_lshrrev_b32_e32 v82, 4, v83
	v_and_b32_e32 v82, 0xf0f0f0f, v82
	v_dot4c_i32_i8_e32 v121, v81, v17
	s_waitcnt lgkmcnt(2)
	v_lshrrev_b32_e32 v81, 4, v122
	v_dot4c_i32_i8_e32 v121, v82, v21
	v_and_b32_e32 v82, 0xf0f0f0f, v122
	v_and_b32_e32 v83, 0xf0f0f0f, v81
	v_mov_b32_e32 v81, 0
	v_dot4c_i32_i8_e32 v81, v82, v14
	v_dot4c_i32_i8_e32 v81, v83, v18
	v_and_b32_e32 v82, 0xf0f0f0f, v123
	v_lshrrev_b32_e32 v83, 4, v123
	v_and_b32_e32 v83, 0xf0f0f0f, v83
	v_dot4c_i32_i8_e32 v81, v82, v15
	v_dot4c_i32_i8_e32 v81, v83, v19
	s_waitcnt lgkmcnt(1)
	v_and_b32_e32 v82, 0xf0f0f0f, v124
	v_lshrrev_b32_e32 v83, 4, v124
	v_and_b32_e32 v83, 0xf0f0f0f, v83
	v_dot4c_i32_i8_e32 v81, v82, v16
	v_dot4c_i32_i8_e32 v81, v83, v20
	v_and_b32_e32 v82, 0xf0f0f0f, v125
	v_lshrrev_b32_e32 v83, 4, v125
	v_and_b32_e32 v83, 0xf0f0f0f, v83
	v_dot4c_i32_i8_e32 v81, v82, v17
	s_waitcnt lgkmcnt(0)
	v_lshrrev_b32_e32 v82, 4, v126
	v_dot4c_i32_i8_e32 v81, v83, v21
	v_and_b32_e32 v83, 0xf0f0f0f, v126
	v_and_b32_e32 v122, 0xf0f0f0f, v82
	v_mov_b32_e32 v82, 0
	v_dot4c_i32_i8_e32 v82, v83, v14
	v_dot4c_i32_i8_e32 v82, v122, v18
	v_and_b32_e32 v14, 0xf0f0f0f, v127
	v_dot4c_i32_i8_e32 v82, v14, v15
	v_add_u32_e32 v14, 0x31c8, v105
	ds_read2_b32 v[14:15], v14 offset1:1
	v_lshrrev_b32_e32 v18, 4, v127
	v_and_b32_e32 v18, 0xf0f0f0f, v18
	v_dot4c_i32_i8_e32 v82, v18, v19
	v_add_u32_e32 v18, 0x10d0, v105
	v_add_u32_e32 v83, 0x10d8, v105
	;; [unrolled: 1-line block ×3, first 2 shown]
	ds_read2_b32 v[18:19], v18 offset1:1
	ds_read2_b32 v[122:123], v83 offset1:1
	;; [unrolled: 1-line block ×3, first 2 shown]
	s_waitcnt lgkmcnt(3)
	v_and_b32_e32 v83, 0xf0f0f0f, v14
	v_lshrrev_b32_e32 v14, 4, v14
	v_and_b32_e32 v14, 0xf0f0f0f, v14
	v_dot4c_i32_i8_e32 v82, v83, v16
	v_dot4c_i32_i8_e32 v82, v14, v20
	v_and_b32_e32 v14, 0xf0f0f0f, v15
	v_lshrrev_b32_e32 v15, 4, v15
	v_and_b32_e32 v15, 0xf0f0f0f, v15
	v_dot4c_i32_i8_e32 v82, v14, v17
	v_cvt_f32_f16_sdwa v16, v3 dst_sel:DWORD dst_unused:UNUSED_PAD src0_sel:WORD_1
	v_dot4c_i32_i8_e32 v82, v15, v21
	v_cvt_f32_f16_e32 v14, v3
	v_and_b32_e32 v3, 0xf0f0f0f, v74
	v_lshrrev_b32_e32 v15, 4, v74
	v_mov_b32_e32 v17, 0
	v_and_b32_e32 v15, 0xf0f0f0f, v15
	v_dot4c_i32_i8_e32 v17, v3, v6
	v_dot4c_i32_i8_e32 v17, v15, v10
	v_and_b32_e32 v3, 0xf0f0f0f, v75
	v_lshrrev_b32_e32 v15, 4, v75
	v_and_b32_e32 v15, 0xf0f0f0f, v15
	v_dot4c_i32_i8_e32 v17, v3, v7
	v_dot4c_i32_i8_e32 v17, v15, v11
	v_and_b32_e32 v3, 0xf0f0f0f, v76
	v_lshrrev_b32_e32 v15, 4, v76
	;; [unrolled: 5-line block ×3, first 2 shown]
	v_and_b32_e32 v15, 0xf0f0f0f, v15
	v_dot4c_i32_i8_e32 v17, v3, v9
	v_dot4c_i32_i8_e32 v17, v15, v13
	s_waitcnt lgkmcnt(2)
	v_and_b32_e32 v3, 0xf0f0f0f, v18
	v_lshrrev_b32_e32 v15, 4, v18
	v_mov_b32_e32 v83, 0
	v_and_b32_e32 v15, 0xf0f0f0f, v15
	v_dot4c_i32_i8_e32 v83, v3, v6
	v_dot4c_i32_i8_e32 v83, v15, v10
	v_and_b32_e32 v3, 0xf0f0f0f, v19
	v_lshrrev_b32_e32 v15, 4, v19
	v_and_b32_e32 v15, 0xf0f0f0f, v15
	v_dot4c_i32_i8_e32 v83, v3, v7
	v_dot4c_i32_i8_e32 v83, v15, v11
	s_waitcnt lgkmcnt(1)
	v_and_b32_e32 v3, 0xf0f0f0f, v122
	v_lshrrev_b32_e32 v15, 4, v122
	v_and_b32_e32 v15, 0xf0f0f0f, v15
	v_dot4c_i32_i8_e32 v83, v3, v8
	v_dot4c_i32_i8_e32 v83, v15, v12
	v_and_b32_e32 v3, 0xf0f0f0f, v123
	v_lshrrev_b32_e32 v15, 4, v123
	v_and_b32_e32 v15, 0xf0f0f0f, v15
	v_dot4c_i32_i8_e32 v83, v3, v9
	v_dot4c_i32_i8_e32 v83, v15, v13
	s_waitcnt lgkmcnt(0)
	v_and_b32_e32 v3, 0xf0f0f0f, v124
	v_lshrrev_b32_e32 v15, 4, v124
	v_and_b32_e32 v15, 0xf0f0f0f, v15
	v_dot4c_i32_i8_e32 v141, v3, v6
	v_dot4c_i32_i8_e32 v141, v15, v10
	v_and_b32_e32 v3, 0xf0f0f0f, v125
	v_dot4c_i32_i8_e32 v141, v3, v7
	v_add_u32_e32 v3, 0x2158, v105
	ds_read2_b32 v[18:19], v3 offset1:1
	v_lshrrev_b32_e32 v15, 4, v125
	v_and_b32_e32 v15, 0xf0f0f0f, v15
	v_dot4c_i32_i8_e32 v141, v15, v11
	v_add_u32_e32 v15, 0x31d0, v105
	v_add_u32_e32 v74, 0x31d8, v105
	;; [unrolled: 1-line block ×3, first 2 shown]
	ds_read2_b32 v[20:21], v15 offset1:1
	ds_read2_b32 v[74:75], v74 offset1:1
	;; [unrolled: 1-line block ×3, first 2 shown]
	s_waitcnt lgkmcnt(3)
	v_and_b32_e32 v3, 0xf0f0f0f, v18
	v_lshrrev_b32_e32 v15, 4, v18
	v_and_b32_e32 v15, 0xf0f0f0f, v15
	v_dot4c_i32_i8_e32 v141, v3, v8
	v_dot4c_i32_i8_e32 v141, v15, v12
	v_and_b32_e32 v3, 0xf0f0f0f, v19
	v_lshrrev_b32_e32 v15, 4, v19
	v_and_b32_e32 v15, 0xf0f0f0f, v15
	v_dot4c_i32_i8_e32 v141, v3, v9
	v_dot4c_i32_i8_e32 v141, v15, v13
	s_waitcnt lgkmcnt(2)
	v_and_b32_e32 v3, 0xf0f0f0f, v20
	v_lshrrev_b32_e32 v15, 4, v20
	v_and_b32_e32 v15, 0xf0f0f0f, v15
	v_dot4c_i32_i8_e32 v142, v3, v6
	v_dot4c_i32_i8_e32 v142, v15, v10
	v_and_b32_e32 v3, 0xf0f0f0f, v21
	v_lshrrev_b32_e32 v6, 4, v21
	v_and_b32_e32 v6, 0xf0f0f0f, v6
	v_dot4c_i32_i8_e32 v142, v3, v7
	v_dot4c_i32_i8_e32 v142, v6, v11
	s_waitcnt lgkmcnt(1)
	v_and_b32_e32 v3, 0xf0f0f0f, v74
	v_lshrrev_b32_e32 v6, 4, v74
	v_and_b32_e32 v6, 0xf0f0f0f, v6
	v_dot4c_i32_i8_e32 v142, v3, v8
	v_dot4c_i32_i8_e32 v142, v6, v12
	v_and_b32_e32 v3, 0xf0f0f0f, v75
	v_dot4c_i32_i8_e32 v142, v3, v9
	v_cvt_f32_f16_sdwa v3, v4 dst_sel:DWORD dst_unused:UNUSED_PAD src0_sel:WORD_1
	ds_read_b128 v[122:125], v103 offset:64
	ds_read_b128 v[126:129], v103 offset:80
	v_lshrrev_b32_e32 v6, 4, v75
	v_and_b32_e32 v6, 0xf0f0f0f, v6
	ds_read2_b32 v[8:9], v108 offset0:4 offset1:5
	ds_read2_b32 v[18:19], v107 offset0:6 offset1:7
	;; [unrolled: 1-line block ×5, first 2 shown]
	v_dot4c_i32_i8_e32 v142, v6, v13
	v_mul_f32_e32 v6, 0x41000000, v3
	v_and_b32_e32 v3, 0xf0f0f0f, v78
	v_lshrrev_b32_e32 v7, 4, v78
	v_mov_b32_e32 v15, 0
	v_and_b32_e32 v7, 0xf0f0f0f, v7
	s_waitcnt lgkmcnt(6)
	v_dot4c_i32_i8_e32 v15, v3, v122
	s_waitcnt lgkmcnt(5)
	v_dot4c_i32_i8_e32 v15, v7, v126
	v_and_b32_e32 v3, 0xf0f0f0f, v79
	v_lshrrev_b32_e32 v7, 4, v79
	v_and_b32_e32 v7, 0xf0f0f0f, v7
	v_dot4c_i32_i8_e32 v15, v3, v123
	v_dot4c_i32_i8_e32 v15, v7, v127
	s_waitcnt lgkmcnt(0)
	v_and_b32_e32 v3, 0xf0f0f0f, v10
	v_lshrrev_b32_e32 v7, 4, v10
	v_and_b32_e32 v7, 0xf0f0f0f, v7
	v_dot4c_i32_i8_e32 v15, v3, v124
	v_dot4c_i32_i8_e32 v15, v7, v128
	v_and_b32_e32 v3, 0xf0f0f0f, v11
	v_lshrrev_b32_e32 v7, 4, v11
	v_and_b32_e32 v7, 0xf0f0f0f, v7
	v_dot4c_i32_i8_e32 v15, v3, v125
	v_dot4c_i32_i8_e32 v15, v7, v129
	;; [unrolled: 5-line block ×3, first 2 shown]
	v_and_b32_e32 v3, 0xf0f0f0f, v77
	v_dot4c_i32_i8_e32 v143, v3, v123
	v_add_u32_e32 v3, 0x10e8, v105
	ds_read2_b32 v[130:131], v105 offset0:28 offset1:29
	ds_read2_b32 v[132:133], v106 offset0:4 offset1:5
	;; [unrolled: 1-line block ×3, first 2 shown]
	ds_read2_b32 v[10:11], v3 offset1:1
	v_lshrrev_b32_e32 v7, 4, v77
	v_and_b32_e32 v7, 0xf0f0f0f, v7
	v_dot4c_i32_i8_e32 v143, v7, v127
	v_add_u32_e32 v7, 0x2160, v105
	v_add_u32_e32 v3, 0x31e0, v105
	;; [unrolled: 1-line block ×3, first 2 shown]
	ds_read2_b32 v[76:77], v7 offset1:1
	ds_read2_b32 v[78:79], v12 offset1:1
	;; [unrolled: 1-line block ×3, first 2 shown]
	s_waitcnt lgkmcnt(3)
	v_and_b32_e32 v3, 0xf0f0f0f, v10
	v_lshrrev_b32_e32 v7, 4, v10
	v_and_b32_e32 v7, 0xf0f0f0f, v7
	v_dot4c_i32_i8_e32 v143, v3, v124
	v_dot4c_i32_i8_e32 v143, v7, v128
	v_and_b32_e32 v3, 0xf0f0f0f, v11
	v_lshrrev_b32_e32 v7, 4, v11
	v_and_b32_e32 v7, 0xf0f0f0f, v7
	v_dot4c_i32_i8_e32 v143, v3, v125
	v_dot4c_i32_i8_e32 v143, v7, v129
	s_waitcnt lgkmcnt(2)
	v_and_b32_e32 v3, 0xf0f0f0f, v76
	v_lshrrev_b32_e32 v7, 4, v76
	v_mov_b32_e32 v144, 0
	v_and_b32_e32 v7, 0xf0f0f0f, v7
	v_dot4c_i32_i8_e32 v144, v3, v122
	v_dot4c_i32_i8_e32 v144, v7, v126
	v_and_b32_e32 v3, 0xf0f0f0f, v77
	v_lshrrev_b32_e32 v7, 4, v77
	v_and_b32_e32 v7, 0xf0f0f0f, v7
	v_dot4c_i32_i8_e32 v144, v3, v123
	v_dot4c_i32_i8_e32 v144, v7, v127
	s_waitcnt lgkmcnt(1)
	v_and_b32_e32 v3, 0xf0f0f0f, v78
	v_lshrrev_b32_e32 v7, 4, v78
	v_and_b32_e32 v7, 0xf0f0f0f, v7
	v_dot4c_i32_i8_e32 v144, v3, v124
	v_dot4c_i32_i8_e32 v144, v7, v128
	v_and_b32_e32 v3, 0xf0f0f0f, v79
	v_lshrrev_b32_e32 v7, 4, v79
	v_and_b32_e32 v7, 0xf0f0f0f, v7
	v_dot4c_i32_i8_e32 v144, v3, v125
	v_dot4c_i32_i8_e32 v144, v7, v129
	s_waitcnt lgkmcnt(0)
	v_and_b32_e32 v3, 0xf0f0f0f, v136
	v_lshrrev_b32_e32 v7, 4, v136
	v_mov_b32_e32 v145, 0
	v_and_b32_e32 v7, 0xf0f0f0f, v7
	v_dot4c_i32_i8_e32 v145, v3, v122
	v_dot4c_i32_i8_e32 v145, v7, v126
	v_and_b32_e32 v3, 0xf0f0f0f, v137
	v_dot4c_i32_i8_e32 v145, v3, v123
	v_add_u32_e32 v3, 0x31e8, v105
	ds_read2_b32 v[12:13], v109 offset0:4 offset1:5
	ds_read2_b32 v[10:11], v108 offset0:6 offset1:7
	ds_read2_b32 v[76:77], v3 offset1:1
	v_lshrrev_b32_e32 v7, 4, v137
	v_and_b32_e32 v7, 0xf0f0f0f, v7
	v_dot4c_i32_i8_e32 v145, v7, v127
	v_add_u32_e32 v7, 0x10f0, v105
	v_add_u32_e32 v3, 0x2170, v105
	v_add_u32_e32 v78, 0x10f8, v105
	ds_read2_b32 v[126:127], v7 offset1:1
	ds_read2_b32 v[136:137], v78 offset1:1
	;; [unrolled: 1-line block ×3, first 2 shown]
	s_waitcnt lgkmcnt(3)
	v_and_b32_e32 v3, 0xf0f0f0f, v76
	v_lshrrev_b32_e32 v7, 4, v76
	v_and_b32_e32 v7, 0xf0f0f0f, v7
	v_dot4c_i32_i8_e32 v145, v3, v124
	v_dot4c_i32_i8_e32 v145, v7, v128
	v_and_b32_e32 v3, 0xf0f0f0f, v77
	v_dot4c_i32_i8_e32 v145, v3, v125
	v_cvt_f32_f16_sdwa v3, v5 dst_sel:DWORD dst_unused:UNUSED_PAD src0_sel:WORD_1
	v_lshrrev_b32_e32 v7, 4, v77
	ds_read_b128 v[76:79], v103 offset:96
	ds_read_b128 v[122:125], v103 offset:112
	v_and_b32_e32 v7, 0xf0f0f0f, v7
	v_dot4c_i32_i8_e32 v145, v7, v129
	v_cvt_f32_f16_e32 v128, v5
	v_mul_f32_e32 v140, 0x41000000, v3
	v_and_b32_e32 v3, 0xf0f0f0f, v130
	v_lshrrev_b32_e32 v5, 4, v130
	v_mov_b32_e32 v7, 0
	v_and_b32_e32 v5, 0xf0f0f0f, v5
	s_waitcnt lgkmcnt(1)
	v_dot4c_i32_i8_e32 v7, v3, v76
	s_waitcnt lgkmcnt(0)
	v_dot4c_i32_i8_e32 v7, v5, v122
	v_and_b32_e32 v3, 0xf0f0f0f, v131
	v_lshrrev_b32_e32 v5, 4, v131
	v_and_b32_e32 v5, 0xf0f0f0f, v5
	v_dot4c_i32_i8_e32 v7, v3, v77
	v_dot4c_i32_i8_e32 v7, v5, v123
	v_and_b32_e32 v3, 0xf0f0f0f, v134
	v_lshrrev_b32_e32 v5, 4, v134
	v_and_b32_e32 v5, 0xf0f0f0f, v5
	v_dot4c_i32_i8_e32 v7, v3, v78
	;; [unrolled: 5-line block ×3, first 2 shown]
	v_dot4c_i32_i8_e32 v7, v5, v125
	v_and_b32_e32 v3, 0xf0f0f0f, v126
	v_lshrrev_b32_e32 v5, 4, v126
	v_mov_b32_e32 v129, 0
	v_cvt_f32_f16_sdwa v70, v2 dst_sel:DWORD dst_unused:UNUSED_PAD src0_sel:WORD_1
	v_and_b32_e32 v5, 0xf0f0f0f, v5
	v_dot4c_i32_i8_e32 v129, v3, v76
	v_cvt_f32_f16_e32 v2, v2
	v_dot4c_i32_i8_e32 v129, v5, v122
	v_and_b32_e32 v3, 0xf0f0f0f, v127
	v_lshrrev_b32_e32 v5, 4, v127
	v_cvt_f32_i32_e32 v127, v121
	v_cvt_f32_i32_e32 v126, v80
	v_and_b32_e32 v5, 0xf0f0f0f, v5
	v_dot4c_i32_i8_e32 v129, v3, v77
	v_dot4c_i32_i8_e32 v129, v5, v123
	v_and_b32_e32 v3, 0xf0f0f0f, v136
	v_mul_f32_e32 v70, 0x41000000, v70
	v_dot4c_i32_i8_e32 v129, v3, v78
	v_and_b32_e32 v3, 0xf0f0f0f, v137
	v_lshrrev_b32_e32 v5, 4, v136
	v_pk_fma_f32 v[126:127], v[2:3], v[126:127], v[70:71] op_sel_hi:[0,1,0] neg_lo:[0,0,1] neg_hi:[0,0,1]
	v_mov_b32_e32 v130, v132
	v_mov_b32_e32 v131, v74
	v_cvt_f32_i32_e32 v135, v83
	v_cvt_f32_i32_e32 v134, v17
	v_cvt_f32_f16_e32 v4, v4
	v_and_b32_e32 v5, 0xf0f0f0f, v5
	v_pk_fma_f32 v[60:61], v[130:131], v[126:127], v[60:61]
	v_cvt_f32_i32_e32 v127, v143
	v_cvt_f32_i32_e32 v126, v15
	v_dot4c_i32_i8_e32 v129, v5, v124
	v_lshrrev_b32_e32 v5, 4, v137
	v_mul_f32_e32 v16, 0x41000000, v16
	v_and_b32_e32 v5, 0xf0f0f0f, v5
	v_dot4c_i32_i8_e32 v129, v3, v79
	v_dot4c_i32_i8_e32 v129, v5, v125
	v_pk_fma_f32 v[130:131], v[14:15], v[134:135], v[16:17] op_sel_hi:[0,1,0] neg_lo:[0,0,1] neg_hi:[0,0,1]
	v_mov_b32_e32 v74, v133
	v_pk_fma_f32 v[60:61], v[74:75], v[130:131], v[60:61]
	v_pk_fma_f32 v[74:75], v[4:5], v[126:127], v[6:7] op_sel_hi:[0,1,0] neg_lo:[0,0,1] neg_hi:[0,0,1]
	v_cvt_f32_i32_e32 v127, v129
	v_cvt_f32_i32_e32 v126, v7
	v_and_b32_e32 v3, 0xf0f0f0f, v138
	v_lshrrev_b32_e32 v5, 4, v138
	v_mov_b32_e32 v17, 0
	v_and_b32_e32 v5, 0xf0f0f0f, v5
	v_dot4c_i32_i8_e32 v17, v3, v76
	v_mov_b32_e32 v130, v20
	v_mov_b32_e32 v131, v18
	v_dot4c_i32_i8_e32 v17, v5, v122
	v_and_b32_e32 v3, 0xf0f0f0f, v139
	v_pk_fma_f32 v[60:61], v[130:131], v[74:75], v[60:61]
	v_pk_fma_f32 v[74:75], v[128:129], v[126:127], v[140:141] op_sel_hi:[0,1,0] neg_lo:[0,0,1] neg_hi:[0,0,1]
	v_mov_b32_e32 v18, v21
	v_dot4c_i32_i8_e32 v17, v3, v77
	v_add_u32_e32 v3, 0x2178, v105
	v_pk_fma_f32 v[60:61], v[18:19], v[74:75], v[60:61]
	ds_read2_b32 v[18:19], v3 offset1:1
	v_lshrrev_b32_e32 v5, 4, v139
	v_and_b32_e32 v5, 0xf0f0f0f, v5
	v_dot4c_i32_i8_e32 v17, v5, v123
	v_add_u32_e32 v3, 0x31f0, v105
	v_add_u32_e32 v5, 0x31f8, v105
	ds_read2_b32 v[20:21], v3 offset1:1
	ds_read2_b32 v[74:75], v5 offset1:1
	s_waitcnt lgkmcnt(2)
	v_and_b32_e32 v3, 0xf0f0f0f, v18
	v_lshrrev_b32_e32 v5, 4, v18
	v_and_b32_e32 v5, 0xf0f0f0f, v5
	v_dot4c_i32_i8_e32 v17, v3, v78
	v_dot4c_i32_i8_e32 v17, v5, v124
	v_and_b32_e32 v3, 0xf0f0f0f, v19
	v_lshrrev_b32_e32 v5, 4, v19
	v_and_b32_e32 v5, 0xf0f0f0f, v5
	v_dot4c_i32_i8_e32 v17, v3, v79
	v_dot4c_i32_i8_e32 v17, v5, v125
	s_waitcnt lgkmcnt(1)
	v_and_b32_e32 v3, 0xf0f0f0f, v20
	v_lshrrev_b32_e32 v5, 4, v20
	v_mov_b32_e32 v7, 0
	v_and_b32_e32 v5, 0xf0f0f0f, v5
	v_dot4c_i32_i8_e32 v7, v3, v76
	v_dot4c_i32_i8_e32 v7, v5, v122
	v_and_b32_e32 v3, 0xf0f0f0f, v21
	v_lshrrev_b32_e32 v5, 4, v21
	v_and_b32_e32 v5, 0xf0f0f0f, v5
	v_dot4c_i32_i8_e32 v7, v3, v77
	v_cvt_f32_i32_e32 v19, v82
	v_cvt_f32_i32_e32 v18, v81
	v_dot4c_i32_i8_e32 v7, v5, v123
	s_waitcnt lgkmcnt(0)
	v_and_b32_e32 v3, 0xf0f0f0f, v74
	v_lshrrev_b32_e32 v5, 4, v74
	v_and_b32_e32 v5, 0xf0f0f0f, v5
	v_dot4c_i32_i8_e32 v7, v3, v78
	v_dot4c_i32_i8_e32 v7, v5, v124
	v_and_b32_e32 v3, 0xf0f0f0f, v75
	v_dot4c_i32_i8_e32 v7, v3, v79
	v_pk_fma_f32 v[2:3], v[2:3], v[18:19], v[70:71] op_sel_hi:[0,1,0] neg_lo:[0,0,1] neg_hi:[0,0,1]
	v_mov_b32_e32 v18, v8
	v_mov_b32_e32 v19, v12
	v_pk_fma_f32 v[2:3], v[18:19], v[2:3], v[54:55]
	v_cvt_f32_i32_e32 v19, v145
	v_cvt_f32_i32_e32 v18, v144
	v_lshrrev_b32_e32 v5, 4, v75
	v_and_b32_e32 v5, 0xf0f0f0f, v5
	v_cvt_f32_i32_e32 v21, v142
	v_cvt_f32_i32_e32 v20, v141
	v_dot4c_i32_i8_e32 v7, v5, v125
	v_mov_b32_e32 v12, v9
	v_mov_b32_e32 v8, v10
	v_pk_fma_f32 v[14:15], v[14:15], v[20:21], v[16:17] op_sel_hi:[0,1,0] neg_lo:[0,0,1] neg_hi:[0,0,1]
	v_pk_fma_f32 v[4:5], v[4:5], v[18:19], v[6:7] op_sel_hi:[0,1,0] neg_lo:[0,0,1] neg_hi:[0,0,1]
	v_cvt_f32_i32_e32 v7, v7
	v_cvt_f32_i32_e32 v6, v17
	v_pk_fma_f32 v[2:3], v[12:13], v[14:15], v[2:3]
	v_mov_b32_e32 v9, v72
	v_pk_fma_f32 v[2:3], v[8:9], v[4:5], v[2:3]
	v_pk_fma_f32 v[4:5], v[128:129], v[6:7], v[140:141] op_sel_hi:[0,1,0] neg_lo:[0,0,1] neg_hi:[0,0,1]
	v_mov_b32_e32 v72, v11
	v_pk_fma_f32 v[54:55], v[72:73], v[4:5], v[2:3]
	s_barrier
.LBB217_5:                              ;   in Loop: Header=BB217_6 Depth=1
	v_add_co_u32_e32 v24, vcc, 0x120, v24
	v_addc_co_u32_e32 v25, vcc, 0, v25, vcc
	v_add_co_u32_e32 v26, vcc, 0x90, v26
	v_addc_co_u32_e32 v1, vcc, 0, v1, vcc
	;; [unrolled: 2-line block ×20, first 2 shown]
	s_add_i32 s18, s18, 8
	s_addk_i32 s19, 0x100
	v_add_co_u32_e32 v68, vcc, 0x90, v68
	s_cmp_ge_i32 s18, s17
	v_addc_co_u32_e32 v67, vcc, 0, v67, vcc
	s_cbranch_scc1 .LBB217_19
.LBB217_6:                              ; =>This Inner Loop Header: Depth=1
	v_add_co_u32_e32 v2, vcc, s14, v26
	v_addc_co_u32_e32 v3, vcc, v1, v118, vcc
	global_load_dword v4, v[2:3], off
	v_add_co_u32_e32 v2, vcc, s14, v28
	v_addc_co_u32_e32 v3, vcc, v27, v118, vcc
	global_load_dword v5, v[2:3], off
	;; [unrolled: 3-line block ×16, first 2 shown]
	v_add_co_u32_e32 v2, vcc, s14, v62
	v_addc_co_u32_e32 v3, vcc, v59, v118, vcc
	global_load_ushort v20, v[2:3], off
	v_add_co_u32_e32 v2, vcc, s14, v64
	v_addc_co_u32_e32 v3, vcc, v63, v118, vcc
	global_load_ushort v21, v[2:3], off
	;; [unrolled: 3-line block ×4, first 2 shown]
	s_waitcnt vmcnt(19)
	ds_write_b32 v84, v4
	s_waitcnt vmcnt(18)
	ds_write_b32 v85, v5
	;; [unrolled: 2-line block ×15, first 2 shown]
	s_add_i32 s4, s19, 0xffffff80
	s_cmp_lt_i32 s4, s15
	s_waitcnt vmcnt(4)
	ds_write_b32 v99, v19
	s_waitcnt vmcnt(3)
	v_cvt_f32_f16_e32 v3, v20
	s_waitcnt vmcnt(2)
	v_cvt_f32_f16_e32 v4, v21
	ds_write_b32 v114, v3
	ds_write_b32 v115, v4
	s_waitcnt vmcnt(1)
	v_cvt_f32_f16_e32 v5, v70
	ds_write_b32 v116, v5
	s_waitcnt vmcnt(0)
	v_cvt_f32_f16_e32 v2, v2
	ds_write_b32 v117, v2
	s_cbranch_scc0 .LBB217_5
; %bb.7:                                ;   in Loop: Header=BB217_6 Depth=1
	v_add_u32_e32 v2, s18, v100
	v_cmp_gt_i32_e32 vcc, s9, v2
	s_and_b64 s[20:21], s[2:3], vcc
	s_and_saveexec_b64 s[4:5], s[20:21]
	s_cbranch_execz .LBB217_9
; %bb.8:                                ;   in Loop: Header=BB217_6 Depth=1
	v_add_u32_e32 v2, s18, v113
	v_mad_i64_i32 v[2:3], s[20:21], v2, 36, v[22:23]
	global_load_dword v2, v[2:3], off offset:4
	s_waitcnt vmcnt(0)
	ds_write_b32 v101, v2
.LBB217_9:                              ;   in Loop: Header=BB217_6 Depth=1
	s_or_b64 exec, exec, s[4:5]
	s_and_saveexec_b64 s[4:5], s[0:1]
	s_cbranch_execz .LBB217_12
; %bb.10:                               ;   in Loop: Header=BB217_6 Depth=1
	v_add_u32_e32 v2, s18, v71
	v_cmp_gt_i32_e32 vcc, s9, v2
	s_and_b64 s[20:21], s[2:3], vcc
	s_and_b64 exec, exec, s[20:21]
	s_cbranch_execz .LBB217_12
; %bb.11:                               ;   in Loop: Header=BB217_6 Depth=1
	v_add_u32_e32 v2, s18, v111
	v_mad_i64_i32 v[2:3], s[20:21], v2, 36, s[6:7]
	global_load_dword v2, v[2:3], off
	s_waitcnt vmcnt(0)
	ds_write_b32 v102, v2
.LBB217_12:                             ;   in Loop: Header=BB217_6 Depth=1
	s_or_b64 exec, exec, s[4:5]
	s_waitcnt lgkmcnt(0)
	s_barrier
	ds_read_b128 v[2:5], v104
	ds_read_b128 v[14:17], v103
	ds_read_b128 v[18:21], v103 offset:16
	ds_read2_b32 v[72:73], v105 offset1:1
	v_mov_b32_e32 v121, 0
	ds_read_b128 v[6:9], v103 offset:32
	ds_read_b128 v[10:13], v103 offset:48
	v_mov_b32_e32 v126, 0
	v_add_u32_e32 v122, 0x2108, v105
	s_waitcnt lgkmcnt(2)
	v_and_b32_e32 v74, 0xf0f0f0f, v72
	v_lshrrev_b32_e32 v72, 4, v72
	v_and_b32_e32 v72, 0xf0f0f0f, v72
	v_dot4c_i32_i8_e32 v121, v74, v14
	v_dot4c_i32_i8_e32 v121, v72, v18
	v_and_b32_e32 v72, 0xf0f0f0f, v73
	v_lshrrev_b32_e32 v73, 4, v73
	v_and_b32_e32 v74, 0xf0f0f0f, v73
	v_dot4c_i32_i8_e32 v121, v72, v15
	ds_read2_b32 v[72:73], v105 offset0:2 offset1:3
	v_dot4c_i32_i8_e32 v121, v74, v19
	ds_read2_b32 v[76:77], v105 offset0:4 offset1:5
	ds_read2_b32 v[78:79], v105 offset0:6 offset1:7
	;; [unrolled: 1-line block ×3, first 2 shown]
	v_add_u32_e32 v124, 0x3180, v105
	v_mov_b32_e32 v143, 0
	s_waitcnt lgkmcnt(3)
	v_and_b32_e32 v74, 0xf0f0f0f, v72
	v_dot4c_i32_i8_e32 v121, v74, v16
	ds_read2_b32 v[74:75], v119 offset1:1
	v_lshrrev_b32_e32 v72, 4, v72
	v_and_b32_e32 v72, 0xf0f0f0f, v72
	v_dot4c_i32_i8_e32 v121, v72, v20
	v_and_b32_e32 v72, 0xf0f0f0f, v73
	v_lshrrev_b32_e32 v73, 4, v73
	v_and_b32_e32 v73, 0xf0f0f0f, v73
	v_dot4c_i32_i8_e32 v121, v72, v17
	v_dot4c_i32_i8_e32 v121, v73, v21
	ds_read2_b32 v[72:73], v109 offset0:2 offset1:3
	s_waitcnt lgkmcnt(1)
	v_and_b32_e32 v82, 0xf0f0f0f, v74
	v_lshrrev_b32_e32 v74, 4, v74
	v_and_b32_e32 v74, 0xf0f0f0f, v74
	v_dot4c_i32_i8_e32 v126, v82, v14
	v_dot4c_i32_i8_e32 v126, v74, v18
	v_and_b32_e32 v74, 0xf0f0f0f, v75
	v_lshrrev_b32_e32 v75, 4, v75
	v_and_b32_e32 v75, 0xf0f0f0f, v75
	v_dot4c_i32_i8_e32 v126, v74, v15
	v_dot4c_i32_i8_e32 v126, v75, v19
	ds_read2_b32 v[74:75], v120 offset1:1
	v_add_u32_e32 v82, 0x2100, v105
	ds_read2_b32 v[82:83], v82 offset1:1
	ds_read2_b32 v[122:123], v122 offset1:1
	;; [unrolled: 1-line block ×3, first 2 shown]
	v_cvt_f32_f16_e32 v142, v5
	v_cvt_f32_f16_sdwa v70, v2 dst_sel:DWORD dst_unused:UNUSED_PAD src0_sel:WORD_1
	s_waitcnt lgkmcnt(3)
	v_and_b32_e32 v127, 0xf0f0f0f, v74
	v_lshrrev_b32_e32 v74, 4, v74
	v_and_b32_e32 v74, 0xf0f0f0f, v74
	v_dot4c_i32_i8_e32 v126, v127, v16
	v_dot4c_i32_i8_e32 v126, v74, v20
	v_and_b32_e32 v74, 0xf0f0f0f, v75
	v_lshrrev_b32_e32 v75, 4, v75
	v_and_b32_e32 v75, 0xf0f0f0f, v75
	v_dot4c_i32_i8_e32 v126, v74, v17
	v_dot4c_i32_i8_e32 v126, v75, v21
	v_cvt_f32_i32_e32 v74, v121
	s_waitcnt lgkmcnt(2)
	v_and_b32_e32 v121, 0xf0f0f0f, v82
	v_lshrrev_b32_e32 v82, 4, v82
	v_cvt_f32_i32_e32 v75, v126
	v_mov_b32_e32 v126, 0
	v_and_b32_e32 v82, 0xf0f0f0f, v82
	v_dot4c_i32_i8_e32 v126, v121, v14
	v_dot4c_i32_i8_e32 v126, v82, v18
	v_and_b32_e32 v82, 0xf0f0f0f, v83
	v_lshrrev_b32_e32 v83, 4, v83
	v_and_b32_e32 v83, 0xf0f0f0f, v83
	v_dot4c_i32_i8_e32 v126, v82, v15
	v_dot4c_i32_i8_e32 v126, v83, v19
	s_waitcnt lgkmcnt(1)
	v_and_b32_e32 v82, 0xf0f0f0f, v122
	v_lshrrev_b32_e32 v83, 4, v122
	v_and_b32_e32 v83, 0xf0f0f0f, v83
	v_dot4c_i32_i8_e32 v126, v82, v16
	v_dot4c_i32_i8_e32 v126, v83, v20
	v_and_b32_e32 v82, 0xf0f0f0f, v123
	v_lshrrev_b32_e32 v83, 4, v123
	v_and_b32_e32 v83, 0xf0f0f0f, v83
	v_dot4c_i32_i8_e32 v126, v82, v17
	v_dot4c_i32_i8_e32 v126, v83, v21
	s_waitcnt lgkmcnt(0)
	v_and_b32_e32 v82, 0xf0f0f0f, v124
	v_lshrrev_b32_e32 v83, 4, v124
	v_mov_b32_e32 v121, 0
	v_and_b32_e32 v83, 0xf0f0f0f, v83
	v_dot4c_i32_i8_e32 v121, v82, v14
	v_dot4c_i32_i8_e32 v121, v83, v18
	v_and_b32_e32 v14, 0xf0f0f0f, v125
	v_dot4c_i32_i8_e32 v121, v14, v15
	v_add_u32_e32 v14, 0x3188, v105
	ds_read2_b32 v[14:15], v14 offset1:1
	v_lshrrev_b32_e32 v18, 4, v125
	v_and_b32_e32 v18, 0xf0f0f0f, v18
	v_dot4c_i32_i8_e32 v121, v18, v19
	v_add_u32_e32 v18, 0x1090, v105
	v_add_u32_e32 v124, 0x2110, v105
	;; [unrolled: 1-line block ×3, first 2 shown]
	ds_read2_b32 v[82:83], v18 offset1:1
	ds_read2_b32 v[122:123], v19 offset1:1
	;; [unrolled: 1-line block ×3, first 2 shown]
	s_waitcnt lgkmcnt(3)
	v_and_b32_e32 v18, 0xf0f0f0f, v14
	v_lshrrev_b32_e32 v14, 4, v14
	v_and_b32_e32 v14, 0xf0f0f0f, v14
	v_dot4c_i32_i8_e32 v121, v18, v16
	v_dot4c_i32_i8_e32 v121, v14, v20
	v_and_b32_e32 v14, 0xf0f0f0f, v15
	v_lshrrev_b32_e32 v15, 4, v15
	v_and_b32_e32 v15, 0xf0f0f0f, v15
	v_dot4c_i32_i8_e32 v121, v14, v17
	v_dot4c_i32_i8_e32 v121, v15, v21
	v_cvt_f32_f16_sdwa v15, v3 dst_sel:DWORD dst_unused:UNUSED_PAD src0_sel:WORD_1
	v_cvt_f32_f16_e32 v14, v3
	v_and_b32_e32 v3, 0xf0f0f0f, v76
	v_mov_b32_e32 v17, 0
	v_mul_f32_e32 v16, 0x41000000, v15
	v_lshrrev_b32_e32 v15, 4, v76
	v_and_b32_e32 v15, 0xf0f0f0f, v15
	v_dot4c_i32_i8_e32 v17, v3, v6
	v_dot4c_i32_i8_e32 v17, v15, v10
	v_and_b32_e32 v3, 0xf0f0f0f, v77
	v_lshrrev_b32_e32 v15, 4, v77
	v_and_b32_e32 v15, 0xf0f0f0f, v15
	v_dot4c_i32_i8_e32 v17, v3, v7
	v_dot4c_i32_i8_e32 v17, v15, v11
	v_and_b32_e32 v3, 0xf0f0f0f, v78
	;; [unrolled: 5-line block ×3, first 2 shown]
	v_lshrrev_b32_e32 v15, 4, v79
	v_and_b32_e32 v15, 0xf0f0f0f, v15
	v_dot4c_i32_i8_e32 v17, v3, v9
	v_dot4c_i32_i8_e32 v17, v15, v13
	s_waitcnt lgkmcnt(2)
	v_and_b32_e32 v3, 0xf0f0f0f, v82
	v_lshrrev_b32_e32 v15, 4, v82
	v_mov_b32_e32 v20, 0
	v_and_b32_e32 v15, 0xf0f0f0f, v15
	v_dot4c_i32_i8_e32 v20, v3, v6
	v_dot4c_i32_i8_e32 v20, v15, v10
	v_and_b32_e32 v3, 0xf0f0f0f, v83
	v_lshrrev_b32_e32 v15, 4, v83
	v_and_b32_e32 v15, 0xf0f0f0f, v15
	v_dot4c_i32_i8_e32 v20, v3, v7
	v_dot4c_i32_i8_e32 v20, v15, v11
	s_waitcnt lgkmcnt(1)
	v_and_b32_e32 v3, 0xf0f0f0f, v122
	v_lshrrev_b32_e32 v15, 4, v122
	v_and_b32_e32 v15, 0xf0f0f0f, v15
	v_dot4c_i32_i8_e32 v20, v3, v8
	v_dot4c_i32_i8_e32 v20, v15, v12
	v_and_b32_e32 v3, 0xf0f0f0f, v123
	v_lshrrev_b32_e32 v15, 4, v123
	v_and_b32_e32 v15, 0xf0f0f0f, v15
	v_dot4c_i32_i8_e32 v20, v3, v9
	v_dot4c_i32_i8_e32 v20, v15, v13
	s_waitcnt lgkmcnt(0)
	v_and_b32_e32 v3, 0xf0f0f0f, v124
	v_lshrrev_b32_e32 v15, 4, v124
	v_and_b32_e32 v15, 0xf0f0f0f, v15
	v_cvt_f32_i32_e32 v21, v20
	v_cvt_f32_i32_e32 v20, v17
	v_mov_b32_e32 v17, 0
	v_dot4c_i32_i8_e32 v17, v3, v6
	v_dot4c_i32_i8_e32 v17, v15, v10
	v_and_b32_e32 v3, 0xf0f0f0f, v125
	v_dot4c_i32_i8_e32 v17, v3, v7
	v_add_u32_e32 v3, 0x2118, v105
	ds_read2_b32 v[76:77], v3 offset1:1
	v_lshrrev_b32_e32 v15, 4, v125
	v_and_b32_e32 v15, 0xf0f0f0f, v15
	v_dot4c_i32_i8_e32 v17, v15, v11
	v_add_u32_e32 v15, 0x3190, v105
	v_add_u32_e32 v82, 0x3198, v105
	;; [unrolled: 1-line block ×3, first 2 shown]
	ds_read2_b32 v[78:79], v15 offset1:1
	ds_read2_b32 v[82:83], v82 offset1:1
	;; [unrolled: 1-line block ×3, first 2 shown]
	s_waitcnt lgkmcnt(3)
	v_and_b32_e32 v3, 0xf0f0f0f, v76
	v_lshrrev_b32_e32 v15, 4, v76
	v_and_b32_e32 v15, 0xf0f0f0f, v15
	v_dot4c_i32_i8_e32 v17, v3, v8
	v_dot4c_i32_i8_e32 v17, v15, v12
	v_and_b32_e32 v3, 0xf0f0f0f, v77
	v_lshrrev_b32_e32 v15, 4, v77
	v_and_b32_e32 v15, 0xf0f0f0f, v15
	v_dot4c_i32_i8_e32 v17, v3, v9
	v_dot4c_i32_i8_e32 v17, v15, v13
	s_waitcnt lgkmcnt(2)
	v_and_b32_e32 v3, 0xf0f0f0f, v78
	v_lshrrev_b32_e32 v15, 4, v78
	v_mov_b32_e32 v76, 0
	v_and_b32_e32 v15, 0xf0f0f0f, v15
	v_dot4c_i32_i8_e32 v76, v3, v6
	v_dot4c_i32_i8_e32 v76, v15, v10
	v_and_b32_e32 v3, 0xf0f0f0f, v79
	v_lshrrev_b32_e32 v6, 4, v79
	v_and_b32_e32 v6, 0xf0f0f0f, v6
	v_dot4c_i32_i8_e32 v76, v3, v7
	v_dot4c_i32_i8_e32 v76, v6, v11
	s_waitcnt lgkmcnt(1)
	v_and_b32_e32 v3, 0xf0f0f0f, v82
	v_lshrrev_b32_e32 v6, 4, v82
	v_and_b32_e32 v6, 0xf0f0f0f, v6
	v_dot4c_i32_i8_e32 v76, v3, v8
	v_dot4c_i32_i8_e32 v76, v6, v12
	v_and_b32_e32 v3, 0xf0f0f0f, v83
	v_lshrrev_b32_e32 v6, 4, v83
	v_dot4c_i32_i8_e32 v76, v3, v9
	v_cvt_f32_f16_sdwa v3, v4 dst_sel:DWORD dst_unused:UNUSED_PAD src0_sel:WORD_1
	v_cvt_f32_i32_e32 v18, v126
	v_and_b32_e32 v6, 0xf0f0f0f, v6
	ds_read_b128 v[122:125], v103 offset:64
	ds_read_b128 v[126:129], v103 offset:80
	v_dot4c_i32_i8_e32 v76, v6, v13
	v_mul_f32_e32 v8, 0x41000000, v3
	v_and_b32_e32 v3, 0xf0f0f0f, v80
	v_lshrrev_b32_e32 v9, 4, v80
	v_cvt_f32_i32_e32 v7, v76
	ds_read2_b32 v[10:11], v108 offset1:1
	ds_read2_b32 v[76:77], v107 offset0:2 offset1:3
	ds_read2_b32 v[82:83], v107 offset1:1
	ds_read2_b32 v[78:79], v106 offset0:2 offset1:3
	ds_read2_b32 v[12:13], v105 offset0:10 offset1:11
	v_mov_b32_e32 v15, 0
	v_and_b32_e32 v9, 0xf0f0f0f, v9
	s_waitcnt lgkmcnt(6)
	v_dot4c_i32_i8_e32 v15, v3, v122
	s_waitcnt lgkmcnt(5)
	v_dot4c_i32_i8_e32 v15, v9, v126
	v_and_b32_e32 v3, 0xf0f0f0f, v81
	v_lshrrev_b32_e32 v9, 4, v81
	v_and_b32_e32 v9, 0xf0f0f0f, v9
	v_dot4c_i32_i8_e32 v15, v3, v123
	v_dot4c_i32_i8_e32 v15, v9, v127
	s_waitcnt lgkmcnt(0)
	v_and_b32_e32 v3, 0xf0f0f0f, v12
	v_lshrrev_b32_e32 v9, 4, v12
	v_and_b32_e32 v9, 0xf0f0f0f, v9
	v_dot4c_i32_i8_e32 v15, v3, v124
	v_dot4c_i32_i8_e32 v15, v9, v128
	v_and_b32_e32 v3, 0xf0f0f0f, v13
	v_lshrrev_b32_e32 v9, 4, v13
	v_and_b32_e32 v9, 0xf0f0f0f, v9
	v_dot4c_i32_i8_e32 v15, v3, v125
	v_cvt_f32_i32_e32 v6, v17
	v_dot4c_i32_i8_e32 v15, v9, v129
	v_and_b32_e32 v3, 0xf0f0f0f, v130
	v_lshrrev_b32_e32 v9, 4, v130
	v_mov_b32_e32 v17, 0
	v_and_b32_e32 v9, 0xf0f0f0f, v9
	v_dot4c_i32_i8_e32 v17, v3, v122
	v_dot4c_i32_i8_e32 v17, v9, v126
	v_and_b32_e32 v3, 0xf0f0f0f, v131
	v_dot4c_i32_i8_e32 v17, v3, v123
	v_add_u32_e32 v3, 0x10a8, v105
	ds_read2_b32 v[132:133], v105 offset0:12 offset1:13
	ds_read2_b32 v[134:135], v106 offset1:1
	ds_read2_b32 v[136:137], v105 offset0:14 offset1:15
	ds_read2_b32 v[12:13], v3 offset1:1
	v_lshrrev_b32_e32 v9, 4, v131
	v_and_b32_e32 v9, 0xf0f0f0f, v9
	v_dot4c_i32_i8_e32 v17, v9, v127
	v_add_u32_e32 v9, 0x2120, v105
	v_add_u32_e32 v3, 0x31a0, v105
	;; [unrolled: 1-line block ×3, first 2 shown]
	ds_read2_b32 v[130:131], v9 offset1:1
	ds_read2_b32 v[138:139], v80 offset1:1
	;; [unrolled: 1-line block ×3, first 2 shown]
	s_waitcnt lgkmcnt(3)
	v_and_b32_e32 v3, 0xf0f0f0f, v12
	v_lshrrev_b32_e32 v9, 4, v12
	v_and_b32_e32 v9, 0xf0f0f0f, v9
	v_dot4c_i32_i8_e32 v17, v3, v124
	v_dot4c_i32_i8_e32 v17, v9, v128
	v_and_b32_e32 v3, 0xf0f0f0f, v13
	v_lshrrev_b32_e32 v9, 4, v13
	v_and_b32_e32 v9, 0xf0f0f0f, v9
	v_dot4c_i32_i8_e32 v17, v3, v125
	v_cvt_f32_i32_e32 v19, v121
	v_dot4c_i32_i8_e32 v17, v9, v129
	s_waitcnt lgkmcnt(2)
	v_and_b32_e32 v3, 0xf0f0f0f, v130
	v_lshrrev_b32_e32 v9, 4, v130
	v_mov_b32_e32 v121, 0
	v_and_b32_e32 v9, 0xf0f0f0f, v9
	v_dot4c_i32_i8_e32 v121, v3, v122
	v_dot4c_i32_i8_e32 v121, v9, v126
	v_and_b32_e32 v3, 0xf0f0f0f, v131
	v_lshrrev_b32_e32 v9, 4, v131
	v_and_b32_e32 v9, 0xf0f0f0f, v9
	v_dot4c_i32_i8_e32 v121, v3, v123
	v_dot4c_i32_i8_e32 v121, v9, v127
	s_waitcnt lgkmcnt(1)
	v_and_b32_e32 v3, 0xf0f0f0f, v138
	v_lshrrev_b32_e32 v9, 4, v138
	v_and_b32_e32 v9, 0xf0f0f0f, v9
	v_dot4c_i32_i8_e32 v121, v3, v124
	v_dot4c_i32_i8_e32 v121, v9, v128
	v_and_b32_e32 v3, 0xf0f0f0f, v139
	v_lshrrev_b32_e32 v9, 4, v139
	v_and_b32_e32 v9, 0xf0f0f0f, v9
	v_dot4c_i32_i8_e32 v121, v3, v125
	v_dot4c_i32_i8_e32 v121, v9, v129
	s_waitcnt lgkmcnt(0)
	v_and_b32_e32 v3, 0xf0f0f0f, v140
	v_lshrrev_b32_e32 v9, 4, v140
	v_and_b32_e32 v9, 0xf0f0f0f, v9
	v_dot4c_i32_i8_e32 v143, v3, v122
	v_dot4c_i32_i8_e32 v143, v9, v126
	v_and_b32_e32 v3, 0xf0f0f0f, v141
	v_dot4c_i32_i8_e32 v143, v3, v123
	v_add_u32_e32 v3, 0x31a8, v105
	ds_read2_b32 v[80:81], v109 offset1:1
	ds_read2_b32 v[12:13], v108 offset0:2 offset1:3
	ds_read2_b32 v[122:123], v3 offset1:1
	v_lshrrev_b32_e32 v9, 4, v141
	v_and_b32_e32 v9, 0xf0f0f0f, v9
	v_dot4c_i32_i8_e32 v143, v9, v127
	v_add_u32_e32 v9, 0x10b0, v105
	v_add_u32_e32 v3, 0x2130, v105
	;; [unrolled: 1-line block ×3, first 2 shown]
	ds_read2_b32 v[130:131], v9 offset1:1
	ds_read2_b32 v[138:139], v126 offset1:1
	;; [unrolled: 1-line block ×3, first 2 shown]
	s_waitcnt lgkmcnt(3)
	v_and_b32_e32 v3, 0xf0f0f0f, v122
	v_lshrrev_b32_e32 v9, 4, v122
	v_and_b32_e32 v9, 0xf0f0f0f, v9
	v_dot4c_i32_i8_e32 v143, v3, v124
	v_dot4c_i32_i8_e32 v143, v9, v128
	v_and_b32_e32 v3, 0xf0f0f0f, v123
	v_lshrrev_b32_e32 v9, 4, v123
	v_and_b32_e32 v9, 0xf0f0f0f, v9
	v_dot4c_i32_i8_e32 v143, v3, v125
	v_cvt_f32_f16_sdwa v3, v5 dst_sel:DWORD dst_unused:UNUSED_PAD src0_sel:WORD_1
	v_dot4c_i32_i8_e32 v143, v9, v129
	ds_read_b128 v[122:125], v103 offset:96
	ds_read_b128 v[126:129], v103 offset:112
	v_lshrrev_b32_e32 v5, 4, v132
	v_mul_f32_e32 v144, 0x41000000, v3
	v_and_b32_e32 v3, 0xf0f0f0f, v132
	v_mov_b32_e32 v9, 0
	v_and_b32_e32 v5, 0xf0f0f0f, v5
	s_waitcnt lgkmcnt(1)
	v_dot4c_i32_i8_e32 v9, v3, v122
	s_waitcnt lgkmcnt(0)
	v_dot4c_i32_i8_e32 v9, v5, v126
	v_and_b32_e32 v3, 0xf0f0f0f, v133
	v_lshrrev_b32_e32 v5, 4, v133
	v_and_b32_e32 v5, 0xf0f0f0f, v5
	v_dot4c_i32_i8_e32 v9, v3, v123
	v_dot4c_i32_i8_e32 v9, v5, v127
	v_and_b32_e32 v3, 0xf0f0f0f, v136
	v_lshrrev_b32_e32 v5, 4, v136
	v_and_b32_e32 v5, 0xf0f0f0f, v5
	v_dot4c_i32_i8_e32 v9, v3, v124
	;; [unrolled: 5-line block ×3, first 2 shown]
	v_dot4c_i32_i8_e32 v9, v5, v129
	v_and_b32_e32 v3, 0xf0f0f0f, v130
	v_lshrrev_b32_e32 v5, 4, v130
	v_mov_b32_e32 v132, 0
	v_and_b32_e32 v5, 0xf0f0f0f, v5
	v_dot4c_i32_i8_e32 v132, v3, v122
	v_cvt_f32_f16_e32 v2, v2
	v_dot4c_i32_i8_e32 v132, v5, v126
	v_and_b32_e32 v3, 0xf0f0f0f, v131
	v_lshrrev_b32_e32 v5, 4, v131
	v_and_b32_e32 v5, 0xf0f0f0f, v5
	v_dot4c_i32_i8_e32 v132, v3, v123
	v_dot4c_i32_i8_e32 v132, v5, v127
	v_and_b32_e32 v3, 0xf0f0f0f, v138
	v_mul_f32_e32 v70, 0x41000000, v70
	v_dot4c_i32_i8_e32 v132, v3, v124
	v_and_b32_e32 v3, 0xf0f0f0f, v139
	v_lshrrev_b32_e32 v5, 4, v138
	v_pk_fma_f32 v[74:75], v[2:3], v[74:75], v[70:71] op_sel_hi:[0,1,0] neg_lo:[0,0,1] neg_hi:[0,0,1]
	v_mov_b32_e32 v130, v134
	v_mov_b32_e32 v131, v82
	v_cvt_f32_f16_e32 v4, v4
	v_and_b32_e32 v5, 0xf0f0f0f, v5
	v_pk_fma_f32 v[60:61], v[130:131], v[74:75], v[60:61]
	v_cvt_f32_i32_e32 v75, v17
	v_cvt_f32_i32_e32 v74, v15
	v_dot4c_i32_i8_e32 v132, v5, v128
	v_lshrrev_b32_e32 v5, 4, v139
	v_and_b32_e32 v5, 0xf0f0f0f, v5
	v_dot4c_i32_i8_e32 v132, v3, v125
	v_dot4c_i32_i8_e32 v132, v5, v129
	v_pk_fma_f32 v[20:21], v[14:15], v[20:21], v[16:17] op_sel_hi:[0,1,0] neg_lo:[0,0,1] neg_hi:[0,0,1]
	v_mov_b32_e32 v82, v135
	v_pk_fma_f32 v[20:21], v[82:83], v[20:21], v[60:61]
	v_pk_fma_f32 v[60:61], v[4:5], v[74:75], v[8:9] op_sel_hi:[0,1,0] neg_lo:[0,0,1] neg_hi:[0,0,1]
	v_cvt_f32_i32_e32 v75, v132
	v_cvt_f32_i32_e32 v74, v9
	v_and_b32_e32 v3, 0xf0f0f0f, v140
	v_lshrrev_b32_e32 v5, 4, v140
	v_mov_b32_e32 v9, 0
	v_and_b32_e32 v5, 0xf0f0f0f, v5
	v_dot4c_i32_i8_e32 v9, v3, v122
	v_mov_b32_e32 v82, v78
	v_mov_b32_e32 v83, v76
	v_dot4c_i32_i8_e32 v9, v5, v126
	v_and_b32_e32 v3, 0xf0f0f0f, v141
	v_pk_fma_f32 v[20:21], v[82:83], v[60:61], v[20:21]
	v_pk_fma_f32 v[60:61], v[142:143], v[74:75], v[144:145] op_sel_hi:[0,1,0] neg_lo:[0,0,1] neg_hi:[0,0,1]
	v_mov_b32_e32 v76, v79
	v_dot4c_i32_i8_e32 v9, v3, v123
	v_add_u32_e32 v3, 0x2138, v105
	v_pk_fma_f32 v[60:61], v[76:77], v[60:61], v[20:21]
	ds_read2_b32 v[20:21], v3 offset1:1
	v_lshrrev_b32_e32 v5, 4, v141
	v_and_b32_e32 v5, 0xf0f0f0f, v5
	v_dot4c_i32_i8_e32 v9, v5, v127
	v_add_u32_e32 v3, 0x31b0, v105
	v_add_u32_e32 v5, 0x31b8, v105
	ds_read2_b32 v[74:75], v3 offset1:1
	ds_read2_b32 v[76:77], v5 offset1:1
	s_waitcnt lgkmcnt(2)
	v_and_b32_e32 v3, 0xf0f0f0f, v20
	v_lshrrev_b32_e32 v5, 4, v20
	v_and_b32_e32 v5, 0xf0f0f0f, v5
	v_dot4c_i32_i8_e32 v9, v3, v124
	v_dot4c_i32_i8_e32 v9, v5, v128
	v_and_b32_e32 v3, 0xf0f0f0f, v21
	v_lshrrev_b32_e32 v5, 4, v21
	v_and_b32_e32 v5, 0xf0f0f0f, v5
	v_dot4c_i32_i8_e32 v9, v3, v125
	v_dot4c_i32_i8_e32 v9, v5, v129
	s_waitcnt lgkmcnt(1)
	v_and_b32_e32 v3, 0xf0f0f0f, v74
	v_lshrrev_b32_e32 v5, 4, v74
	v_mov_b32_e32 v15, 0
	v_and_b32_e32 v5, 0xf0f0f0f, v5
	v_dot4c_i32_i8_e32 v15, v3, v122
	v_dot4c_i32_i8_e32 v15, v5, v126
	v_and_b32_e32 v3, 0xf0f0f0f, v75
	v_lshrrev_b32_e32 v5, 4, v75
	v_and_b32_e32 v5, 0xf0f0f0f, v5
	v_dot4c_i32_i8_e32 v15, v3, v123
	v_dot4c_i32_i8_e32 v15, v5, v127
	s_waitcnt lgkmcnt(0)
	v_and_b32_e32 v3, 0xf0f0f0f, v76
	v_lshrrev_b32_e32 v5, 4, v76
	v_and_b32_e32 v5, 0xf0f0f0f, v5
	v_dot4c_i32_i8_e32 v15, v3, v124
	v_dot4c_i32_i8_e32 v15, v5, v128
	v_and_b32_e32 v3, 0xf0f0f0f, v77
	v_lshrrev_b32_e32 v5, 4, v77
	v_and_b32_e32 v5, 0xf0f0f0f, v5
	v_dot4c_i32_i8_e32 v15, v3, v125
	v_dot4c_i32_i8_e32 v15, v5, v129
	v_pk_fma_f32 v[2:3], v[2:3], v[18:19], v[70:71] op_sel_hi:[0,1,0] neg_lo:[0,0,1] neg_hi:[0,0,1]
	v_mov_b32_e32 v18, v10
	v_mov_b32_e32 v19, v80
	v_pk_fma_f32 v[2:3], v[18:19], v[2:3], v[54:55]
	v_cvt_f32_i32_e32 v19, v143
	v_cvt_f32_i32_e32 v18, v121
	v_pk_fma_f32 v[6:7], v[14:15], v[6:7], v[16:17] op_sel_hi:[0,1,0] neg_lo:[0,0,1] neg_hi:[0,0,1]
	v_mov_b32_e32 v80, v11
	v_pk_fma_f32 v[2:3], v[80:81], v[6:7], v[2:3]
	v_cvt_f32_i32_e32 v7, v15
	v_cvt_f32_i32_e32 v6, v9
	v_pk_fma_f32 v[4:5], v[4:5], v[18:19], v[8:9] op_sel_hi:[0,1,0] neg_lo:[0,0,1] neg_hi:[0,0,1]
	v_mov_b32_e32 v8, v12
	v_mov_b32_e32 v9, v72
	v_pk_fma_f32 v[2:3], v[8:9], v[4:5], v[2:3]
	v_pk_fma_f32 v[4:5], v[142:143], v[6:7], v[144:145] op_sel_hi:[0,1,0] neg_lo:[0,0,1] neg_hi:[0,0,1]
	v_mov_b32_e32 v72, v13
	v_pk_fma_f32 v[54:55], v[72:73], v[4:5], v[2:3]
	s_cmp_ge_i32 s19, s15
	s_barrier
	s_cbranch_scc1 .LBB217_5
; %bb.13:                               ;   in Loop: Header=BB217_6 Depth=1
	v_add_u32_e32 v2, s18, v110
	v_cmp_gt_i32_e32 vcc, s9, v2
	s_and_b64 s[20:21], s[2:3], vcc
	s_and_saveexec_b64 s[4:5], s[20:21]
	s_cbranch_execz .LBB217_15
; %bb.14:                               ;   in Loop: Header=BB217_6 Depth=1
	v_add_u32_e32 v2, s18, v112
	v_mad_i64_i32 v[2:3], s[20:21], v2, 36, v[22:23]
	global_load_dword v2, v[2:3], off offset:4
	s_waitcnt vmcnt(0)
	ds_write_b32 v101, v2
.LBB217_15:                             ;   in Loop: Header=BB217_6 Depth=1
	s_or_b64 exec, exec, s[4:5]
	s_and_saveexec_b64 s[4:5], s[0:1]
	s_cbranch_execz .LBB217_4
; %bb.16:                               ;   in Loop: Header=BB217_6 Depth=1
	v_add3_u32 v2, v71, s18, 4
	v_cmp_gt_i32_e32 vcc, s9, v2
	s_and_b64 s[20:21], s[2:3], vcc
	s_and_b64 exec, exec, s[20:21]
	s_cbranch_execz .LBB217_4
; %bb.17:                               ;   in Loop: Header=BB217_6 Depth=1
	global_load_dword v2, v[24:25], off
	s_waitcnt vmcnt(0)
	ds_write_b32 v102, v2
	s_branch .LBB217_4
.LBB217_18:
	v_mov_b32_e32 v54, v55
	v_mov_b32_e32 v61, v55
	;; [unrolled: 1-line block ×3, first 2 shown]
.LBB217_19:
	s_mul_i32 s0, s11, s8
	s_waitcnt vmcnt(0)
	v_cmp_gt_i32_e32 vcc, s0, v69
	s_and_saveexec_b64 s[0:1], vcc
	s_cbranch_execz .LBB217_28
; %bb.20:
	v_and_b32_e32 v0, 0x3ff, v0
	v_add_u32_e32 v1, s16, v0
	v_mul_lo_u32 v0, v69, s10
	v_cmp_gt_u32_e32 vcc, s10, v1
	s_and_saveexec_b64 s[0:1], vcc
	s_cbranch_execz .LBB217_22
; %bb.21:
	v_bfe_u32 v2, v60, 16, 1
	s_movk_i32 s2, 0x7fff
	v_add3_u32 v2, v60, v2, s2
	v_lshrrev_b32_e32 v2, 16, v2
	v_mov_b32_e32 v3, 0x7fc0
	v_cmp_o_f32_e32 vcc, v60, v60
	v_cndmask_b32_e32 v4, v3, v2, vcc
	v_add_u32_e32 v2, v0, v1
	v_mov_b32_e32 v3, 0
	v_lshlrev_b64 v[2:3], 1, v[2:3]
	v_mov_b32_e32 v5, s13
	v_add_co_u32_e32 v2, vcc, s12, v2
	v_addc_co_u32_e32 v3, vcc, v5, v3, vcc
	global_store_short v[2:3], v4, off
.LBB217_22:
	s_or_b64 exec, exec, s[0:1]
	v_add_u32_e32 v2, 32, v1
	v_cmp_gt_u32_e32 vcc, s10, v2
	s_and_saveexec_b64 s[0:1], vcc
	s_cbranch_execz .LBB217_24
; %bb.23:
	v_bfe_u32 v3, v61, 16, 1
	s_movk_i32 s2, 0x7fff
	v_add3_u32 v3, v61, v3, s2
	v_lshrrev_b32_e32 v3, 16, v3
	v_mov_b32_e32 v4, 0x7fc0
	v_cmp_o_f32_e32 vcc, v61, v61
	v_cndmask_b32_e32 v4, v4, v3, vcc
	v_add_u32_e32 v2, v0, v2
	v_mov_b32_e32 v3, 0
	v_lshlrev_b64 v[2:3], 1, v[2:3]
	v_mov_b32_e32 v5, s13
	v_add_co_u32_e32 v2, vcc, s12, v2
	v_addc_co_u32_e32 v3, vcc, v5, v3, vcc
	global_store_short v[2:3], v4, off
.LBB217_24:
	s_or_b64 exec, exec, s[0:1]
	v_add_u32_e32 v2, 64, v1
	;; [unrolled: 21-line block ×3, first 2 shown]
	v_cmp_gt_u32_e32 vcc, s10, v1
	s_and_b64 exec, exec, vcc
	s_cbranch_execz .LBB217_28
; %bb.27:
	v_bfe_u32 v2, v55, 16, 1
	s_movk_i32 s0, 0x7fff
	v_add3_u32 v2, v55, v2, s0
	v_add_u32_e32 v0, v0, v1
	v_mov_b32_e32 v1, 0
	v_lshrrev_b32_e32 v2, 16, v2
	v_mov_b32_e32 v3, 0x7fc0
	v_cmp_o_f32_e32 vcc, v55, v55
	v_lshlrev_b64 v[0:1], 1, v[0:1]
	v_cndmask_b32_e32 v2, v3, v2, vcc
	v_mov_b32_e32 v3, s13
	v_add_co_u32_e32 v0, vcc, s12, v0
	v_addc_co_u32_e32 v1, vcc, v3, v1, vcc
	global_store_short v[0:1], v2, off
.LBB217_28:
	s_endpgm
	.section	.rodata,"a",@progbits
	.p2align	6, 0x0
	.amdhsa_kernel _ZL8moe_q4_0IN3c108BFloat16ELb0EEvPKvS3_PT_PKiS7_S7_iiiiiii
		.amdhsa_group_segment_fixed_size 22272
		.amdhsa_private_segment_fixed_size 0
		.amdhsa_kernarg_size 76
		.amdhsa_user_sgpr_count 6
		.amdhsa_user_sgpr_private_segment_buffer 1
		.amdhsa_user_sgpr_dispatch_ptr 0
		.amdhsa_user_sgpr_queue_ptr 0
		.amdhsa_user_sgpr_kernarg_segment_ptr 1
		.amdhsa_user_sgpr_dispatch_id 0
		.amdhsa_user_sgpr_flat_scratch_init 0
		.amdhsa_user_sgpr_kernarg_preload_length 0
		.amdhsa_user_sgpr_kernarg_preload_offset 0
		.amdhsa_user_sgpr_private_segment_size 0
		.amdhsa_uses_dynamic_stack 0
		.amdhsa_system_sgpr_private_segment_wavefront_offset 0
		.amdhsa_system_sgpr_workgroup_id_x 1
		.amdhsa_system_sgpr_workgroup_id_y 1
		.amdhsa_system_sgpr_workgroup_id_z 0
		.amdhsa_system_sgpr_workgroup_info 0
		.amdhsa_system_vgpr_workitem_id 1
		.amdhsa_next_free_vgpr 146
		.amdhsa_next_free_sgpr 24
		.amdhsa_accum_offset 148
		.amdhsa_reserve_vcc 1
		.amdhsa_reserve_flat_scratch 0
		.amdhsa_float_round_mode_32 0
		.amdhsa_float_round_mode_16_64 0
		.amdhsa_float_denorm_mode_32 3
		.amdhsa_float_denorm_mode_16_64 3
		.amdhsa_dx10_clamp 1
		.amdhsa_ieee_mode 1
		.amdhsa_fp16_overflow 0
		.amdhsa_tg_split 0
		.amdhsa_exception_fp_ieee_invalid_op 0
		.amdhsa_exception_fp_denorm_src 0
		.amdhsa_exception_fp_ieee_div_zero 0
		.amdhsa_exception_fp_ieee_overflow 0
		.amdhsa_exception_fp_ieee_underflow 0
		.amdhsa_exception_fp_ieee_inexact 0
		.amdhsa_exception_int_div_zero 0
	.end_amdhsa_kernel
	.section	.text._ZL8moe_q4_0IN3c108BFloat16ELb0EEvPKvS3_PT_PKiS7_S7_iiiiiii,"axG",@progbits,_ZL8moe_q4_0IN3c108BFloat16ELb0EEvPKvS3_PT_PKiS7_S7_iiiiiii,comdat
.Lfunc_end217:
	.size	_ZL8moe_q4_0IN3c108BFloat16ELb0EEvPKvS3_PT_PKiS7_S7_iiiiiii, .Lfunc_end217-_ZL8moe_q4_0IN3c108BFloat16ELb0EEvPKvS3_PT_PKiS7_S7_iiiiiii
                                        ; -- End function
	.section	.AMDGPU.csdata,"",@progbits
; Kernel info:
; codeLenInByte = 9004
; NumSgprs: 28
; NumVgprs: 146
; NumAgprs: 0
; TotalNumVgprs: 146
; ScratchSize: 0
; MemoryBound: 0
; FloatMode: 240
; IeeeMode: 1
; LDSByteSize: 22272 bytes/workgroup (compile time only)
; SGPRBlocks: 3
; VGPRBlocks: 18
; NumSGPRsForWavesPerEU: 28
; NumVGPRsForWavesPerEU: 146
; AccumOffset: 148
; Occupancy: 2
; WaveLimiterHint : 1
; COMPUTE_PGM_RSRC2:SCRATCH_EN: 0
; COMPUTE_PGM_RSRC2:USER_SGPR: 6
; COMPUTE_PGM_RSRC2:TRAP_HANDLER: 0
; COMPUTE_PGM_RSRC2:TGID_X_EN: 1
; COMPUTE_PGM_RSRC2:TGID_Y_EN: 1
; COMPUTE_PGM_RSRC2:TGID_Z_EN: 0
; COMPUTE_PGM_RSRC2:TIDIG_COMP_CNT: 1
; COMPUTE_PGM_RSRC3_GFX90A:ACCUM_OFFSET: 36
; COMPUTE_PGM_RSRC3_GFX90A:TG_SPLIT: 0
	.section	.text._ZL8moe_q4_0IN3c108BFloat16ELb1EEvPKvS3_PT_PKiS7_S7_iiiiiii,"axG",@progbits,_ZL8moe_q4_0IN3c108BFloat16ELb1EEvPKvS3_PT_PKiS7_S7_iiiiiii,comdat
	.globl	_ZL8moe_q4_0IN3c108BFloat16ELb1EEvPKvS3_PT_PKiS7_S7_iiiiiii ; -- Begin function _ZL8moe_q4_0IN3c108BFloat16ELb1EEvPKvS3_PT_PKiS7_S7_iiiiiii
	.p2align	8
	.type	_ZL8moe_q4_0IN3c108BFloat16ELb1EEvPKvS3_PT_PKiS7_S7_iiiiiii,@function
_ZL8moe_q4_0IN3c108BFloat16ELb1EEvPKvS3_PT_PKiS7_S7_iiiiiii: ; @_ZL8moe_q4_0IN3c108BFloat16ELb1EEvPKvS3_PT_PKiS7_S7_iiiiiii
; %bb.0:
	s_load_dwordx4 s[0:3], s[4:5], 0x18
	s_mov_b32 s8, s7
	s_mov_b32 s9, 0
	s_lshl_b64 s[10:11], s[8:9], 2
	s_waitcnt lgkmcnt(0)
	s_add_u32 s2, s2, s10
	s_addc_u32 s3, s3, s11
	s_load_dword s2, s[2:3], 0x0
	s_waitcnt lgkmcnt(0)
	s_cmpk_gt_u32 s2, 0xff
	s_cbranch_scc1 .LBB218_28
; %bb.1:
	s_load_dwordx2 s[10:11], s[4:5], 0x28
	s_lshl_b32 s3, s8, 3
	s_waitcnt lgkmcnt(0)
	s_load_dword s7, s[10:11], 0x0
	s_waitcnt lgkmcnt(0)
	s_cmp_gt_u32 s3, s7
	s_cbranch_scc1 .LBB218_28
; %bb.2:
	v_bfe_u32 v1, v0, 10, 10
	v_add_u32_e32 v84, s3, v1
	v_mov_b32_e32 v85, 0
	v_lshlrev_b64 v[2:3], 2, v[84:85]
	v_mov_b32_e32 v4, s1
	v_add_co_u32_e32 v2, vcc, s0, v2
	v_addc_co_u32_e32 v3, vcc, v4, v3, vcc
	global_load_dword v65, v[2:3], off
	s_load_dwordx8 s[8:15], s[4:5], 0x30
	s_load_dwordx2 s[16:17], s[4:5], 0x10
	s_waitcnt lgkmcnt(0)
	s_lshl_b32 s15, s6, 7
	s_cmp_lt_i32 s9, 32
	s_cbranch_scc1 .LBB218_18
; %bb.3:
	s_ashr_i32 s0, s9, 31
	s_lshr_b32 s0, s0, 27
	s_add_i32 s0, s9, s0
	s_ashr_i32 s18, s0, 5
	s_ashr_i32 s0, s12, 31
	s_lshr_b32 s0, s0, 27
	s_add_i32 s0, s12, s0
	s_ashr_i32 s12, s0, 5
	s_not_b32 s0, s15
	s_mul_i32 s8, s2, s8
	s_add_i32 s2, s0, s10
	v_and_b32_e32 v67, 0x3ff, v0
	v_lshlrev_b32_e32 v2, 2, v67
	v_min_i32_e32 v3, s2, v1
	s_movk_i32 s3, 0x84
	v_mul_lo_u32 v5, v3, s18
	v_mad_u64_u32 v[22:23], s[0:1], v3, s3, v[2:3]
	v_add_u32_e32 v3, 8, v1
	v_min_i32_e32 v3, s2, v3
	v_mul_lo_u32 v7, v3, s18
	v_mad_u64_u32 v[24:25], s[0:1], v3, s3, v[2:3]
	v_add_u32_e32 v3, 16, v1
	v_min_i32_e32 v3, s2, v3
	;; [unrolled: 4-line block ×15, first 2 shown]
	v_mul_lo_u32 v21, v3, s18
	v_mad_u64_u32 v[52:53], s[0:1], v3, s3, v[2:3]
	v_lshlrev_b32_e32 v3, 2, v1
	v_lshrrev_b32_e32 v69, 3, v67
	v_add_u32_e32 v23, v69, v3
	v_min_i32_e32 v25, s2, v23
	v_ashrrev_i32_e32 v27, 31, v25
	v_lshrrev_b32_e32 v27, 30, v27
	v_and_b32_e32 v63, 7, v67
	v_mul_lo_u32 v53, v25, s18
	v_add_u32_e32 v27, v25, v27
	v_lshlrev_b32_e32 v85, 5, v25
	v_add_u32_e32 v25, 32, v23
	v_and_b32_e32 v27, -4, v27
	v_lshlrev_b32_e32 v29, 2, v63
	s_movk_i32 s3, 0x4200
	v_min_i32_e32 v25, s2, v25
	v_add3_u32 v84, v27, v29, s3
	v_ashrrev_i32_e32 v27, 31, v25
	v_lshrrev_b32_e32 v27, 30, v27
	v_mul_lo_u32 v59, v25, s18
	v_add_u32_e32 v27, v25, v27
	v_lshlrev_b32_e32 v102, 5, v25
	v_add_u32_e32 v25, 64, v23
	s_load_dwordx4 s[4:7], s[4:5], 0x0
	v_and_b32_e32 v27, -4, v27
	v_min_i32_e32 v25, s2, v25
	v_add3_u32 v93, v27, v29, s3
	v_ashrrev_i32_e32 v27, 31, v25
	v_add_u32_e32 v23, 0x60, v23
	v_lshrrev_b32_e32 v27, 30, v27
	v_min_i32_e32 v23, s2, v23
	v_mul_lo_u32 v61, v25, s18
	v_add_u32_e32 v27, v25, v27
	v_lshlrev_b32_e32 v105, 5, v25
	v_ashrrev_i32_e32 v25, 31, v23
	v_and_b32_e32 v6, 12, v2
	v_lshrrev_b32_e32 v25, 30, v25
	v_and_b32_e32 v2, 28, v2
	v_mul_lo_u32 v92, v23, s18
	v_add_u32_e32 v25, v23, v25
	v_lshlrev_b32_e32 v107, 5, v23
	v_and_b32_e32 v23, 31, v67
	s_waitcnt lgkmcnt(0)
	v_add_co_u32_e32 v54, vcc, s6, v2
	v_lshlrev_b32_e32 v2, 7, v1
	v_lshl_or_b32 v23, v23, 2, v2
	v_add_u32_e32 v71, 0x5280, v23
	v_mov_b32_e32 v23, 0x5680
	v_add_u32_e32 v75, 0x5280, v2
	v_lshl_add_u32 v77, v1, 4, v23
	v_and_b32_e32 v1, 0xfc, v67
	v_lshlrev_b32_e32 v2, 5, v67
	v_or_b32_e32 v3, v3, v67
	v_add3_u32 v81, v2, v1, s3
	v_add_u32_e32 v1, 32, v67
	v_lshl_add_u32 v73, v3, 2, v23
	v_and_b32_e32 v2, 0x1fc, v1
	v_lshlrev_b32_e32 v3, 5, v1
	v_add3_u32 v83, v3, v2, s3
	v_add_u32_e32 v2, 64, v67
	v_and_b32_e32 v3, 0x1fc, v2
	v_lshlrev_b32_e32 v2, 5, v2
	s_abs_i32 s2, s14
	v_add3_u32 v87, v2, v3, s3
	v_cvt_f32_u32_e32 v3, s2
	v_add_u32_e32 v2, 0x60, v67
	v_and_b32_e32 v23, 0x1fc, v2
	v_lshlrev_b32_e32 v2, 5, v2
	v_add3_u32 v89, v2, v23, s3
	v_rcp_iflag_f32_e32 v2, v3
	v_and_b32_e32 v27, -4, v27
	v_and_b32_e32 v25, -4, v25
	v_add3_u32 v104, v27, v29, s3
	v_mul_f32_e32 v2, 0x4f7ffffe, v2
	v_cvt_u32_f32_e32 v2, v2
	v_add3_u32 v106, v25, v29, s3
	s_sub_i32 s3, 0, s2
	s_waitcnt vmcnt(0)
	v_sub_u32_e32 v3, 0, v65
	v_mul_lo_u32 v23, s3, v2
	v_mul_hi_u32 v23, v2, v23
	v_max_i32_e32 v3, v65, v3
	v_add_u32_e32 v2, v2, v23
	v_mul_hi_u32 v2, v3, v2
	v_mov_b32_e32 v25, s7
	v_mul_lo_u32 v23, v2, s2
	v_addc_co_u32_e32 v55, vcc, 0, v25, vcc
	v_sub_u32_e32 v3, v3, v23
	v_add_u32_e32 v23, 1, v2
	v_cmp_le_u32_e32 vcc, s2, v3
	v_cndmask_b32_e32 v2, v2, v23, vcc
	v_subrev_u32_e32 v23, s2, v3
	v_cndmask_b32_e32 v3, v3, v23, vcc
	v_lshrrev_b32_e32 v91, 3, v1
	v_xor_b32_e32 v1, s14, v65
	v_add_u32_e32 v23, 1, v2
	v_cmp_le_u32_e32 vcc, s2, v3
	v_ashrrev_i32_e32 v1, 31, v1
	v_cndmask_b32_e32 v2, v2, v23, vcc
	v_xor_b32_e32 v2, v2, v1
	v_sub_u32_e32 v1, v2, v1
	v_cmp_gt_i32_e64 s[2:3], s11, v1
	v_mul_lo_u32 v1, v1, s12
	v_ashrrev_i32_e32 v2, 31, v1
	v_add_co_u32_e32 v3, vcc, v1, v67
	s_mul_i32 s19, s18, s15
	v_addc_co_u32_e32 v23, vcc, 0, v2, vcc
	v_mad_u64_u32 v[2:3], s[22:23], v3, 36, s[6:7]
	s_movk_i32 s21, 0x90
	v_mad_i32_i24 v3, v23, 36, v3
	v_add_co_u32_e32 v56, vcc, s21, v2
	s_mul_hi_i32 s21, s19, 18
	s_mul_i32 s22, s19, 18
	v_lshrrev_b32_e32 v4, 2, v67
	v_addc_co_u32_e32 v57, vcc, 0, v3, vcc
	v_mov_b32_e32 v2, s22
	v_mov_b32_e32 v3, s21
	v_mad_u64_u32 v[2:3], s[22:23], v4, 18, v[2:3]
	v_mad_i64_i32 v[4:5], s[22:23], v5, 18, v[2:3]
	v_add_u32_e32 v95, v67, v1
	v_add_u32_e32 v97, v91, v1
	;; [unrolled: 1-line block ×3, first 2 shown]
	v_add_co_u32_e32 v1, vcc, v4, v6
	v_addc_co_u32_e32 v4, vcc, 0, v5, vcc
	v_mov_b32_e32 v51, s5
	v_add_co_u32_e32 v1, vcc, s4, v1
	v_addc_co_u32_e32 v4, vcc, v4, v51, vcc
	v_add_co_u32_e32 v58, vcc, 2, v1
	v_addc_co_u32_e32 v1, vcc, 0, v4, vcc
	v_mad_i64_i32 v[4:5], s[22:23], v7, 18, v[2:3]
	v_add_co_u32_e32 v4, vcc, v4, v6
	v_addc_co_u32_e32 v5, vcc, 0, v5, vcc
	v_add_co_u32_e32 v4, vcc, s4, v4
	v_addc_co_u32_e32 v5, vcc, v5, v51, vcc
	v_add_co_u32_e32 v60, vcc, 2, v4
	v_addc_co_u32_e32 v23, vcc, 0, v5, vcc
	v_mad_i64_i32 v[4:5], s[22:23], v8, 18, v[2:3]
	v_add_co_u32_e32 v4, vcc, v4, v6
	v_addc_co_u32_e32 v5, vcc, 0, v5, vcc
	;; [unrolled: 7-line block ×15, first 2 shown]
	v_add_co_u32_e32 v2, vcc, s4, v2
	v_addc_co_u32_e32 v3, vcc, v3, v51, vcc
	v_add_co_u32_e32 v90, vcc, 2, v2
	v_addc_co_u32_e32 v51, vcc, 0, v3, vcc
	v_mad_i64_i32 v[2:3], s[22:23], v53, 18, 0
	v_mad_i64_i32 v[2:3], s[22:23], s19, 18, v[2:3]
	v_mad_u64_u32 v[2:3], s[22:23], v63, 18, v[2:3]
	v_mov_b32_e32 v4, s5
	v_add_co_u32_e32 v94, vcc, s4, v2
	v_addc_co_u32_e32 v53, vcc, v4, v3, vcc
	v_mad_i64_i32 v[2:3], s[22:23], v59, 18, 0
	v_mad_i64_i32 v[2:3], s[22:23], s19, 18, v[2:3]
	v_mad_u64_u32 v[2:3], s[22:23], v63, 18, v[2:3]
	v_add_co_u32_e32 v96, vcc, s4, v2
	v_addc_co_u32_e32 v59, vcc, v4, v3, vcc
	v_mad_i64_i32 v[2:3], s[22:23], v61, 18, 0
	v_mad_i64_i32 v[2:3], s[22:23], s19, 18, v[2:3]
	v_mad_u64_u32 v[2:3], s[22:23], v63, 18, v[2:3]
	;; [unrolled: 5-line block ×3, first 2 shown]
	s_ashr_i32 s20, s8, 31
	v_mul_u32_u24_e32 v79, 0x84, v67
	v_add_co_u32_e32 v100, vcc, s4, v2
	v_mov_b32_e32 v92, 0
	s_mov_b32 s10, 0
	v_cmp_gt_u32_e64 s[0:1], 4, v67
	v_addc_co_u32_e32 v63, vcc, v4, v3, vcc
	s_movk_i32 s19, 0x80
	v_add_u32_e32 v101, v84, v85
	v_add_u32_e32 v103, v93, v102
	;; [unrolled: 1-line block ×4, first 2 shown]
	v_mov_b32_e32 v118, s20
	v_add_u32_e32 v119, 0x1080, v79
	v_mov_b32_e32 v93, v92
	v_mov_b32_e32 v84, v92
	;; [unrolled: 1-line block ×3, first 2 shown]
	s_branch .LBB218_6
.LBB218_4:                              ;   in Loop: Header=BB218_6 Depth=1
	s_or_b64 exec, exec, s[4:5]
	s_waitcnt lgkmcnt(0)
	s_barrier
	ds_read_b128 v[2:5], v77
	ds_read_b128 v[14:17], v75
	ds_read_b128 v[18:21], v75 offset:16
	ds_read2_b32 v[104:105], v79 offset0:16 offset1:17
	v_mov_b32_e32 v112, 0
	ds_read_b128 v[6:9], v75 offset:32
	ds_read_b128 v[10:13], v75 offset:48
	v_mov_b32_e32 v139, 0
	v_add_u32_e32 v120, 0x2140, v79
	s_waitcnt lgkmcnt(2)
	v_and_b32_e32 v106, 0xf0f0f0f, v104
	v_lshrrev_b32_e32 v104, 4, v104
	v_and_b32_e32 v104, 0xf0f0f0f, v104
	v_dot4c_i32_i8_e32 v112, v106, v14
	v_dot4c_i32_i8_e32 v112, v104, v18
	v_and_b32_e32 v104, 0xf0f0f0f, v105
	v_lshrrev_b32_e32 v105, 4, v105
	v_and_b32_e32 v106, 0xf0f0f0f, v105
	v_dot4c_i32_i8_e32 v112, v104, v15
	ds_read2_b32 v[104:105], v79 offset0:18 offset1:19
	v_dot4c_i32_i8_e32 v112, v106, v19
	ds_read2_b32 v[106:107], v79 offset0:20 offset1:21
	ds_read2_b32 v[108:109], v79 offset0:22 offset1:23
	;; [unrolled: 1-line block ×3, first 2 shown]
	v_add_u32_e32 v122, 0x2148, v79
	v_mov_b32_e32 v140, 0
	s_waitcnt lgkmcnt(3)
	v_and_b32_e32 v113, 0xf0f0f0f, v104
	v_dot4c_i32_i8_e32 v112, v113, v16
	v_add_u32_e32 v113, 0x10c0, v79
	ds_read2_b32 v[114:115], v113 offset1:1
	v_lshrrev_b32_e32 v104, 4, v104
	v_and_b32_e32 v104, 0xf0f0f0f, v104
	v_dot4c_i32_i8_e32 v112, v104, v20
	v_and_b32_e32 v104, 0xf0f0f0f, v105
	v_lshrrev_b32_e32 v105, 4, v105
	v_and_b32_e32 v105, 0xf0f0f0f, v105
	v_dot4c_i32_i8_e32 v112, v104, v17
	v_dot4c_i32_i8_e32 v112, v105, v21
	ds_read2_b32 v[104:105], v89 offset0:6 offset1:7
	s_waitcnt lgkmcnt(1)
	v_and_b32_e32 v113, 0xf0f0f0f, v114
	v_lshrrev_b32_e32 v114, 4, v114
	v_and_b32_e32 v114, 0xf0f0f0f, v114
	v_dot4c_i32_i8_e32 v139, v113, v14
	v_dot4c_i32_i8_e32 v139, v114, v18
	v_and_b32_e32 v113, 0xf0f0f0f, v115
	v_lshrrev_b32_e32 v114, 4, v115
	v_and_b32_e32 v114, 0xf0f0f0f, v114
	v_dot4c_i32_i8_e32 v139, v113, v15
	v_add_u32_e32 v113, 0x10c8, v79
	v_dot4c_i32_i8_e32 v139, v114, v19
	ds_read2_b32 v[114:115], v113 offset1:1
	v_add_u32_e32 v113, 0x31c0, v79
	ds_read2_b32 v[120:121], v120 offset1:1
	ds_read2_b32 v[122:123], v122 offset1:1
	;; [unrolled: 1-line block ×3, first 2 shown]
	v_mov_b32_e32 v141, 0
	v_mov_b32_e32 v142, 0
	s_waitcnt lgkmcnt(3)
	v_and_b32_e32 v113, 0xf0f0f0f, v114
	v_lshrrev_b32_e32 v114, 4, v114
	v_and_b32_e32 v114, 0xf0f0f0f, v114
	v_dot4c_i32_i8_e32 v139, v113, v16
	v_dot4c_i32_i8_e32 v139, v114, v20
	v_and_b32_e32 v113, 0xf0f0f0f, v115
	v_lshrrev_b32_e32 v114, 4, v115
	v_and_b32_e32 v114, 0xf0f0f0f, v114
	v_dot4c_i32_i8_e32 v139, v113, v17
	s_waitcnt lgkmcnt(2)
	v_lshrrev_b32_e32 v113, 4, v120
	v_dot4c_i32_i8_e32 v139, v114, v21
	v_and_b32_e32 v114, 0xf0f0f0f, v120
	v_and_b32_e32 v115, 0xf0f0f0f, v113
	v_mov_b32_e32 v113, 0
	v_dot4c_i32_i8_e32 v113, v114, v14
	v_dot4c_i32_i8_e32 v113, v115, v18
	v_and_b32_e32 v114, 0xf0f0f0f, v121
	v_lshrrev_b32_e32 v115, 4, v121
	v_and_b32_e32 v115, 0xf0f0f0f, v115
	v_dot4c_i32_i8_e32 v113, v114, v15
	v_dot4c_i32_i8_e32 v113, v115, v19
	s_waitcnt lgkmcnt(1)
	v_and_b32_e32 v114, 0xf0f0f0f, v122
	v_lshrrev_b32_e32 v115, 4, v122
	v_and_b32_e32 v115, 0xf0f0f0f, v115
	v_dot4c_i32_i8_e32 v113, v114, v16
	v_dot4c_i32_i8_e32 v113, v115, v20
	v_and_b32_e32 v114, 0xf0f0f0f, v123
	v_lshrrev_b32_e32 v115, 4, v123
	v_and_b32_e32 v115, 0xf0f0f0f, v115
	v_dot4c_i32_i8_e32 v113, v114, v17
	s_waitcnt lgkmcnt(0)
	v_lshrrev_b32_e32 v114, 4, v124
	v_dot4c_i32_i8_e32 v113, v115, v21
	v_and_b32_e32 v115, 0xf0f0f0f, v124
	v_and_b32_e32 v120, 0xf0f0f0f, v114
	v_mov_b32_e32 v114, 0
	v_dot4c_i32_i8_e32 v114, v115, v14
	v_dot4c_i32_i8_e32 v114, v120, v18
	v_and_b32_e32 v14, 0xf0f0f0f, v125
	v_dot4c_i32_i8_e32 v114, v14, v15
	v_add_u32_e32 v14, 0x31c8, v79
	ds_read2_b32 v[14:15], v14 offset1:1
	v_lshrrev_b32_e32 v18, 4, v125
	v_and_b32_e32 v18, 0xf0f0f0f, v18
	v_dot4c_i32_i8_e32 v114, v18, v19
	v_add_u32_e32 v18, 0x10d0, v79
	v_add_u32_e32 v115, 0x10d8, v79
	v_add_u32_e32 v122, 0x2150, v79
	ds_read2_b32 v[18:19], v18 offset1:1
	ds_read2_b32 v[120:121], v115 offset1:1
	;; [unrolled: 1-line block ×3, first 2 shown]
	s_waitcnt lgkmcnt(3)
	v_and_b32_e32 v115, 0xf0f0f0f, v14
	v_lshrrev_b32_e32 v14, 4, v14
	v_and_b32_e32 v14, 0xf0f0f0f, v14
	v_dot4c_i32_i8_e32 v114, v115, v16
	v_dot4c_i32_i8_e32 v114, v14, v20
	v_and_b32_e32 v14, 0xf0f0f0f, v15
	v_lshrrev_b32_e32 v15, 4, v15
	v_and_b32_e32 v15, 0xf0f0f0f, v15
	v_dot4c_i32_i8_e32 v114, v14, v17
	v_cvt_f32_f16_sdwa v16, v3 dst_sel:DWORD dst_unused:UNUSED_PAD src0_sel:WORD_1
	v_dot4c_i32_i8_e32 v114, v15, v21
	v_cvt_f32_f16_e32 v14, v3
	v_and_b32_e32 v3, 0xf0f0f0f, v106
	v_lshrrev_b32_e32 v15, 4, v106
	v_mov_b32_e32 v17, 0
	v_and_b32_e32 v15, 0xf0f0f0f, v15
	v_dot4c_i32_i8_e32 v17, v3, v6
	v_dot4c_i32_i8_e32 v17, v15, v10
	v_and_b32_e32 v3, 0xf0f0f0f, v107
	v_lshrrev_b32_e32 v15, 4, v107
	v_and_b32_e32 v15, 0xf0f0f0f, v15
	v_dot4c_i32_i8_e32 v17, v3, v7
	v_dot4c_i32_i8_e32 v17, v15, v11
	v_and_b32_e32 v3, 0xf0f0f0f, v108
	v_lshrrev_b32_e32 v15, 4, v108
	;; [unrolled: 5-line block ×3, first 2 shown]
	v_and_b32_e32 v15, 0xf0f0f0f, v15
	v_dot4c_i32_i8_e32 v17, v3, v9
	v_dot4c_i32_i8_e32 v17, v15, v13
	s_waitcnt lgkmcnt(2)
	v_and_b32_e32 v3, 0xf0f0f0f, v18
	v_lshrrev_b32_e32 v15, 4, v18
	v_mov_b32_e32 v115, 0
	v_and_b32_e32 v15, 0xf0f0f0f, v15
	v_dot4c_i32_i8_e32 v115, v3, v6
	v_dot4c_i32_i8_e32 v115, v15, v10
	v_and_b32_e32 v3, 0xf0f0f0f, v19
	v_lshrrev_b32_e32 v15, 4, v19
	v_and_b32_e32 v15, 0xf0f0f0f, v15
	v_dot4c_i32_i8_e32 v115, v3, v7
	v_dot4c_i32_i8_e32 v115, v15, v11
	s_waitcnt lgkmcnt(1)
	v_and_b32_e32 v3, 0xf0f0f0f, v120
	v_lshrrev_b32_e32 v15, 4, v120
	v_and_b32_e32 v15, 0xf0f0f0f, v15
	v_dot4c_i32_i8_e32 v115, v3, v8
	v_dot4c_i32_i8_e32 v115, v15, v12
	v_and_b32_e32 v3, 0xf0f0f0f, v121
	v_lshrrev_b32_e32 v15, 4, v121
	v_and_b32_e32 v15, 0xf0f0f0f, v15
	v_dot4c_i32_i8_e32 v115, v3, v9
	v_dot4c_i32_i8_e32 v115, v15, v13
	s_waitcnt lgkmcnt(0)
	v_and_b32_e32 v3, 0xf0f0f0f, v122
	v_lshrrev_b32_e32 v15, 4, v122
	v_and_b32_e32 v15, 0xf0f0f0f, v15
	v_dot4c_i32_i8_e32 v140, v3, v6
	v_dot4c_i32_i8_e32 v140, v15, v10
	v_and_b32_e32 v3, 0xf0f0f0f, v123
	v_dot4c_i32_i8_e32 v140, v3, v7
	v_add_u32_e32 v3, 0x2158, v79
	ds_read2_b32 v[18:19], v3 offset1:1
	v_lshrrev_b32_e32 v15, 4, v123
	v_and_b32_e32 v15, 0xf0f0f0f, v15
	v_dot4c_i32_i8_e32 v140, v15, v11
	v_add_u32_e32 v15, 0x31d0, v79
	v_add_u32_e32 v106, 0x31d8, v79
	;; [unrolled: 1-line block ×3, first 2 shown]
	ds_read2_b32 v[20:21], v15 offset1:1
	ds_read2_b32 v[106:107], v106 offset1:1
	;; [unrolled: 1-line block ×3, first 2 shown]
	s_waitcnt lgkmcnt(3)
	v_and_b32_e32 v3, 0xf0f0f0f, v18
	v_lshrrev_b32_e32 v15, 4, v18
	v_and_b32_e32 v15, 0xf0f0f0f, v15
	v_dot4c_i32_i8_e32 v140, v3, v8
	v_dot4c_i32_i8_e32 v140, v15, v12
	v_and_b32_e32 v3, 0xf0f0f0f, v19
	v_lshrrev_b32_e32 v15, 4, v19
	v_and_b32_e32 v15, 0xf0f0f0f, v15
	v_dot4c_i32_i8_e32 v140, v3, v9
	v_dot4c_i32_i8_e32 v140, v15, v13
	s_waitcnt lgkmcnt(2)
	v_and_b32_e32 v3, 0xf0f0f0f, v20
	v_lshrrev_b32_e32 v15, 4, v20
	v_and_b32_e32 v15, 0xf0f0f0f, v15
	v_dot4c_i32_i8_e32 v141, v3, v6
	v_dot4c_i32_i8_e32 v141, v15, v10
	v_and_b32_e32 v3, 0xf0f0f0f, v21
	v_lshrrev_b32_e32 v6, 4, v21
	v_and_b32_e32 v6, 0xf0f0f0f, v6
	v_dot4c_i32_i8_e32 v141, v3, v7
	v_dot4c_i32_i8_e32 v141, v6, v11
	s_waitcnt lgkmcnt(1)
	v_and_b32_e32 v3, 0xf0f0f0f, v106
	v_lshrrev_b32_e32 v6, 4, v106
	v_and_b32_e32 v6, 0xf0f0f0f, v6
	v_dot4c_i32_i8_e32 v141, v3, v8
	v_dot4c_i32_i8_e32 v141, v6, v12
	v_and_b32_e32 v3, 0xf0f0f0f, v107
	v_dot4c_i32_i8_e32 v141, v3, v9
	v_cvt_f32_f16_sdwa v3, v4 dst_sel:DWORD dst_unused:UNUSED_PAD src0_sel:WORD_1
	ds_read_b128 v[120:123], v75 offset:64
	ds_read_b128 v[124:127], v75 offset:80
	v_lshrrev_b32_e32 v6, 4, v107
	v_and_b32_e32 v6, 0xf0f0f0f, v6
	ds_read2_b32 v[8:9], v87 offset0:4 offset1:5
	ds_read2_b32 v[18:19], v83 offset0:6 offset1:7
	;; [unrolled: 1-line block ×5, first 2 shown]
	v_dot4c_i32_i8_e32 v141, v6, v13
	v_mul_f32_e32 v6, 0x41000000, v3
	v_and_b32_e32 v3, 0xf0f0f0f, v110
	v_lshrrev_b32_e32 v7, 4, v110
	v_mov_b32_e32 v15, 0
	v_and_b32_e32 v7, 0xf0f0f0f, v7
	s_waitcnt lgkmcnt(6)
	v_dot4c_i32_i8_e32 v15, v3, v120
	s_waitcnt lgkmcnt(5)
	v_dot4c_i32_i8_e32 v15, v7, v124
	v_and_b32_e32 v3, 0xf0f0f0f, v111
	v_lshrrev_b32_e32 v7, 4, v111
	v_and_b32_e32 v7, 0xf0f0f0f, v7
	v_dot4c_i32_i8_e32 v15, v3, v121
	v_dot4c_i32_i8_e32 v15, v7, v125
	s_waitcnt lgkmcnt(0)
	v_and_b32_e32 v3, 0xf0f0f0f, v10
	v_lshrrev_b32_e32 v7, 4, v10
	v_and_b32_e32 v7, 0xf0f0f0f, v7
	v_dot4c_i32_i8_e32 v15, v3, v122
	v_dot4c_i32_i8_e32 v15, v7, v126
	v_and_b32_e32 v3, 0xf0f0f0f, v11
	v_lshrrev_b32_e32 v7, 4, v11
	v_and_b32_e32 v7, 0xf0f0f0f, v7
	v_dot4c_i32_i8_e32 v15, v3, v123
	v_dot4c_i32_i8_e32 v15, v7, v127
	;; [unrolled: 5-line block ×3, first 2 shown]
	v_and_b32_e32 v3, 0xf0f0f0f, v109
	v_dot4c_i32_i8_e32 v142, v3, v121
	v_add_u32_e32 v3, 0x10e8, v79
	ds_read2_b32 v[128:129], v79 offset0:28 offset1:29
	ds_read2_b32 v[130:131], v81 offset0:4 offset1:5
	;; [unrolled: 1-line block ×3, first 2 shown]
	ds_read2_b32 v[10:11], v3 offset1:1
	v_lshrrev_b32_e32 v7, 4, v109
	v_and_b32_e32 v7, 0xf0f0f0f, v7
	v_dot4c_i32_i8_e32 v142, v7, v125
	v_add_u32_e32 v7, 0x2160, v79
	v_add_u32_e32 v3, 0x31e0, v79
	;; [unrolled: 1-line block ×3, first 2 shown]
	ds_read2_b32 v[108:109], v7 offset1:1
	ds_read2_b32 v[110:111], v12 offset1:1
	;; [unrolled: 1-line block ×3, first 2 shown]
	s_waitcnt lgkmcnt(3)
	v_and_b32_e32 v3, 0xf0f0f0f, v10
	v_lshrrev_b32_e32 v7, 4, v10
	v_and_b32_e32 v7, 0xf0f0f0f, v7
	v_dot4c_i32_i8_e32 v142, v3, v122
	v_dot4c_i32_i8_e32 v142, v7, v126
	v_and_b32_e32 v3, 0xf0f0f0f, v11
	v_lshrrev_b32_e32 v7, 4, v11
	v_and_b32_e32 v7, 0xf0f0f0f, v7
	v_dot4c_i32_i8_e32 v142, v3, v123
	v_dot4c_i32_i8_e32 v142, v7, v127
	s_waitcnt lgkmcnt(2)
	v_and_b32_e32 v3, 0xf0f0f0f, v108
	v_lshrrev_b32_e32 v7, 4, v108
	v_mov_b32_e32 v143, 0
	v_and_b32_e32 v7, 0xf0f0f0f, v7
	v_dot4c_i32_i8_e32 v143, v3, v120
	v_dot4c_i32_i8_e32 v143, v7, v124
	v_and_b32_e32 v3, 0xf0f0f0f, v109
	v_lshrrev_b32_e32 v7, 4, v109
	v_and_b32_e32 v7, 0xf0f0f0f, v7
	v_dot4c_i32_i8_e32 v143, v3, v121
	v_dot4c_i32_i8_e32 v143, v7, v125
	s_waitcnt lgkmcnt(1)
	v_and_b32_e32 v3, 0xf0f0f0f, v110
	v_lshrrev_b32_e32 v7, 4, v110
	v_and_b32_e32 v7, 0xf0f0f0f, v7
	v_dot4c_i32_i8_e32 v143, v3, v122
	v_dot4c_i32_i8_e32 v143, v7, v126
	v_and_b32_e32 v3, 0xf0f0f0f, v111
	v_lshrrev_b32_e32 v7, 4, v111
	v_and_b32_e32 v7, 0xf0f0f0f, v7
	v_dot4c_i32_i8_e32 v143, v3, v123
	v_dot4c_i32_i8_e32 v143, v7, v127
	s_waitcnt lgkmcnt(0)
	v_and_b32_e32 v3, 0xf0f0f0f, v134
	v_lshrrev_b32_e32 v7, 4, v134
	v_mov_b32_e32 v144, 0
	v_and_b32_e32 v7, 0xf0f0f0f, v7
	v_dot4c_i32_i8_e32 v144, v3, v120
	v_dot4c_i32_i8_e32 v144, v7, v124
	v_and_b32_e32 v3, 0xf0f0f0f, v135
	v_dot4c_i32_i8_e32 v144, v3, v121
	v_add_u32_e32 v3, 0x31e8, v79
	ds_read2_b32 v[12:13], v89 offset0:4 offset1:5
	ds_read2_b32 v[10:11], v87 offset0:6 offset1:7
	ds_read2_b32 v[108:109], v3 offset1:1
	v_lshrrev_b32_e32 v7, 4, v135
	v_and_b32_e32 v7, 0xf0f0f0f, v7
	v_dot4c_i32_i8_e32 v144, v7, v125
	v_add_u32_e32 v7, 0x10f0, v79
	v_add_u32_e32 v3, 0x2170, v79
	;; [unrolled: 1-line block ×3, first 2 shown]
	ds_read2_b32 v[124:125], v7 offset1:1
	ds_read2_b32 v[134:135], v110 offset1:1
	;; [unrolled: 1-line block ×3, first 2 shown]
	s_waitcnt lgkmcnt(3)
	v_and_b32_e32 v3, 0xf0f0f0f, v108
	v_lshrrev_b32_e32 v7, 4, v108
	v_and_b32_e32 v7, 0xf0f0f0f, v7
	v_dot4c_i32_i8_e32 v144, v3, v122
	v_dot4c_i32_i8_e32 v144, v7, v126
	v_and_b32_e32 v3, 0xf0f0f0f, v109
	v_dot4c_i32_i8_e32 v144, v3, v123
	v_cvt_f32_f16_sdwa v3, v5 dst_sel:DWORD dst_unused:UNUSED_PAD src0_sel:WORD_1
	v_lshrrev_b32_e32 v7, 4, v109
	ds_read_b128 v[108:111], v75 offset:96
	ds_read_b128 v[120:123], v75 offset:112
	v_and_b32_e32 v7, 0xf0f0f0f, v7
	v_dot4c_i32_i8_e32 v144, v7, v127
	v_cvt_f32_f16_e32 v126, v5
	v_mul_f32_e32 v138, 0x41000000, v3
	v_and_b32_e32 v3, 0xf0f0f0f, v128
	v_lshrrev_b32_e32 v5, 4, v128
	v_mov_b32_e32 v7, 0
	v_and_b32_e32 v5, 0xf0f0f0f, v5
	s_waitcnt lgkmcnt(1)
	v_dot4c_i32_i8_e32 v7, v3, v108
	s_waitcnt lgkmcnt(0)
	v_dot4c_i32_i8_e32 v7, v5, v120
	v_and_b32_e32 v3, 0xf0f0f0f, v129
	v_lshrrev_b32_e32 v5, 4, v129
	v_and_b32_e32 v5, 0xf0f0f0f, v5
	v_dot4c_i32_i8_e32 v7, v3, v109
	v_dot4c_i32_i8_e32 v7, v5, v121
	v_and_b32_e32 v3, 0xf0f0f0f, v132
	v_lshrrev_b32_e32 v5, 4, v132
	v_and_b32_e32 v5, 0xf0f0f0f, v5
	v_dot4c_i32_i8_e32 v7, v3, v110
	;; [unrolled: 5-line block ×3, first 2 shown]
	v_dot4c_i32_i8_e32 v7, v5, v123
	v_and_b32_e32 v3, 0xf0f0f0f, v124
	v_lshrrev_b32_e32 v5, 4, v124
	v_mov_b32_e32 v127, 0
	v_cvt_f32_f16_sdwa v102, v2 dst_sel:DWORD dst_unused:UNUSED_PAD src0_sel:WORD_1
	v_and_b32_e32 v5, 0xf0f0f0f, v5
	v_dot4c_i32_i8_e32 v127, v3, v108
	v_cvt_f32_f16_e32 v2, v2
	v_dot4c_i32_i8_e32 v127, v5, v120
	v_and_b32_e32 v3, 0xf0f0f0f, v125
	v_lshrrev_b32_e32 v5, 4, v125
	v_cvt_f32_i32_e32 v125, v139
	v_cvt_f32_i32_e32 v124, v112
	v_and_b32_e32 v5, 0xf0f0f0f, v5
	v_dot4c_i32_i8_e32 v127, v3, v109
	v_dot4c_i32_i8_e32 v127, v5, v121
	v_and_b32_e32 v3, 0xf0f0f0f, v134
	v_mul_f32_e32 v102, 0x41000000, v102
	v_dot4c_i32_i8_e32 v127, v3, v110
	v_and_b32_e32 v3, 0xf0f0f0f, v135
	v_lshrrev_b32_e32 v5, 4, v134
	v_pk_fma_f32 v[124:125], v[2:3], v[124:125], v[102:103] op_sel_hi:[0,1,0] neg_lo:[0,0,1] neg_hi:[0,0,1]
	v_mov_b32_e32 v128, v130
	v_mov_b32_e32 v129, v106
	v_cvt_f32_i32_e32 v133, v115
	v_cvt_f32_i32_e32 v132, v17
	v_cvt_f32_f16_e32 v4, v4
	v_and_b32_e32 v5, 0xf0f0f0f, v5
	v_pk_fma_f32 v[92:93], v[128:129], v[124:125], v[92:93]
	v_cvt_f32_i32_e32 v125, v142
	v_cvt_f32_i32_e32 v124, v15
	v_dot4c_i32_i8_e32 v127, v5, v122
	v_lshrrev_b32_e32 v5, 4, v135
	v_mul_f32_e32 v16, 0x41000000, v16
	v_and_b32_e32 v5, 0xf0f0f0f, v5
	v_dot4c_i32_i8_e32 v127, v3, v111
	v_dot4c_i32_i8_e32 v127, v5, v123
	v_pk_fma_f32 v[128:129], v[14:15], v[132:133], v[16:17] op_sel_hi:[0,1,0] neg_lo:[0,0,1] neg_hi:[0,0,1]
	v_mov_b32_e32 v106, v131
	v_pk_fma_f32 v[92:93], v[106:107], v[128:129], v[92:93]
	v_pk_fma_f32 v[106:107], v[4:5], v[124:125], v[6:7] op_sel_hi:[0,1,0] neg_lo:[0,0,1] neg_hi:[0,0,1]
	v_cvt_f32_i32_e32 v125, v127
	v_cvt_f32_i32_e32 v124, v7
	v_and_b32_e32 v3, 0xf0f0f0f, v136
	v_lshrrev_b32_e32 v5, 4, v136
	v_mov_b32_e32 v17, 0
	v_and_b32_e32 v5, 0xf0f0f0f, v5
	v_dot4c_i32_i8_e32 v17, v3, v108
	v_mov_b32_e32 v128, v20
	v_mov_b32_e32 v129, v18
	v_dot4c_i32_i8_e32 v17, v5, v120
	v_and_b32_e32 v3, 0xf0f0f0f, v137
	v_pk_fma_f32 v[92:93], v[128:129], v[106:107], v[92:93]
	v_pk_fma_f32 v[106:107], v[126:127], v[124:125], v[138:139] op_sel_hi:[0,1,0] neg_lo:[0,0,1] neg_hi:[0,0,1]
	v_mov_b32_e32 v18, v21
	v_dot4c_i32_i8_e32 v17, v3, v109
	v_add_u32_e32 v3, 0x2178, v79
	v_pk_fma_f32 v[92:93], v[18:19], v[106:107], v[92:93]
	ds_read2_b32 v[18:19], v3 offset1:1
	v_lshrrev_b32_e32 v5, 4, v137
	v_and_b32_e32 v5, 0xf0f0f0f, v5
	v_dot4c_i32_i8_e32 v17, v5, v121
	v_add_u32_e32 v3, 0x31f0, v79
	v_add_u32_e32 v5, 0x31f8, v79
	ds_read2_b32 v[20:21], v3 offset1:1
	ds_read2_b32 v[106:107], v5 offset1:1
	s_waitcnt lgkmcnt(2)
	v_and_b32_e32 v3, 0xf0f0f0f, v18
	v_lshrrev_b32_e32 v5, 4, v18
	v_and_b32_e32 v5, 0xf0f0f0f, v5
	v_dot4c_i32_i8_e32 v17, v3, v110
	v_dot4c_i32_i8_e32 v17, v5, v122
	v_and_b32_e32 v3, 0xf0f0f0f, v19
	v_lshrrev_b32_e32 v5, 4, v19
	v_and_b32_e32 v5, 0xf0f0f0f, v5
	v_dot4c_i32_i8_e32 v17, v3, v111
	v_dot4c_i32_i8_e32 v17, v5, v123
	s_waitcnt lgkmcnt(1)
	v_and_b32_e32 v3, 0xf0f0f0f, v20
	v_lshrrev_b32_e32 v5, 4, v20
	v_mov_b32_e32 v7, 0
	v_and_b32_e32 v5, 0xf0f0f0f, v5
	v_dot4c_i32_i8_e32 v7, v3, v108
	v_dot4c_i32_i8_e32 v7, v5, v120
	v_and_b32_e32 v3, 0xf0f0f0f, v21
	v_lshrrev_b32_e32 v5, 4, v21
	v_and_b32_e32 v5, 0xf0f0f0f, v5
	v_dot4c_i32_i8_e32 v7, v3, v109
	v_cvt_f32_i32_e32 v19, v114
	v_cvt_f32_i32_e32 v18, v113
	v_dot4c_i32_i8_e32 v7, v5, v121
	s_waitcnt lgkmcnt(0)
	v_and_b32_e32 v3, 0xf0f0f0f, v106
	v_lshrrev_b32_e32 v5, 4, v106
	v_and_b32_e32 v5, 0xf0f0f0f, v5
	v_dot4c_i32_i8_e32 v7, v3, v110
	v_dot4c_i32_i8_e32 v7, v5, v122
	v_and_b32_e32 v3, 0xf0f0f0f, v107
	v_dot4c_i32_i8_e32 v7, v3, v111
	v_pk_fma_f32 v[2:3], v[2:3], v[18:19], v[102:103] op_sel_hi:[0,1,0] neg_lo:[0,0,1] neg_hi:[0,0,1]
	v_mov_b32_e32 v18, v8
	v_mov_b32_e32 v19, v12
	v_pk_fma_f32 v[2:3], v[18:19], v[2:3], v[84:85]
	v_cvt_f32_i32_e32 v19, v144
	v_cvt_f32_i32_e32 v18, v143
	v_lshrrev_b32_e32 v5, 4, v107
	v_and_b32_e32 v5, 0xf0f0f0f, v5
	v_cvt_f32_i32_e32 v21, v141
	v_cvt_f32_i32_e32 v20, v140
	v_dot4c_i32_i8_e32 v7, v5, v123
	v_mov_b32_e32 v12, v9
	v_mov_b32_e32 v8, v10
	v_pk_fma_f32 v[14:15], v[14:15], v[20:21], v[16:17] op_sel_hi:[0,1,0] neg_lo:[0,0,1] neg_hi:[0,0,1]
	v_pk_fma_f32 v[4:5], v[4:5], v[18:19], v[6:7] op_sel_hi:[0,1,0] neg_lo:[0,0,1] neg_hi:[0,0,1]
	v_cvt_f32_i32_e32 v7, v7
	v_cvt_f32_i32_e32 v6, v17
	v_pk_fma_f32 v[2:3], v[12:13], v[14:15], v[2:3]
	v_mov_b32_e32 v9, v104
	v_pk_fma_f32 v[2:3], v[8:9], v[4:5], v[2:3]
	v_pk_fma_f32 v[4:5], v[126:127], v[6:7], v[138:139] op_sel_hi:[0,1,0] neg_lo:[0,0,1] neg_hi:[0,0,1]
	v_mov_b32_e32 v104, v11
	v_pk_fma_f32 v[84:85], v[104:105], v[4:5], v[2:3]
	s_barrier
.LBB218_5:                              ;   in Loop: Header=BB218_6 Depth=1
	v_add_co_u32_e32 v56, vcc, 0x120, v56
	v_addc_co_u32_e32 v57, vcc, 0, v57, vcc
	v_add_co_u32_e32 v58, vcc, 0x90, v58
	v_addc_co_u32_e32 v1, vcc, 0, v1, vcc
	;; [unrolled: 2-line block ×20, first 2 shown]
	s_add_i32 s10, s10, 8
	s_addk_i32 s19, 0x100
	v_add_co_u32_e32 v100, vcc, 0x90, v100
	s_cmp_ge_i32 s10, s18
	v_addc_co_u32_e32 v63, vcc, 0, v63, vcc
	s_cbranch_scc1 .LBB218_19
.LBB218_6:                              ; =>This Inner Loop Header: Depth=1
	v_add_co_u32_e32 v2, vcc, s8, v58
	v_addc_co_u32_e32 v3, vcc, v1, v118, vcc
	global_load_dword v4, v[2:3], off
	v_add_co_u32_e32 v2, vcc, s8, v60
	v_addc_co_u32_e32 v3, vcc, v23, v118, vcc
	global_load_dword v5, v[2:3], off
	;; [unrolled: 3-line block ×16, first 2 shown]
	v_add_co_u32_e32 v2, vcc, s8, v94
	v_addc_co_u32_e32 v3, vcc, v53, v118, vcc
	global_load_ushort v20, v[2:3], off
	v_add_co_u32_e32 v2, vcc, s8, v96
	v_addc_co_u32_e32 v3, vcc, v59, v118, vcc
	global_load_ushort v21, v[2:3], off
	;; [unrolled: 3-line block ×4, first 2 shown]
	s_waitcnt vmcnt(19)
	ds_write_b32 v22, v4
	s_waitcnt vmcnt(18)
	ds_write_b32 v24, v5
	s_waitcnt vmcnt(17)
	ds_write_b32 v26, v6
	s_waitcnt vmcnt(16)
	ds_write_b32 v28, v7
	s_waitcnt vmcnt(15)
	ds_write_b32 v30, v8
	s_waitcnt vmcnt(14)
	ds_write_b32 v32, v9
	s_waitcnt vmcnt(13)
	ds_write_b32 v34, v10
	s_waitcnt vmcnt(12)
	ds_write_b32 v36, v11
	s_waitcnt vmcnt(11)
	ds_write_b32 v38, v12
	s_waitcnt vmcnt(10)
	ds_write_b32 v40, v13
	s_waitcnt vmcnt(9)
	ds_write_b32 v42, v14
	s_waitcnt vmcnt(8)
	ds_write_b32 v44, v15
	s_waitcnt vmcnt(7)
	ds_write_b32 v46, v16
	s_waitcnt vmcnt(6)
	ds_write_b32 v48, v17
	s_waitcnt vmcnt(5)
	ds_write_b32 v50, v18
	s_add_i32 s4, s19, 0xffffff80
	s_cmp_lt_i32 s4, s9
	s_waitcnt vmcnt(4)
	ds_write_b32 v52, v19
	s_waitcnt vmcnt(3)
	v_cvt_f32_f16_e32 v3, v20
	s_waitcnt vmcnt(2)
	v_cvt_f32_f16_e32 v4, v21
	ds_write_b32 v101, v3
	ds_write_b32 v103, v4
	s_waitcnt vmcnt(1)
	v_cvt_f32_f16_e32 v5, v102
	ds_write_b32 v116, v5
	s_waitcnt vmcnt(0)
	v_cvt_f32_f16_e32 v2, v2
	ds_write_b32 v117, v2
	s_cbranch_scc0 .LBB218_5
; %bb.7:                                ;   in Loop: Header=BB218_6 Depth=1
	v_add_u32_e32 v2, s10, v69
	v_cmp_gt_i32_e32 vcc, s12, v2
	s_and_b64 s[20:21], s[2:3], vcc
	s_and_saveexec_b64 s[4:5], s[20:21]
	s_cbranch_execz .LBB218_9
; %bb.8:                                ;   in Loop: Header=BB218_6 Depth=1
	v_add_u32_e32 v2, s10, v99
	v_mad_i64_i32 v[2:3], s[20:21], v2, 36, v[54:55]
	global_load_dword v2, v[2:3], off offset:4
	s_waitcnt vmcnt(0)
	ds_write_b32 v71, v2
.LBB218_9:                              ;   in Loop: Header=BB218_6 Depth=1
	s_or_b64 exec, exec, s[4:5]
	s_and_saveexec_b64 s[4:5], s[0:1]
	s_cbranch_execz .LBB218_12
; %bb.10:                               ;   in Loop: Header=BB218_6 Depth=1
	v_add_u32_e32 v2, s10, v67
	v_cmp_gt_i32_e32 vcc, s12, v2
	s_and_b64 s[20:21], s[2:3], vcc
	s_and_b64 exec, exec, s[20:21]
	s_cbranch_execz .LBB218_12
; %bb.11:                               ;   in Loop: Header=BB218_6 Depth=1
	v_add_u32_e32 v2, s10, v95
	v_mad_i64_i32 v[2:3], s[20:21], v2, 36, s[6:7]
	global_load_dword v2, v[2:3], off
	s_waitcnt vmcnt(0)
	ds_write_b32 v73, v2
.LBB218_12:                             ;   in Loop: Header=BB218_6 Depth=1
	s_or_b64 exec, exec, s[4:5]
	s_waitcnt lgkmcnt(0)
	s_barrier
	ds_read_b128 v[2:5], v77
	ds_read_b128 v[14:17], v75
	ds_read_b128 v[18:21], v75 offset:16
	ds_read2_b32 v[104:105], v79 offset1:1
	v_mov_b32_e32 v124, 0
	ds_read_b128 v[6:9], v75 offset:32
	ds_read_b128 v[10:13], v75 offset:48
	v_mov_b32_e32 v125, 0
	v_add_u32_e32 v120, 0x2108, v79
	s_waitcnt lgkmcnt(2)
	v_and_b32_e32 v106, 0xf0f0f0f, v104
	v_lshrrev_b32_e32 v104, 4, v104
	v_and_b32_e32 v104, 0xf0f0f0f, v104
	v_dot4c_i32_i8_e32 v124, v106, v14
	v_dot4c_i32_i8_e32 v124, v104, v18
	v_and_b32_e32 v104, 0xf0f0f0f, v105
	v_lshrrev_b32_e32 v105, 4, v105
	v_and_b32_e32 v106, 0xf0f0f0f, v105
	v_dot4c_i32_i8_e32 v124, v104, v15
	ds_read2_b32 v[104:105], v79 offset0:2 offset1:3
	v_dot4c_i32_i8_e32 v124, v106, v19
	ds_read2_b32 v[108:109], v79 offset0:4 offset1:5
	ds_read2_b32 v[110:111], v79 offset0:6 offset1:7
	;; [unrolled: 1-line block ×3, first 2 shown]
	v_add_u32_e32 v122, 0x3180, v79
	v_mov_b32_e32 v141, 0
	s_waitcnt lgkmcnt(3)
	v_and_b32_e32 v106, 0xf0f0f0f, v104
	v_dot4c_i32_i8_e32 v124, v106, v16
	ds_read2_b32 v[106:107], v119 offset1:1
	v_lshrrev_b32_e32 v104, 4, v104
	v_and_b32_e32 v104, 0xf0f0f0f, v104
	v_dot4c_i32_i8_e32 v124, v104, v20
	v_and_b32_e32 v104, 0xf0f0f0f, v105
	s_waitcnt lgkmcnt(0)
	v_and_b32_e32 v114, 0xf0f0f0f, v106
	v_lshrrev_b32_e32 v106, 4, v106
	v_and_b32_e32 v106, 0xf0f0f0f, v106
	v_dot4c_i32_i8_e32 v125, v114, v14
	v_lshrrev_b32_e32 v105, 4, v105
	v_dot4c_i32_i8_e32 v125, v106, v18
	v_and_b32_e32 v106, 0xf0f0f0f, v107
	v_lshrrev_b32_e32 v107, 4, v107
	v_and_b32_e32 v105, 0xf0f0f0f, v105
	v_dot4c_i32_i8_e32 v124, v104, v17
	v_and_b32_e32 v107, 0xf0f0f0f, v107
	v_dot4c_i32_i8_e32 v125, v106, v15
	v_add_u32_e32 v106, 0x1088, v79
	v_dot4c_i32_i8_e32 v124, v105, v21
	ds_read2_b32 v[104:105], v89 offset0:2 offset1:3
	v_dot4c_i32_i8_e32 v125, v107, v19
	ds_read2_b32 v[106:107], v106 offset1:1
	v_add_u32_e32 v114, 0x2100, v79
	ds_read2_b32 v[114:115], v114 offset1:1
	ds_read2_b32 v[120:121], v120 offset1:1
	;; [unrolled: 1-line block ×3, first 2 shown]
	v_mov_b32_e32 v143, 0
	v_cvt_f32_f16_e32 v140, v5
	s_waitcnt lgkmcnt(3)
	v_and_b32_e32 v126, 0xf0f0f0f, v106
	v_lshrrev_b32_e32 v106, 4, v106
	v_and_b32_e32 v106, 0xf0f0f0f, v106
	v_dot4c_i32_i8_e32 v125, v126, v16
	v_dot4c_i32_i8_e32 v125, v106, v20
	v_and_b32_e32 v106, 0xf0f0f0f, v107
	v_lshrrev_b32_e32 v107, 4, v107
	v_and_b32_e32 v107, 0xf0f0f0f, v107
	v_dot4c_i32_i8_e32 v125, v106, v17
	v_dot4c_i32_i8_e32 v125, v107, v21
	v_cvt_f32_i32_e32 v106, v124
	s_waitcnt lgkmcnt(2)
	v_and_b32_e32 v124, 0xf0f0f0f, v114
	v_lshrrev_b32_e32 v114, 4, v114
	v_cvt_f32_i32_e32 v107, v125
	v_mov_b32_e32 v125, 0
	v_and_b32_e32 v114, 0xf0f0f0f, v114
	v_dot4c_i32_i8_e32 v125, v124, v14
	v_dot4c_i32_i8_e32 v125, v114, v18
	v_and_b32_e32 v114, 0xf0f0f0f, v115
	v_lshrrev_b32_e32 v115, 4, v115
	v_and_b32_e32 v115, 0xf0f0f0f, v115
	v_dot4c_i32_i8_e32 v125, v114, v15
	v_dot4c_i32_i8_e32 v125, v115, v19
	s_waitcnt lgkmcnt(1)
	v_and_b32_e32 v114, 0xf0f0f0f, v120
	v_lshrrev_b32_e32 v115, 4, v120
	v_and_b32_e32 v115, 0xf0f0f0f, v115
	v_dot4c_i32_i8_e32 v125, v114, v16
	v_dot4c_i32_i8_e32 v125, v115, v20
	v_and_b32_e32 v114, 0xf0f0f0f, v121
	v_lshrrev_b32_e32 v115, 4, v121
	v_and_b32_e32 v115, 0xf0f0f0f, v115
	v_dot4c_i32_i8_e32 v125, v114, v17
	v_dot4c_i32_i8_e32 v125, v115, v21
	s_waitcnt lgkmcnt(0)
	v_and_b32_e32 v114, 0xf0f0f0f, v122
	v_lshrrev_b32_e32 v115, 4, v122
	v_mov_b32_e32 v124, 0
	v_and_b32_e32 v115, 0xf0f0f0f, v115
	v_dot4c_i32_i8_e32 v124, v114, v14
	v_dot4c_i32_i8_e32 v124, v115, v18
	v_and_b32_e32 v14, 0xf0f0f0f, v123
	v_dot4c_i32_i8_e32 v124, v14, v15
	v_add_u32_e32 v14, 0x3188, v79
	ds_read2_b32 v[14:15], v14 offset1:1
	v_lshrrev_b32_e32 v18, 4, v123
	v_and_b32_e32 v18, 0xf0f0f0f, v18
	v_dot4c_i32_i8_e32 v124, v18, v19
	v_add_u32_e32 v18, 0x1090, v79
	v_add_u32_e32 v122, 0x2110, v79
	;; [unrolled: 1-line block ×3, first 2 shown]
	ds_read2_b32 v[114:115], v18 offset1:1
	ds_read2_b32 v[120:121], v19 offset1:1
	;; [unrolled: 1-line block ×3, first 2 shown]
	s_waitcnt lgkmcnt(3)
	v_and_b32_e32 v18, 0xf0f0f0f, v14
	v_lshrrev_b32_e32 v14, 4, v14
	v_and_b32_e32 v14, 0xf0f0f0f, v14
	v_dot4c_i32_i8_e32 v124, v18, v16
	v_dot4c_i32_i8_e32 v124, v14, v20
	v_and_b32_e32 v14, 0xf0f0f0f, v15
	v_lshrrev_b32_e32 v15, 4, v15
	v_and_b32_e32 v15, 0xf0f0f0f, v15
	v_dot4c_i32_i8_e32 v124, v14, v17
	v_dot4c_i32_i8_e32 v124, v15, v21
	v_cvt_f32_f16_sdwa v15, v3 dst_sel:DWORD dst_unused:UNUSED_PAD src0_sel:WORD_1
	v_cvt_f32_f16_e32 v14, v3
	v_and_b32_e32 v3, 0xf0f0f0f, v108
	v_mov_b32_e32 v17, 0
	v_mul_f32_e32 v16, 0x41000000, v15
	v_lshrrev_b32_e32 v15, 4, v108
	v_and_b32_e32 v15, 0xf0f0f0f, v15
	v_dot4c_i32_i8_e32 v17, v3, v6
	v_dot4c_i32_i8_e32 v17, v15, v10
	v_and_b32_e32 v3, 0xf0f0f0f, v109
	v_lshrrev_b32_e32 v15, 4, v109
	v_and_b32_e32 v15, 0xf0f0f0f, v15
	v_dot4c_i32_i8_e32 v17, v3, v7
	v_dot4c_i32_i8_e32 v17, v15, v11
	v_and_b32_e32 v3, 0xf0f0f0f, v110
	;; [unrolled: 5-line block ×3, first 2 shown]
	v_lshrrev_b32_e32 v15, 4, v111
	v_and_b32_e32 v15, 0xf0f0f0f, v15
	v_dot4c_i32_i8_e32 v17, v3, v9
	v_dot4c_i32_i8_e32 v17, v15, v13
	s_waitcnt lgkmcnt(2)
	v_and_b32_e32 v3, 0xf0f0f0f, v114
	v_lshrrev_b32_e32 v15, 4, v114
	v_mov_b32_e32 v20, 0
	v_and_b32_e32 v15, 0xf0f0f0f, v15
	v_dot4c_i32_i8_e32 v20, v3, v6
	v_dot4c_i32_i8_e32 v20, v15, v10
	v_and_b32_e32 v3, 0xf0f0f0f, v115
	v_lshrrev_b32_e32 v15, 4, v115
	v_and_b32_e32 v15, 0xf0f0f0f, v15
	v_dot4c_i32_i8_e32 v20, v3, v7
	v_dot4c_i32_i8_e32 v20, v15, v11
	s_waitcnt lgkmcnt(1)
	v_and_b32_e32 v3, 0xf0f0f0f, v120
	v_lshrrev_b32_e32 v15, 4, v120
	v_and_b32_e32 v15, 0xf0f0f0f, v15
	v_dot4c_i32_i8_e32 v20, v3, v8
	v_dot4c_i32_i8_e32 v20, v15, v12
	v_and_b32_e32 v3, 0xf0f0f0f, v121
	v_lshrrev_b32_e32 v15, 4, v121
	v_and_b32_e32 v15, 0xf0f0f0f, v15
	v_dot4c_i32_i8_e32 v20, v3, v9
	v_dot4c_i32_i8_e32 v20, v15, v13
	s_waitcnt lgkmcnt(0)
	v_and_b32_e32 v3, 0xf0f0f0f, v122
	v_lshrrev_b32_e32 v15, 4, v122
	v_and_b32_e32 v15, 0xf0f0f0f, v15
	v_cvt_f32_i32_e32 v21, v20
	v_cvt_f32_i32_e32 v20, v17
	v_mov_b32_e32 v17, 0
	v_dot4c_i32_i8_e32 v17, v3, v6
	v_dot4c_i32_i8_e32 v17, v15, v10
	v_and_b32_e32 v3, 0xf0f0f0f, v123
	v_dot4c_i32_i8_e32 v17, v3, v7
	v_add_u32_e32 v3, 0x2118, v79
	ds_read2_b32 v[108:109], v3 offset1:1
	v_lshrrev_b32_e32 v15, 4, v123
	v_and_b32_e32 v15, 0xf0f0f0f, v15
	v_dot4c_i32_i8_e32 v17, v15, v11
	v_add_u32_e32 v15, 0x3190, v79
	v_add_u32_e32 v114, 0x3198, v79
	;; [unrolled: 1-line block ×3, first 2 shown]
	ds_read2_b32 v[110:111], v15 offset1:1
	ds_read2_b32 v[114:115], v114 offset1:1
	;; [unrolled: 1-line block ×3, first 2 shown]
	s_waitcnt lgkmcnt(3)
	v_and_b32_e32 v3, 0xf0f0f0f, v108
	v_lshrrev_b32_e32 v15, 4, v108
	v_and_b32_e32 v15, 0xf0f0f0f, v15
	v_dot4c_i32_i8_e32 v17, v3, v8
	v_dot4c_i32_i8_e32 v17, v15, v12
	v_and_b32_e32 v3, 0xf0f0f0f, v109
	v_lshrrev_b32_e32 v15, 4, v109
	v_and_b32_e32 v15, 0xf0f0f0f, v15
	v_dot4c_i32_i8_e32 v17, v3, v9
	v_dot4c_i32_i8_e32 v17, v15, v13
	s_waitcnt lgkmcnt(2)
	v_and_b32_e32 v3, 0xf0f0f0f, v110
	v_lshrrev_b32_e32 v15, 4, v110
	v_mov_b32_e32 v108, 0
	v_and_b32_e32 v15, 0xf0f0f0f, v15
	v_dot4c_i32_i8_e32 v108, v3, v6
	v_dot4c_i32_i8_e32 v108, v15, v10
	v_and_b32_e32 v3, 0xf0f0f0f, v111
	v_lshrrev_b32_e32 v6, 4, v111
	v_and_b32_e32 v6, 0xf0f0f0f, v6
	v_dot4c_i32_i8_e32 v108, v3, v7
	v_dot4c_i32_i8_e32 v108, v6, v11
	s_waitcnt lgkmcnt(1)
	v_and_b32_e32 v3, 0xf0f0f0f, v114
	v_lshrrev_b32_e32 v6, 4, v114
	v_and_b32_e32 v6, 0xf0f0f0f, v6
	v_dot4c_i32_i8_e32 v108, v3, v8
	v_dot4c_i32_i8_e32 v108, v6, v12
	v_and_b32_e32 v3, 0xf0f0f0f, v115
	v_lshrrev_b32_e32 v6, 4, v115
	v_dot4c_i32_i8_e32 v108, v3, v9
	v_cvt_f32_f16_sdwa v3, v4 dst_sel:DWORD dst_unused:UNUSED_PAD src0_sel:WORD_1
	v_cvt_f32_i32_e32 v19, v124
	v_cvt_f32_i32_e32 v18, v125
	v_and_b32_e32 v6, 0xf0f0f0f, v6
	ds_read_b128 v[120:123], v75 offset:64
	ds_read_b128 v[124:127], v75 offset:80
	v_dot4c_i32_i8_e32 v108, v6, v13
	v_mul_f32_e32 v8, 0x41000000, v3
	v_and_b32_e32 v3, 0xf0f0f0f, v112
	v_lshrrev_b32_e32 v9, 4, v112
	v_cvt_f32_i32_e32 v7, v108
	ds_read2_b32 v[10:11], v87 offset1:1
	ds_read2_b32 v[108:109], v83 offset0:2 offset1:3
	ds_read2_b32 v[114:115], v83 offset1:1
	ds_read2_b32 v[110:111], v81 offset0:2 offset1:3
	ds_read2_b32 v[12:13], v79 offset0:10 offset1:11
	v_mov_b32_e32 v15, 0
	v_and_b32_e32 v9, 0xf0f0f0f, v9
	s_waitcnt lgkmcnt(6)
	v_dot4c_i32_i8_e32 v15, v3, v120
	s_waitcnt lgkmcnt(5)
	v_dot4c_i32_i8_e32 v15, v9, v124
	v_and_b32_e32 v3, 0xf0f0f0f, v113
	v_lshrrev_b32_e32 v9, 4, v113
	v_and_b32_e32 v9, 0xf0f0f0f, v9
	v_dot4c_i32_i8_e32 v15, v3, v121
	v_dot4c_i32_i8_e32 v15, v9, v125
	s_waitcnt lgkmcnt(0)
	v_and_b32_e32 v3, 0xf0f0f0f, v12
	v_lshrrev_b32_e32 v9, 4, v12
	v_and_b32_e32 v9, 0xf0f0f0f, v9
	v_dot4c_i32_i8_e32 v15, v3, v122
	v_dot4c_i32_i8_e32 v15, v9, v126
	v_and_b32_e32 v3, 0xf0f0f0f, v13
	v_lshrrev_b32_e32 v9, 4, v13
	v_and_b32_e32 v9, 0xf0f0f0f, v9
	v_dot4c_i32_i8_e32 v15, v3, v123
	v_cvt_f32_i32_e32 v6, v17
	v_dot4c_i32_i8_e32 v15, v9, v127
	v_and_b32_e32 v3, 0xf0f0f0f, v128
	v_lshrrev_b32_e32 v9, 4, v128
	v_mov_b32_e32 v17, 0
	v_and_b32_e32 v9, 0xf0f0f0f, v9
	v_dot4c_i32_i8_e32 v17, v3, v120
	v_dot4c_i32_i8_e32 v17, v9, v124
	v_and_b32_e32 v3, 0xf0f0f0f, v129
	v_dot4c_i32_i8_e32 v17, v3, v121
	v_add_u32_e32 v3, 0x10a8, v79
	ds_read2_b32 v[130:131], v79 offset0:12 offset1:13
	ds_read2_b32 v[132:133], v81 offset1:1
	ds_read2_b32 v[134:135], v79 offset0:14 offset1:15
	ds_read2_b32 v[12:13], v3 offset1:1
	v_lshrrev_b32_e32 v9, 4, v129
	v_and_b32_e32 v9, 0xf0f0f0f, v9
	v_dot4c_i32_i8_e32 v17, v9, v125
	v_add_u32_e32 v9, 0x2120, v79
	v_add_u32_e32 v3, 0x31a0, v79
	;; [unrolled: 1-line block ×3, first 2 shown]
	ds_read2_b32 v[128:129], v9 offset1:1
	ds_read2_b32 v[136:137], v112 offset1:1
	;; [unrolled: 1-line block ×3, first 2 shown]
	s_waitcnt lgkmcnt(3)
	v_and_b32_e32 v3, 0xf0f0f0f, v12
	v_lshrrev_b32_e32 v9, 4, v12
	v_and_b32_e32 v9, 0xf0f0f0f, v9
	v_dot4c_i32_i8_e32 v17, v3, v122
	v_dot4c_i32_i8_e32 v17, v9, v126
	v_and_b32_e32 v3, 0xf0f0f0f, v13
	v_lshrrev_b32_e32 v9, 4, v13
	v_and_b32_e32 v9, 0xf0f0f0f, v9
	v_dot4c_i32_i8_e32 v17, v3, v123
	v_dot4c_i32_i8_e32 v17, v9, v127
	s_waitcnt lgkmcnt(2)
	v_and_b32_e32 v3, 0xf0f0f0f, v128
	v_lshrrev_b32_e32 v9, 4, v128
	v_and_b32_e32 v9, 0xf0f0f0f, v9
	v_dot4c_i32_i8_e32 v141, v3, v120
	v_dot4c_i32_i8_e32 v141, v9, v124
	v_and_b32_e32 v3, 0xf0f0f0f, v129
	v_lshrrev_b32_e32 v9, 4, v129
	v_and_b32_e32 v9, 0xf0f0f0f, v9
	v_dot4c_i32_i8_e32 v141, v3, v121
	v_dot4c_i32_i8_e32 v141, v9, v125
	;; [unrolled: 11-line block ×3, first 2 shown]
	s_waitcnt lgkmcnt(0)
	v_and_b32_e32 v3, 0xf0f0f0f, v138
	v_lshrrev_b32_e32 v9, 4, v138
	v_and_b32_e32 v9, 0xf0f0f0f, v9
	v_dot4c_i32_i8_e32 v143, v3, v120
	v_dot4c_i32_i8_e32 v143, v9, v124
	v_and_b32_e32 v3, 0xf0f0f0f, v139
	v_dot4c_i32_i8_e32 v143, v3, v121
	v_add_u32_e32 v3, 0x31a8, v79
	ds_read2_b32 v[112:113], v89 offset1:1
	ds_read2_b32 v[12:13], v87 offset0:2 offset1:3
	ds_read2_b32 v[120:121], v3 offset1:1
	v_lshrrev_b32_e32 v9, 4, v139
	v_and_b32_e32 v9, 0xf0f0f0f, v9
	v_dot4c_i32_i8_e32 v143, v9, v125
	v_add_u32_e32 v9, 0x10b0, v79
	v_add_u32_e32 v3, 0x2130, v79
	;; [unrolled: 1-line block ×3, first 2 shown]
	ds_read2_b32 v[128:129], v9 offset1:1
	ds_read2_b32 v[136:137], v124 offset1:1
	;; [unrolled: 1-line block ×3, first 2 shown]
	s_waitcnt lgkmcnt(3)
	v_and_b32_e32 v3, 0xf0f0f0f, v120
	v_lshrrev_b32_e32 v9, 4, v120
	v_and_b32_e32 v9, 0xf0f0f0f, v9
	v_dot4c_i32_i8_e32 v143, v3, v122
	v_dot4c_i32_i8_e32 v143, v9, v126
	v_and_b32_e32 v3, 0xf0f0f0f, v121
	v_lshrrev_b32_e32 v9, 4, v121
	v_and_b32_e32 v9, 0xf0f0f0f, v9
	v_dot4c_i32_i8_e32 v143, v3, v123
	v_cvt_f32_f16_sdwa v3, v5 dst_sel:DWORD dst_unused:UNUSED_PAD src0_sel:WORD_1
	v_dot4c_i32_i8_e32 v143, v9, v127
	ds_read_b128 v[120:123], v75 offset:96
	ds_read_b128 v[124:127], v75 offset:112
	v_lshrrev_b32_e32 v5, 4, v130
	v_mul_f32_e32 v142, 0x41000000, v3
	v_and_b32_e32 v3, 0xf0f0f0f, v130
	v_mov_b32_e32 v9, 0
	v_and_b32_e32 v5, 0xf0f0f0f, v5
	s_waitcnt lgkmcnt(1)
	v_dot4c_i32_i8_e32 v9, v3, v120
	s_waitcnt lgkmcnt(0)
	v_dot4c_i32_i8_e32 v9, v5, v124
	v_and_b32_e32 v3, 0xf0f0f0f, v131
	v_lshrrev_b32_e32 v5, 4, v131
	v_and_b32_e32 v5, 0xf0f0f0f, v5
	v_dot4c_i32_i8_e32 v9, v3, v121
	v_dot4c_i32_i8_e32 v9, v5, v125
	v_and_b32_e32 v3, 0xf0f0f0f, v134
	v_lshrrev_b32_e32 v5, 4, v134
	v_and_b32_e32 v5, 0xf0f0f0f, v5
	v_dot4c_i32_i8_e32 v9, v3, v122
	;; [unrolled: 5-line block ×3, first 2 shown]
	v_dot4c_i32_i8_e32 v9, v5, v127
	v_and_b32_e32 v3, 0xf0f0f0f, v128
	v_lshrrev_b32_e32 v5, 4, v128
	v_mov_b32_e32 v130, 0
	v_cvt_f32_f16_sdwa v102, v2 dst_sel:DWORD dst_unused:UNUSED_PAD src0_sel:WORD_1
	v_and_b32_e32 v5, 0xf0f0f0f, v5
	v_dot4c_i32_i8_e32 v130, v3, v120
	v_cvt_f32_f16_e32 v2, v2
	v_dot4c_i32_i8_e32 v130, v5, v124
	v_and_b32_e32 v3, 0xf0f0f0f, v129
	v_lshrrev_b32_e32 v5, 4, v129
	v_and_b32_e32 v5, 0xf0f0f0f, v5
	v_dot4c_i32_i8_e32 v130, v3, v121
	v_dot4c_i32_i8_e32 v130, v5, v125
	v_and_b32_e32 v3, 0xf0f0f0f, v136
	v_mul_f32_e32 v102, 0x41000000, v102
	v_dot4c_i32_i8_e32 v130, v3, v122
	v_and_b32_e32 v3, 0xf0f0f0f, v137
	v_lshrrev_b32_e32 v5, 4, v136
	v_pk_fma_f32 v[106:107], v[2:3], v[106:107], v[102:103] op_sel_hi:[0,1,0] neg_lo:[0,0,1] neg_hi:[0,0,1]
	v_mov_b32_e32 v128, v132
	v_mov_b32_e32 v129, v114
	v_cvt_f32_f16_e32 v4, v4
	v_and_b32_e32 v5, 0xf0f0f0f, v5
	v_pk_fma_f32 v[92:93], v[128:129], v[106:107], v[92:93]
	v_cvt_f32_i32_e32 v107, v17
	v_cvt_f32_i32_e32 v106, v15
	v_dot4c_i32_i8_e32 v130, v5, v126
	v_lshrrev_b32_e32 v5, 4, v137
	v_and_b32_e32 v5, 0xf0f0f0f, v5
	v_dot4c_i32_i8_e32 v130, v3, v123
	v_dot4c_i32_i8_e32 v130, v5, v127
	v_pk_fma_f32 v[20:21], v[14:15], v[20:21], v[16:17] op_sel_hi:[0,1,0] neg_lo:[0,0,1] neg_hi:[0,0,1]
	v_mov_b32_e32 v114, v133
	v_pk_fma_f32 v[20:21], v[114:115], v[20:21], v[92:93]
	v_pk_fma_f32 v[92:93], v[4:5], v[106:107], v[8:9] op_sel_hi:[0,1,0] neg_lo:[0,0,1] neg_hi:[0,0,1]
	v_cvt_f32_i32_e32 v107, v130
	v_cvt_f32_i32_e32 v106, v9
	v_and_b32_e32 v3, 0xf0f0f0f, v138
	v_lshrrev_b32_e32 v5, 4, v138
	v_mov_b32_e32 v9, 0
	v_and_b32_e32 v5, 0xf0f0f0f, v5
	v_dot4c_i32_i8_e32 v9, v3, v120
	v_mov_b32_e32 v114, v110
	v_mov_b32_e32 v115, v108
	v_dot4c_i32_i8_e32 v9, v5, v124
	v_and_b32_e32 v3, 0xf0f0f0f, v139
	v_pk_fma_f32 v[20:21], v[114:115], v[92:93], v[20:21]
	v_pk_fma_f32 v[92:93], v[140:141], v[106:107], v[142:143] op_sel_hi:[0,1,0] neg_lo:[0,0,1] neg_hi:[0,0,1]
	v_mov_b32_e32 v108, v111
	v_dot4c_i32_i8_e32 v9, v3, v121
	v_add_u32_e32 v3, 0x2138, v79
	v_pk_fma_f32 v[92:93], v[108:109], v[92:93], v[20:21]
	ds_read2_b32 v[20:21], v3 offset1:1
	v_lshrrev_b32_e32 v5, 4, v139
	v_and_b32_e32 v5, 0xf0f0f0f, v5
	v_dot4c_i32_i8_e32 v9, v5, v125
	v_add_u32_e32 v3, 0x31b0, v79
	v_add_u32_e32 v5, 0x31b8, v79
	ds_read2_b32 v[106:107], v3 offset1:1
	ds_read2_b32 v[108:109], v5 offset1:1
	s_waitcnt lgkmcnt(2)
	v_and_b32_e32 v3, 0xf0f0f0f, v20
	v_lshrrev_b32_e32 v5, 4, v20
	v_and_b32_e32 v5, 0xf0f0f0f, v5
	v_dot4c_i32_i8_e32 v9, v3, v122
	v_dot4c_i32_i8_e32 v9, v5, v126
	v_and_b32_e32 v3, 0xf0f0f0f, v21
	v_lshrrev_b32_e32 v5, 4, v21
	v_and_b32_e32 v5, 0xf0f0f0f, v5
	v_dot4c_i32_i8_e32 v9, v3, v123
	v_dot4c_i32_i8_e32 v9, v5, v127
	s_waitcnt lgkmcnt(1)
	v_and_b32_e32 v3, 0xf0f0f0f, v106
	v_lshrrev_b32_e32 v5, 4, v106
	v_mov_b32_e32 v15, 0
	v_and_b32_e32 v5, 0xf0f0f0f, v5
	v_dot4c_i32_i8_e32 v15, v3, v120
	v_dot4c_i32_i8_e32 v15, v5, v124
	v_and_b32_e32 v3, 0xf0f0f0f, v107
	v_lshrrev_b32_e32 v5, 4, v107
	v_and_b32_e32 v5, 0xf0f0f0f, v5
	v_dot4c_i32_i8_e32 v15, v3, v121
	v_dot4c_i32_i8_e32 v15, v5, v125
	s_waitcnt lgkmcnt(0)
	v_and_b32_e32 v3, 0xf0f0f0f, v108
	v_lshrrev_b32_e32 v5, 4, v108
	v_and_b32_e32 v5, 0xf0f0f0f, v5
	v_dot4c_i32_i8_e32 v15, v3, v122
	v_dot4c_i32_i8_e32 v15, v5, v126
	v_and_b32_e32 v3, 0xf0f0f0f, v109
	v_lshrrev_b32_e32 v5, 4, v109
	v_and_b32_e32 v5, 0xf0f0f0f, v5
	v_dot4c_i32_i8_e32 v15, v3, v123
	v_dot4c_i32_i8_e32 v15, v5, v127
	v_pk_fma_f32 v[2:3], v[2:3], v[18:19], v[102:103] op_sel_hi:[0,1,0] neg_lo:[0,0,1] neg_hi:[0,0,1]
	v_mov_b32_e32 v18, v10
	v_mov_b32_e32 v19, v112
	v_pk_fma_f32 v[2:3], v[18:19], v[2:3], v[84:85]
	v_cvt_f32_i32_e32 v19, v143
	v_cvt_f32_i32_e32 v18, v141
	v_pk_fma_f32 v[6:7], v[14:15], v[6:7], v[16:17] op_sel_hi:[0,1,0] neg_lo:[0,0,1] neg_hi:[0,0,1]
	v_mov_b32_e32 v112, v11
	v_pk_fma_f32 v[2:3], v[112:113], v[6:7], v[2:3]
	v_cvt_f32_i32_e32 v7, v15
	v_cvt_f32_i32_e32 v6, v9
	v_pk_fma_f32 v[4:5], v[4:5], v[18:19], v[8:9] op_sel_hi:[0,1,0] neg_lo:[0,0,1] neg_hi:[0,0,1]
	v_mov_b32_e32 v8, v12
	v_mov_b32_e32 v9, v104
	v_pk_fma_f32 v[2:3], v[8:9], v[4:5], v[2:3]
	v_pk_fma_f32 v[4:5], v[140:141], v[6:7], v[142:143] op_sel_hi:[0,1,0] neg_lo:[0,0,1] neg_hi:[0,0,1]
	v_mov_b32_e32 v104, v13
	v_pk_fma_f32 v[84:85], v[104:105], v[4:5], v[2:3]
	s_cmp_ge_i32 s19, s9
	s_barrier
	s_cbranch_scc1 .LBB218_5
; %bb.13:                               ;   in Loop: Header=BB218_6 Depth=1
	v_add_u32_e32 v2, s10, v91
	v_cmp_gt_i32_e32 vcc, s12, v2
	s_and_b64 s[20:21], s[2:3], vcc
	s_and_saveexec_b64 s[4:5], s[20:21]
	s_cbranch_execz .LBB218_15
; %bb.14:                               ;   in Loop: Header=BB218_6 Depth=1
	v_add_u32_e32 v2, s10, v97
	v_mad_i64_i32 v[2:3], s[20:21], v2, 36, v[54:55]
	global_load_dword v2, v[2:3], off offset:4
	s_waitcnt vmcnt(0)
	ds_write_b32 v71, v2
.LBB218_15:                             ;   in Loop: Header=BB218_6 Depth=1
	s_or_b64 exec, exec, s[4:5]
	s_and_saveexec_b64 s[4:5], s[0:1]
	s_cbranch_execz .LBB218_4
; %bb.16:                               ;   in Loop: Header=BB218_6 Depth=1
	v_add3_u32 v2, v67, s10, 4
	v_cmp_gt_i32_e32 vcc, s12, v2
	s_and_b64 s[20:21], s[2:3], vcc
	s_and_b64 exec, exec, s[20:21]
	s_cbranch_execz .LBB218_4
; %bb.17:                               ;   in Loop: Header=BB218_6 Depth=1
	global_load_dword v2, v[56:57], off
	s_waitcnt vmcnt(0)
	ds_write_b32 v73, v2
	s_branch .LBB218_4
.LBB218_18:
	v_mov_b32_e32 v84, v85
	v_mov_b32_e32 v93, v85
	;; [unrolled: 1-line block ×3, first 2 shown]
.LBB218_19:
	s_mul_i32 s0, s14, s11
	s_waitcnt vmcnt(0)
	v_cmp_gt_i32_e32 vcc, s0, v65
	s_and_saveexec_b64 s[0:1], vcc
	s_cbranch_execz .LBB218_28
; %bb.20:
	v_and_b32_e32 v0, 0x3ff, v0
	v_add_u32_e32 v1, s15, v0
	v_mul_lo_u32 v0, v65, s13
	v_cmp_gt_u32_e32 vcc, s13, v1
	s_and_saveexec_b64 s[0:1], vcc
	s_cbranch_execz .LBB218_22
; %bb.21:
	v_bfe_u32 v2, v92, 16, 1
	s_movk_i32 s2, 0x7fff
	v_add3_u32 v2, v92, v2, s2
	v_lshrrev_b32_e32 v2, 16, v2
	v_mov_b32_e32 v3, 0x7fc0
	v_cmp_o_f32_e32 vcc, v92, v92
	v_cndmask_b32_e32 v4, v3, v2, vcc
	v_add_u32_e32 v2, v0, v1
	v_mov_b32_e32 v3, 0
	v_lshlrev_b64 v[2:3], 1, v[2:3]
	v_mov_b32_e32 v5, s17
	v_add_co_u32_e32 v2, vcc, s16, v2
	v_addc_co_u32_e32 v3, vcc, v5, v3, vcc
	global_store_short v[2:3], v4, off
.LBB218_22:
	s_or_b64 exec, exec, s[0:1]
	v_add_u32_e32 v2, 32, v1
	v_cmp_gt_u32_e32 vcc, s13, v2
	s_and_saveexec_b64 s[0:1], vcc
	s_cbranch_execz .LBB218_24
; %bb.23:
	v_bfe_u32 v3, v93, 16, 1
	s_movk_i32 s2, 0x7fff
	v_add3_u32 v3, v93, v3, s2
	v_lshrrev_b32_e32 v3, 16, v3
	v_mov_b32_e32 v4, 0x7fc0
	v_cmp_o_f32_e32 vcc, v93, v93
	v_cndmask_b32_e32 v4, v4, v3, vcc
	v_add_u32_e32 v2, v0, v2
	v_mov_b32_e32 v3, 0
	v_lshlrev_b64 v[2:3], 1, v[2:3]
	v_mov_b32_e32 v5, s17
	v_add_co_u32_e32 v2, vcc, s16, v2
	v_addc_co_u32_e32 v3, vcc, v5, v3, vcc
	global_store_short v[2:3], v4, off
.LBB218_24:
	s_or_b64 exec, exec, s[0:1]
	v_add_u32_e32 v2, 64, v1
	;; [unrolled: 21-line block ×3, first 2 shown]
	v_cmp_gt_u32_e32 vcc, s13, v1
	s_and_b64 exec, exec, vcc
	s_cbranch_execz .LBB218_28
; %bb.27:
	v_bfe_u32 v2, v85, 16, 1
	s_movk_i32 s0, 0x7fff
	v_add3_u32 v2, v85, v2, s0
	v_add_u32_e32 v0, v0, v1
	v_mov_b32_e32 v1, 0
	v_lshrrev_b32_e32 v2, 16, v2
	v_mov_b32_e32 v3, 0x7fc0
	v_cmp_o_f32_e32 vcc, v85, v85
	v_lshlrev_b64 v[0:1], 1, v[0:1]
	v_cndmask_b32_e32 v2, v3, v2, vcc
	v_mov_b32_e32 v3, s17
	v_add_co_u32_e32 v0, vcc, s16, v0
	v_addc_co_u32_e32 v1, vcc, v3, v1, vcc
	global_store_short v[0:1], v2, off
.LBB218_28:
	s_endpgm
	.section	.rodata,"a",@progbits
	.p2align	6, 0x0
	.amdhsa_kernel _ZL8moe_q4_0IN3c108BFloat16ELb1EEvPKvS3_PT_PKiS7_S7_iiiiiii
		.amdhsa_group_segment_fixed_size 22272
		.amdhsa_private_segment_fixed_size 0
		.amdhsa_kernarg_size 76
		.amdhsa_user_sgpr_count 6
		.amdhsa_user_sgpr_private_segment_buffer 1
		.amdhsa_user_sgpr_dispatch_ptr 0
		.amdhsa_user_sgpr_queue_ptr 0
		.amdhsa_user_sgpr_kernarg_segment_ptr 1
		.amdhsa_user_sgpr_dispatch_id 0
		.amdhsa_user_sgpr_flat_scratch_init 0
		.amdhsa_user_sgpr_kernarg_preload_length 0
		.amdhsa_user_sgpr_kernarg_preload_offset 0
		.amdhsa_user_sgpr_private_segment_size 0
		.amdhsa_uses_dynamic_stack 0
		.amdhsa_system_sgpr_private_segment_wavefront_offset 0
		.amdhsa_system_sgpr_workgroup_id_x 1
		.amdhsa_system_sgpr_workgroup_id_y 1
		.amdhsa_system_sgpr_workgroup_id_z 0
		.amdhsa_system_sgpr_workgroup_info 0
		.amdhsa_system_vgpr_workitem_id 1
		.amdhsa_next_free_vgpr 145
		.amdhsa_next_free_sgpr 24
		.amdhsa_accum_offset 148
		.amdhsa_reserve_vcc 1
		.amdhsa_reserve_flat_scratch 0
		.amdhsa_float_round_mode_32 0
		.amdhsa_float_round_mode_16_64 0
		.amdhsa_float_denorm_mode_32 3
		.amdhsa_float_denorm_mode_16_64 3
		.amdhsa_dx10_clamp 1
		.amdhsa_ieee_mode 1
		.amdhsa_fp16_overflow 0
		.amdhsa_tg_split 0
		.amdhsa_exception_fp_ieee_invalid_op 0
		.amdhsa_exception_fp_denorm_src 0
		.amdhsa_exception_fp_ieee_div_zero 0
		.amdhsa_exception_fp_ieee_overflow 0
		.amdhsa_exception_fp_ieee_underflow 0
		.amdhsa_exception_fp_ieee_inexact 0
		.amdhsa_exception_int_div_zero 0
	.end_amdhsa_kernel
	.section	.text._ZL8moe_q4_0IN3c108BFloat16ELb1EEvPKvS3_PT_PKiS7_S7_iiiiiii,"axG",@progbits,_ZL8moe_q4_0IN3c108BFloat16ELb1EEvPKvS3_PT_PKiS7_S7_iiiiiii,comdat
.Lfunc_end218:
	.size	_ZL8moe_q4_0IN3c108BFloat16ELb1EEvPKvS3_PT_PKiS7_S7_iiiiiii, .Lfunc_end218-_ZL8moe_q4_0IN3c108BFloat16ELb1EEvPKvS3_PT_PKiS7_S7_iiiiiii
                                        ; -- End function
	.section	.AMDGPU.csdata,"",@progbits
; Kernel info:
; codeLenInByte = 9268
; NumSgprs: 28
; NumVgprs: 145
; NumAgprs: 0
; TotalNumVgprs: 145
; ScratchSize: 0
; MemoryBound: 0
; FloatMode: 240
; IeeeMode: 1
; LDSByteSize: 22272 bytes/workgroup (compile time only)
; SGPRBlocks: 3
; VGPRBlocks: 18
; NumSGPRsForWavesPerEU: 28
; NumVGPRsForWavesPerEU: 145
; AccumOffset: 148
; Occupancy: 2
; WaveLimiterHint : 1
; COMPUTE_PGM_RSRC2:SCRATCH_EN: 0
; COMPUTE_PGM_RSRC2:USER_SGPR: 6
; COMPUTE_PGM_RSRC2:TRAP_HANDLER: 0
; COMPUTE_PGM_RSRC2:TGID_X_EN: 1
; COMPUTE_PGM_RSRC2:TGID_Y_EN: 1
; COMPUTE_PGM_RSRC2:TGID_Z_EN: 0
; COMPUTE_PGM_RSRC2:TIDIG_COMP_CNT: 1
; COMPUTE_PGM_RSRC3_GFX90A:ACCUM_OFFSET: 36
; COMPUTE_PGM_RSRC3_GFX90A:TG_SPLIT: 0
	.section	.text._ZL8moe_q4_1IN3c108BFloat16ELb0EEvPKvS3_PT_PKiS7_S7_iiiiiii,"axG",@progbits,_ZL8moe_q4_1IN3c108BFloat16ELb0EEvPKvS3_PT_PKiS7_S7_iiiiiii,comdat
	.globl	_ZL8moe_q4_1IN3c108BFloat16ELb0EEvPKvS3_PT_PKiS7_S7_iiiiiii ; -- Begin function _ZL8moe_q4_1IN3c108BFloat16ELb0EEvPKvS3_PT_PKiS7_S7_iiiiiii
	.p2align	8
	.type	_ZL8moe_q4_1IN3c108BFloat16ELb0EEvPKvS3_PT_PKiS7_S7_iiiiiii,@function
_ZL8moe_q4_1IN3c108BFloat16ELb0EEvPKvS3_PT_PKiS7_S7_iiiiiii: ; @_ZL8moe_q4_1IN3c108BFloat16ELb0EEvPKvS3_PT_PKiS7_S7_iiiiiii
; %bb.0:
	s_load_dwordx4 s[0:3], s[4:5], 0x18
	s_mov_b32 s8, s7
	s_mov_b32 s9, 0
	s_lshl_b64 s[10:11], s[8:9], 2
	s_waitcnt lgkmcnt(0)
	s_add_u32 s2, s2, s10
	s_addc_u32 s3, s3, s11
	s_load_dword s2, s[2:3], 0x0
	s_waitcnt lgkmcnt(0)
	s_cmpk_gt_u32 s2, 0xff
	s_cbranch_scc1 .LBB219_28
; %bb.1:
	s_load_dwordx2 s[10:11], s[4:5], 0x28
	s_lshl_b32 s3, s8, 3
	s_waitcnt lgkmcnt(0)
	s_load_dword s7, s[10:11], 0x0
	s_waitcnt lgkmcnt(0)
	s_cmp_gt_u32 s3, s7
	s_cbranch_scc1 .LBB219_28
; %bb.2:
	v_bfe_u32 v1, v0, 10, 10
	v_add_u32_e32 v56, s3, v1
	v_mov_b32_e32 v57, 0
	v_lshlrev_b64 v[2:3], 2, v[56:57]
	v_mov_b32_e32 v4, s1
	v_add_co_u32_e32 v2, vcc, s0, v2
	v_addc_co_u32_e32 v3, vcc, v4, v3, vcc
	global_load_dword v69, v[2:3], off
	s_load_dwordx2 s[14:15], s[4:5], 0x30
	s_load_dwordx2 s[12:13], s[4:5], 0x10
	s_load_dwordx4 s[8:11], s[4:5], 0x3c
	s_lshl_b32 s16, s6, 7
	s_waitcnt lgkmcnt(0)
	s_cmp_lt_i32 s15, 32
	s_cbranch_scc1 .LBB219_18
; %bb.3:
	v_and_b32_e32 v96, 0x3ff, v0
	s_ashr_i32 s0, s15, 31
	v_lshlrev_b32_e32 v3, 2, v1
	v_lshrrev_b32_e32 v113, 3, v96
	s_load_dwordx4 s[4:7], s[4:5], 0x0
	s_lshr_b32 s0, s0, 27
	s_ashr_i32 s1, s9, 31
	v_and_b32_e32 v56, 7, v96
	v_add_u32_e32 v22, v113, v3
	s_add_i32 s0, s15, s0
	s_lshr_b32 s1, s1, 27
	s_mul_i32 s14, s2, s14
	v_and_b32_e32 v23, 0x1ffc, v22
	v_lshlrev_b32_e32 v24, 2, v56
	s_movk_i32 s2, 0x4200
	s_ashr_i32 s17, s0, 5
	s_add_i32 s1, s9, s1
	v_add3_u32 v63, v23, v24, s2
	v_add_u32_e32 v23, 32, v22
	s_ashr_i32 s9, s1, 5
	v_lshlrev_b32_e32 v2, 2, v96
	s_movk_i32 s1, 0x84
	v_mul_lo_u32 v57, s17, v22
	v_lshlrev_b32_e32 v70, 5, v22
	v_and_b32_e32 v25, 0x3ffc, v23
	v_lshlrev_b32_e32 v72, 5, v23
	v_add_u32_e32 v23, 64, v22
	v_add_u32_e32 v22, 0x60, v22
	v_and_b32_e32 v6, 12, v2
	v_mad_u32_u24 v97, v1, s1, v2
	v_add3_u32 v71, v25, v24, s2
	v_and_b32_e32 v25, 0x3ffc, v23
	v_lshlrev_b32_e32 v74, 5, v23
	v_and_b32_e32 v23, 0x3ffc, v22
	v_and_b32_e32 v2, 28, v2
	v_add3_u32 v73, v25, v24, s2
	v_add3_u32 v75, v23, v24, s2
	v_lshlrev_b32_e32 v76, 5, v22
	v_and_b32_e32 v24, 31, v96
	s_waitcnt lgkmcnt(0)
	v_add_co_u32_e32 v22, vcc, s6, v2
	v_lshlrev_b32_e32 v2, 7, v1
	v_lshl_or_b32 v24, v24, 2, v2
	v_add_u32_e32 v114, 0x5280, v24
	v_mov_b32_e32 v24, 0x5680
	v_mul_lo_u32 v5, s17, v1
	v_add_u32_e32 v116, 0x5280, v2
	v_lshl_add_u32 v117, v1, 4, v24
	v_and_b32_e32 v1, 0xfc, v96
	v_lshlrev_b32_e32 v2, 5, v96
	v_or_b32_e32 v3, v3, v96
	v_add3_u32 v119, v2, v1, s2
	v_add_u32_e32 v1, 32, v96
	v_lshl_add_u32 v115, v3, 2, v24
	v_and_b32_e32 v2, 0x1fc, v1
	v_lshlrev_b32_e32 v3, 5, v1
	v_add3_u32 v120, v3, v2, s2
	v_add_u32_e32 v2, 64, v96
	v_and_b32_e32 v3, 0x1fc, v2
	v_lshlrev_b32_e32 v2, 5, v2
	s_abs_i32 s3, s11
	v_add3_u32 v121, v2, v3, s2
	v_cvt_f32_u32_e32 v3, s3
	v_add_u32_e32 v2, 0x60, v96
	v_and_b32_e32 v24, 0x1fc, v2
	v_lshlrev_b32_e32 v2, 5, v2
	v_add3_u32 v122, v2, v24, s2
	v_rcp_iflag_f32_e32 v2, v3
	s_sub_i32 s2, 0, s3
	s_waitcnt vmcnt(0)
	v_sub_u32_e32 v3, 0, v69
	v_max_i32_e32 v3, v69, v3
	v_mul_f32_e32 v2, 0x4f7ffffe, v2
	v_cvt_u32_f32_e32 v2, v2
	v_mov_b32_e32 v23, s7
	v_addc_co_u32_e32 v23, vcc, 0, v23, vcc
	v_mul_lo_u32 v24, s2, v2
	v_mul_hi_u32 v24, v2, v24
	v_add_u32_e32 v2, v2, v24
	v_mul_hi_u32 v2, v3, v2
	v_mul_lo_u32 v24, v2, s3
	v_sub_u32_e32 v3, v3, v24
	v_add_u32_e32 v24, 1, v2
	v_cmp_le_u32_e32 vcc, s3, v3
	v_cndmask_b32_e32 v2, v2, v24, vcc
	v_subrev_u32_e32 v24, s3, v3
	v_cndmask_b32_e32 v3, v3, v24, vcc
	v_lshrrev_b32_e32 v123, 3, v1
	v_xor_b32_e32 v1, s11, v69
	v_add_u32_e32 v24, 1, v2
	v_cmp_le_u32_e32 vcc, s3, v3
	v_ashrrev_i32_e32 v1, 31, v1
	v_cndmask_b32_e32 v2, v2, v24, vcc
	v_xor_b32_e32 v2, v2, v1
	v_sub_u32_e32 v1, v2, v1
	v_cmp_gt_i32_e64 s[2:3], s8, v1
	v_mul_lo_u32 v1, v1, s9
	v_ashrrev_i32_e32 v2, 31, v1
	v_add_co_u32_e32 v3, vcc, v1, v96
	s_mul_i32 s19, s17, s16
	v_addc_co_u32_e32 v24, vcc, 0, v2, vcc
	v_mad_u64_u32 v[2:3], s[22:23], v3, 36, s[6:7]
	s_movk_i32 s21, 0x90
	v_mad_i32_i24 v3, v24, 36, v3
	v_add_co_u32_e32 v24, vcc, s21, v2
	s_mul_hi_i32 s21, s19, 20
	s_mul_i32 s22, s19, 20
	v_lshrrev_b32_e32 v4, 2, v96
	v_addc_co_u32_e32 v25, vcc, 0, v3, vcc
	v_mov_b32_e32 v2, s22
	v_mov_b32_e32 v3, s21
	s_lshl_b32 s1, s17, 3
	v_mad_u64_u32 v[2:3], s[22:23], v4, 20, v[2:3]
	v_add_u32_e32 v7, s1, v5
	v_mad_u64_u32 v[4:5], s[22:23], v5, 20, v[2:3]
	v_add_u32_e32 v124, v96, v1
	v_add_u32_e32 v125, v123, v1
	;; [unrolled: 1-line block ×3, first 2 shown]
	v_add_co_u32_e32 v1, vcc, v4, v6
	v_addc_co_u32_e32 v4, vcc, 0, v5, vcc
	v_mov_b32_e32 v55, s5
	v_add_co_u32_e32 v1, vcc, s4, v1
	v_addc_co_u32_e32 v4, vcc, v4, v55, vcc
	v_add_co_u32_e32 v26, vcc, 4, v1
	v_addc_co_u32_e32 v1, vcc, 0, v4, vcc
	v_mad_u64_u32 v[4:5], s[22:23], v7, 20, v[2:3]
	v_add_co_u32_e32 v4, vcc, v4, v6
	v_addc_co_u32_e32 v5, vcc, 0, v5, vcc
	v_add_co_u32_e32 v4, vcc, s4, v4
	v_addc_co_u32_e32 v5, vcc, v5, v55, vcc
	v_add_u32_e32 v8, s1, v7
	v_add_co_u32_e32 v28, vcc, 4, v4
	v_addc_co_u32_e32 v27, vcc, 0, v5, vcc
	v_mad_u64_u32 v[4:5], s[22:23], v8, 20, v[2:3]
	v_add_co_u32_e32 v4, vcc, v4, v6
	v_addc_co_u32_e32 v5, vcc, 0, v5, vcc
	v_add_co_u32_e32 v4, vcc, s4, v4
	v_addc_co_u32_e32 v5, vcc, v5, v55, vcc
	v_add_u32_e32 v9, s1, v8
	;; [unrolled: 8-line block ×14, first 2 shown]
	v_add_co_u32_e32 v54, vcc, 4, v4
	v_addc_co_u32_e32 v53, vcc, 0, v5, vcc
	v_mad_u64_u32 v[2:3], s[22:23], v21, 20, v[2:3]
	v_add_co_u32_e32 v2, vcc, v2, v6
	v_addc_co_u32_e32 v3, vcc, 0, v3, vcc
	v_add_co_u32_e32 v2, vcc, s4, v2
	v_addc_co_u32_e32 v3, vcc, v3, v55, vcc
	;; [unrolled: 2-line block ×3, first 2 shown]
	v_mad_u64_u32 v[2:3], s[22:23], v57, 20, 0
	v_mad_i64_i32 v[2:3], s[22:23], s19, 20, v[2:3]
	s_andn2_b32 s0, s0, 31
	v_mad_u64_u32 v[2:3], s[22:23], v56, 20, v[2:3]
	v_add_u32_e32 v61, s0, v57
	v_mov_b32_e32 v4, s5
	v_add_co_u32_e32 v60, vcc, s4, v2
	v_addc_co_u32_e32 v59, vcc, v4, v3, vcc
	v_mad_u64_u32 v[2:3], s[22:23], v61, 20, 0
	v_mad_i64_i32 v[2:3], s[22:23], s19, 20, v[2:3]
	v_mad_u64_u32 v[2:3], s[22:23], v56, 20, v[2:3]
	v_add_u32_e32 v62, s0, v61
	v_add_co_u32_e32 v64, vcc, s4, v2
	v_addc_co_u32_e32 v61, vcc, v4, v3, vcc
	v_mad_u64_u32 v[2:3], s[22:23], v62, 20, 0
	v_mad_i64_i32 v[2:3], s[22:23], s19, 20, v[2:3]
	v_mad_u64_u32 v[2:3], s[22:23], v56, 20, v[2:3]
	v_add_u32_e32 v67, s0, v62
	v_add_co_u32_e32 v66, vcc, s4, v2
	v_addc_co_u32_e32 v65, vcc, v4, v3, vcc
	v_mad_u64_u32 v[2:3], s[22:23], v67, 20, 0
	v_mad_i64_i32 v[2:3], s[22:23], s19, 20, v[2:3]
	v_mad_u64_u32 v[2:3], s[22:23], v56, 20, v[2:3]
	s_ashr_i32 s20, s14, 31
	v_mul_u32_u24_e32 v118, 0x84, v96
	v_add_co_u32_e32 v68, vcc, s4, v2
	v_mov_b32_e32 v62, 0
	s_mov_b32 s18, 0
	v_add_u32_e32 v98, 0x420, v97
	v_add_u32_e32 v99, 0x840, v97
	;; [unrolled: 1-line block ×15, first 2 shown]
	v_cmp_gt_u32_e64 s[0:1], 4, v96
	v_addc_co_u32_e32 v67, vcc, v4, v3, vcc
	s_movk_i32 s19, 0x80
	v_add_u32_e32 v127, v63, v70
	v_add_u32_e32 v128, v71, v72
	;; [unrolled: 1-line block ×4, first 2 shown]
	v_mov_b32_e32 v131, s20
	v_add_u32_e32 v132, 0x1080, v118
	v_add_u32_e32 v133, 0x1088, v118
	v_mov_b32_e32 v63, v62
	v_mov_b32_e32 v56, v62
	;; [unrolled: 1-line block ×3, first 2 shown]
	s_branch .LBB219_6
.LBB219_4:                              ;   in Loop: Header=BB219_6 Depth=1
	s_or_b64 exec, exec, s[4:5]
	s_waitcnt lgkmcnt(0)
	s_barrier
	ds_read_b128 v[2:5], v117
	ds_read2_b32 v[70:71], v118 offset0:16 offset1:17
	ds_read_b128 v[14:17], v116
	ds_read_b128 v[18:21], v116 offset:16
	ds_read_b128 v[6:9], v116 offset:32
	;; [unrolled: 1-line block ×3, first 2 shown]
	ds_read2_b32 v[72:73], v119 offset0:4 offset1:5
	s_waitcnt lgkmcnt(5)
	v_and_b32_e32 v74, 0xf0f0f0f, v70
	v_lshrrev_b32_e32 v70, 4, v70
	v_mov_b32_e32 v90, 0
	v_and_b32_e32 v70, 0xf0f0f0f, v70
	s_waitcnt lgkmcnt(4)
	v_dot4c_i32_i8_e32 v90, v74, v14
	s_waitcnt lgkmcnt(3)
	v_dot4c_i32_i8_e32 v90, v70, v18
	v_and_b32_e32 v70, 0xf0f0f0f, v71
	v_lshrrev_b32_e32 v71, 4, v71
	v_and_b32_e32 v74, 0xf0f0f0f, v71
	v_dot4c_i32_i8_e32 v90, v70, v15
	ds_read2_b32 v[70:71], v118 offset0:18 offset1:19
	v_dot4c_i32_i8_e32 v90, v74, v19
	ds_read2_b32 v[80:81], v118 offset0:20 offset1:21
	ds_read2_b32 v[82:83], v118 offset0:22 offset1:23
	ds_read2_b32 v[86:87], v118 offset0:24 offset1:25
	s_waitcnt lgkmcnt(4)
	v_pk_mul_f16 v91, v2, v72
	v_mov_b32_e32 v140, 0
	s_waitcnt lgkmcnt(3)
	v_and_b32_e32 v74, 0xf0f0f0f, v70
	v_lshrrev_b32_e32 v70, 4, v70
	v_and_b32_e32 v70, 0xf0f0f0f, v70
	v_dot4c_i32_i8_e32 v90, v74, v16
	v_dot4c_i32_i8_e32 v90, v70, v20
	v_and_b32_e32 v70, 0xf0f0f0f, v71
	v_dot4c_i32_i8_e32 v90, v70, v17
	v_add_u32_e32 v70, 0x10c0, v118
	ds_read2_b32 v[76:77], v70 offset1:1
	ds_read2_b32 v[88:89], v118 offset0:26 offset1:27
	ds_read2_b32 v[74:75], v118 offset0:28 offset1:29
	;; [unrolled: 1-line block ×3, first 2 shown]
	v_lshrrev_b32_e32 v71, 4, v71
	s_waitcnt lgkmcnt(3)
	v_and_b32_e32 v72, 0xf0f0f0f, v76
	v_lshrrev_b32_e32 v76, 4, v76
	v_and_b32_e32 v76, 0xf0f0f0f, v76
	v_dot4c_i32_i8_e32 v140, v72, v14
	v_dot4c_i32_i8_e32 v140, v76, v18
	v_and_b32_e32 v72, 0xf0f0f0f, v77
	v_lshrrev_b32_e32 v76, 4, v77
	v_and_b32_e32 v71, 0xf0f0f0f, v71
	v_and_b32_e32 v76, 0xf0f0f0f, v76
	v_dot4c_i32_i8_e32 v140, v72, v15
	v_add_u32_e32 v72, 0x10c8, v118
	v_dot4c_i32_i8_e32 v90, v71, v21
	ds_read2_b32 v[92:93], v120 offset0:4 offset1:5
	ds_read2_b32 v[70:71], v122 offset0:6 offset1:7
	v_dot4c_i32_i8_e32 v140, v76, v19
	ds_read2_b32 v[76:77], v72 offset1:1
	v_add_u32_e32 v84, 0x2140, v118
	v_add_u32_e32 v72, 0x31c0, v118
	;; [unrolled: 1-line block ×3, first 2 shown]
	ds_read2_b32 v[94:95], v84 offset1:1
	ds_read2_b32 v[134:135], v85 offset1:1
	;; [unrolled: 1-line block ×3, first 2 shown]
	s_waitcnt lgkmcnt(3)
	v_and_b32_e32 v72, 0xf0f0f0f, v76
	v_lshrrev_b32_e32 v76, 4, v76
	v_and_b32_e32 v76, 0xf0f0f0f, v76
	v_dot4c_i32_i8_e32 v140, v72, v16
	v_dot4c_i32_i8_e32 v140, v76, v20
	v_and_b32_e32 v72, 0xf0f0f0f, v77
	v_dot4c_i32_i8_e32 v140, v72, v17
	s_waitcnt lgkmcnt(2)
	v_lshrrev_b32_e32 v72, 4, v94
	v_and_b32_e32 v141, 0xf0f0f0f, v94
	v_and_b32_e32 v94, 0xf0f0f0f, v72
	v_mov_b32_e32 v72, 0
	v_dot4c_i32_i8_e32 v72, v141, v14
	v_dot4c_i32_i8_e32 v72, v94, v18
	v_and_b32_e32 v94, 0xf0f0f0f, v95
	v_lshrrev_b32_e32 v95, 4, v95
	v_and_b32_e32 v95, 0xf0f0f0f, v95
	v_dot4c_i32_i8_e32 v72, v94, v15
	v_dot4c_i32_i8_e32 v72, v95, v19
	s_waitcnt lgkmcnt(1)
	v_and_b32_e32 v94, 0xf0f0f0f, v134
	v_lshrrev_b32_e32 v95, 4, v134
	v_and_b32_e32 v95, 0xf0f0f0f, v95
	v_dot4c_i32_i8_e32 v72, v94, v16
	v_dot4c_i32_i8_e32 v72, v95, v20
	v_and_b32_e32 v94, 0xf0f0f0f, v135
	v_lshrrev_b32_e32 v95, 4, v135
	v_and_b32_e32 v95, 0xf0f0f0f, v95
	v_dot4c_i32_i8_e32 v72, v94, v17
	v_dot4c_i32_i8_e32 v72, v95, v21
	s_waitcnt lgkmcnt(0)
	v_and_b32_e32 v94, 0xf0f0f0f, v136
	v_lshrrev_b32_e32 v95, 4, v136
	v_mov_b32_e32 v141, 0
	v_and_b32_e32 v95, 0xf0f0f0f, v95
	v_dot4c_i32_i8_e32 v141, v94, v14
	v_lshrrev_b32_e32 v76, 4, v77
	v_dot4c_i32_i8_e32 v141, v95, v18
	v_and_b32_e32 v14, 0xf0f0f0f, v137
	v_and_b32_e32 v76, 0xf0f0f0f, v76
	v_dot4c_i32_i8_e32 v141, v14, v15
	v_add_u32_e32 v14, 0x31c8, v118
	v_dot4c_i32_i8_e32 v140, v76, v21
	ds_read2_b32 v[138:139], v121 offset0:4 offset1:5
	ds_read2_b32 v[76:77], v120 offset0:6 offset1:7
	;; [unrolled: 1-line block ×3, first 2 shown]
	ds_read2_b32 v[14:15], v14 offset1:1
	v_lshrrev_b32_e32 v18, 4, v137
	v_and_b32_e32 v18, 0xf0f0f0f, v18
	v_dot4c_i32_i8_e32 v141, v18, v19
	v_add_u32_e32 v18, 0x10d0, v118
	v_add_u32_e32 v94, 0x10d8, v118
	v_add_u32_e32 v134, 0x2150, v118
	s_waitcnt lgkmcnt(0)
	v_and_b32_e32 v136, 0xf0f0f0f, v14
	ds_read2_b32 v[18:19], v18 offset1:1
	ds_read2_b32 v[94:95], v94 offset1:1
	;; [unrolled: 1-line block ×3, first 2 shown]
	v_dot4c_i32_i8_e32 v141, v136, v16
	ds_read2_b32 v[136:137], v122 offset0:4 offset1:5
	v_lshrrev_b32_e32 v14, 4, v14
	v_and_b32_e32 v14, 0xf0f0f0f, v14
	v_dot4c_i32_i8_e32 v141, v14, v20
	v_and_b32_e32 v14, 0xf0f0f0f, v15
	v_lshrrev_b32_e32 v15, 4, v15
	v_and_b32_e32 v15, 0xf0f0f0f, v15
	v_dot4c_i32_i8_e32 v141, v14, v17
	v_pk_mul_f16 v92, v2, v92
	v_pk_mul_f16 v138, v2, v138
	v_dot4c_i32_i8_e32 v141, v15, v21
	ds_read2_b32 v[14:15], v121 offset0:6 offset1:7
	s_waitcnt lgkmcnt(1)
	v_pk_mul_f16 v136, v2, v136
	v_and_b32_e32 v2, 0xf0f0f0f, v80
	v_lshrrev_b32_e32 v16, 4, v80
	v_mov_b32_e32 v142, 0
	v_and_b32_e32 v16, 0xf0f0f0f, v16
	v_dot4c_i32_i8_e32 v142, v2, v6
	v_dot4c_i32_i8_e32 v142, v16, v10
	v_and_b32_e32 v2, 0xf0f0f0f, v81
	v_lshrrev_b32_e32 v16, 4, v81
	v_and_b32_e32 v16, 0xf0f0f0f, v16
	v_dot4c_i32_i8_e32 v142, v2, v7
	v_dot4c_i32_i8_e32 v142, v16, v11
	v_and_b32_e32 v2, 0xf0f0f0f, v82
	v_lshrrev_b32_e32 v16, 4, v82
	;; [unrolled: 5-line block ×4, first 2 shown]
	v_mov_b32_e32 v82, 0
	v_and_b32_e32 v16, 0xf0f0f0f, v16
	v_dot4c_i32_i8_e32 v82, v2, v6
	v_dot4c_i32_i8_e32 v82, v16, v10
	v_and_b32_e32 v2, 0xf0f0f0f, v19
	v_lshrrev_b32_e32 v16, 4, v19
	v_and_b32_e32 v16, 0xf0f0f0f, v16
	v_dot4c_i32_i8_e32 v82, v2, v7
	v_dot4c_i32_i8_e32 v82, v16, v11
	v_and_b32_e32 v2, 0xf0f0f0f, v94
	v_lshrrev_b32_e32 v16, 4, v94
	;; [unrolled: 5-line block ×3, first 2 shown]
	v_and_b32_e32 v16, 0xf0f0f0f, v16
	v_dot4c_i32_i8_e32 v82, v2, v9
	v_dot4c_i32_i8_e32 v82, v16, v13
	v_pk_mul_f16 v83, v3, v93
	v_and_b32_e32 v2, 0xf0f0f0f, v134
	v_lshrrev_b32_e32 v16, 4, v134
	v_mov_b32_e32 v93, 0
	v_and_b32_e32 v16, 0xf0f0f0f, v16
	v_dot4c_i32_i8_e32 v93, v2, v6
	v_dot4c_i32_i8_e32 v93, v16, v10
	v_and_b32_e32 v2, 0xf0f0f0f, v135
	v_lshrrev_b32_e32 v16, 4, v135
	v_and_b32_e32 v16, 0xf0f0f0f, v16
	v_dot4c_i32_i8_e32 v93, v2, v7
	v_add_u32_e32 v2, 0x2158, v118
	v_dot4c_i32_i8_e32 v93, v16, v11
	ds_read2_b32 v[16:17], v2 offset1:1
	v_add_u32_e32 v18, 0x31d0, v118
	v_add_u32_e32 v20, 0x31d8, v118
	;; [unrolled: 1-line block ×3, first 2 shown]
	ds_read2_b32 v[18:19], v18 offset1:1
	ds_read2_b32 v[20:21], v20 offset1:1
	;; [unrolled: 1-line block ×3, first 2 shown]
	s_waitcnt lgkmcnt(3)
	v_and_b32_e32 v2, 0xf0f0f0f, v16
	v_lshrrev_b32_e32 v16, 4, v16
	v_and_b32_e32 v16, 0xf0f0f0f, v16
	v_dot4c_i32_i8_e32 v93, v2, v8
	v_dot4c_i32_i8_e32 v93, v16, v12
	v_and_b32_e32 v2, 0xf0f0f0f, v17
	v_lshrrev_b32_e32 v16, 4, v17
	v_and_b32_e32 v16, 0xf0f0f0f, v16
	v_dot4c_i32_i8_e32 v93, v2, v9
	v_dot4c_i32_i8_e32 v93, v16, v13
	s_waitcnt lgkmcnt(2)
	v_and_b32_e32 v2, 0xf0f0f0f, v18
	v_lshrrev_b32_e32 v16, 4, v18
	v_mov_b32_e32 v95, 0
	v_and_b32_e32 v16, 0xf0f0f0f, v16
	v_dot4c_i32_i8_e32 v95, v2, v6
	v_dot4c_i32_i8_e32 v95, v16, v10
	v_and_b32_e32 v2, 0xf0f0f0f, v19
	v_lshrrev_b32_e32 v6, 4, v19
	v_and_b32_e32 v6, 0xf0f0f0f, v6
	v_dot4c_i32_i8_e32 v95, v2, v7
	v_dot4c_i32_i8_e32 v95, v6, v11
	s_waitcnt lgkmcnt(1)
	v_and_b32_e32 v2, 0xf0f0f0f, v20
	v_lshrrev_b32_e32 v6, 4, v20
	v_and_b32_e32 v6, 0xf0f0f0f, v6
	v_dot4c_i32_i8_e32 v95, v2, v8
	v_dot4c_i32_i8_e32 v95, v6, v12
	v_and_b32_e32 v2, 0xf0f0f0f, v21
	v_lshrrev_b32_e32 v6, 4, v21
	v_and_b32_e32 v6, 0xf0f0f0f, v6
	v_dot4c_i32_i8_e32 v95, v2, v9
	v_dot4c_i32_i8_e32 v95, v6, v13
	ds_read_b128 v[6:9], v116 offset:64
	ds_read_b128 v[10:13], v116 offset:80
	v_pk_mul_f16 v73, v3, v73
	v_pk_mul_f16 v94, v3, v139
	;; [unrolled: 1-line block ×3, first 2 shown]
	v_and_b32_e32 v2, 0xf0f0f0f, v86
	v_lshrrev_b32_e32 v3, 4, v86
	v_mov_b32_e32 v86, 0
	v_and_b32_e32 v3, 0xf0f0f0f, v3
	s_waitcnt lgkmcnt(1)
	v_dot4c_i32_i8_e32 v86, v2, v6
	s_waitcnt lgkmcnt(0)
	v_dot4c_i32_i8_e32 v86, v3, v10
	v_and_b32_e32 v2, 0xf0f0f0f, v87
	v_lshrrev_b32_e32 v3, 4, v87
	v_and_b32_e32 v3, 0xf0f0f0f, v3
	v_dot4c_i32_i8_e32 v86, v2, v7
	v_dot4c_i32_i8_e32 v86, v3, v11
	v_and_b32_e32 v2, 0xf0f0f0f, v88
	v_lshrrev_b32_e32 v3, 4, v88
	v_and_b32_e32 v3, 0xf0f0f0f, v3
	v_dot4c_i32_i8_e32 v86, v2, v8
	;; [unrolled: 5-line block ×3, first 2 shown]
	v_dot4c_i32_i8_e32 v86, v3, v13
	v_and_b32_e32 v2, 0xf0f0f0f, v80
	v_lshrrev_b32_e32 v3, 4, v80
	v_mov_b32_e32 v87, 0
	v_and_b32_e32 v3, 0xf0f0f0f, v3
	v_dot4c_i32_i8_e32 v87, v2, v6
	v_dot4c_i32_i8_e32 v87, v3, v10
	v_and_b32_e32 v2, 0xf0f0f0f, v81
	v_lshrrev_b32_e32 v3, 4, v81
	v_and_b32_e32 v3, 0xf0f0f0f, v3
	v_dot4c_i32_i8_e32 v87, v2, v7
	v_add_u32_e32 v2, 0x10e8, v118
	v_dot4c_i32_i8_e32 v87, v3, v11
	ds_read2_b32 v[2:3], v2 offset1:1
	v_add_u32_e32 v16, 0x2160, v118
	v_add_u32_e32 v18, 0x2168, v118
	;; [unrolled: 1-line block ×3, first 2 shown]
	ds_read2_b32 v[16:17], v16 offset1:1
	ds_read2_b32 v[18:19], v18 offset1:1
	;; [unrolled: 1-line block ×3, first 2 shown]
	s_waitcnt lgkmcnt(3)
	v_and_b32_e32 v80, 0xf0f0f0f, v2
	v_lshrrev_b32_e32 v2, 4, v2
	v_and_b32_e32 v2, 0xf0f0f0f, v2
	v_dot4c_i32_i8_e32 v87, v80, v8
	v_dot4c_i32_i8_e32 v87, v2, v12
	v_and_b32_e32 v2, 0xf0f0f0f, v3
	v_lshrrev_b32_e32 v3, 4, v3
	v_and_b32_e32 v3, 0xf0f0f0f, v3
	v_dot4c_i32_i8_e32 v87, v2, v9
	v_dot4c_i32_i8_e32 v87, v3, v13
	s_waitcnt lgkmcnt(2)
	v_and_b32_e32 v2, 0xf0f0f0f, v16
	v_lshrrev_b32_e32 v3, 4, v16
	v_mov_b32_e32 v88, 0
	v_and_b32_e32 v3, 0xf0f0f0f, v3
	v_dot4c_i32_i8_e32 v88, v2, v6
	v_dot4c_i32_i8_e32 v88, v3, v10
	v_and_b32_e32 v2, 0xf0f0f0f, v17
	v_lshrrev_b32_e32 v3, 4, v17
	v_and_b32_e32 v3, 0xf0f0f0f, v3
	v_dot4c_i32_i8_e32 v88, v2, v7
	v_dot4c_i32_i8_e32 v88, v3, v11
	s_waitcnt lgkmcnt(1)
	v_and_b32_e32 v2, 0xf0f0f0f, v18
	v_lshrrev_b32_e32 v3, 4, v18
	v_and_b32_e32 v3, 0xf0f0f0f, v3
	v_dot4c_i32_i8_e32 v88, v2, v8
	v_dot4c_i32_i8_e32 v88, v3, v12
	v_and_b32_e32 v2, 0xf0f0f0f, v19
	v_lshrrev_b32_e32 v3, 4, v19
	v_and_b32_e32 v3, 0xf0f0f0f, v3
	v_dot4c_i32_i8_e32 v88, v2, v9
	v_dot4c_i32_i8_e32 v88, v3, v13
	s_waitcnt lgkmcnt(0)
	v_and_b32_e32 v2, 0xf0f0f0f, v20
	v_lshrrev_b32_e32 v3, 4, v20
	v_mov_b32_e32 v135, 0
	v_and_b32_e32 v3, 0xf0f0f0f, v3
	v_dot4c_i32_i8_e32 v135, v2, v6
	v_dot4c_i32_i8_e32 v135, v3, v10
	v_and_b32_e32 v2, 0xf0f0f0f, v21
	v_lshrrev_b32_e32 v3, 4, v21
	v_and_b32_e32 v3, 0xf0f0f0f, v3
	v_dot4c_i32_i8_e32 v135, v2, v7
	v_add_u32_e32 v2, 0x31e8, v118
	v_dot4c_i32_i8_e32 v135, v3, v11
	ds_read2_b32 v[2:3], v2 offset1:1
	v_add_u32_e32 v6, 0x10f0, v118
	v_add_u32_e32 v7, 0x10f8, v118
	;; [unrolled: 1-line block ×3, first 2 shown]
	ds_read2_b32 v[16:17], v6 offset1:1
	ds_read2_b32 v[18:19], v7 offset1:1
	;; [unrolled: 1-line block ×3, first 2 shown]
	s_waitcnt lgkmcnt(3)
	v_and_b32_e32 v6, 0xf0f0f0f, v2
	v_lshrrev_b32_e32 v2, 4, v2
	v_and_b32_e32 v2, 0xf0f0f0f, v2
	v_dot4c_i32_i8_e32 v135, v6, v8
	v_dot4c_i32_i8_e32 v135, v2, v12
	v_and_b32_e32 v2, 0xf0f0f0f, v3
	v_lshrrev_b32_e32 v3, 4, v3
	v_and_b32_e32 v3, 0xf0f0f0f, v3
	v_dot4c_i32_i8_e32 v135, v2, v9
	v_dot4c_i32_i8_e32 v135, v3, v13
	ds_read_b128 v[6:9], v116 offset:96
	ds_read_b128 v[10:13], v116 offset:112
	v_pk_mul_f16 v84, v4, v84
	v_pk_mul_f16 v76, v4, v76
	;; [unrolled: 1-line block ×4, first 2 shown]
	v_and_b32_e32 v2, 0xf0f0f0f, v74
	v_lshrrev_b32_e32 v3, 4, v74
	v_mov_b32_e32 v4, 0
	v_and_b32_e32 v3, 0xf0f0f0f, v3
	s_waitcnt lgkmcnt(1)
	v_dot4c_i32_i8_e32 v4, v2, v6
	s_waitcnt lgkmcnt(0)
	v_dot4c_i32_i8_e32 v4, v3, v10
	v_and_b32_e32 v2, 0xf0f0f0f, v75
	v_lshrrev_b32_e32 v3, 4, v75
	v_and_b32_e32 v3, 0xf0f0f0f, v3
	v_dot4c_i32_i8_e32 v4, v2, v7
	v_dot4c_i32_i8_e32 v4, v3, v11
	v_and_b32_e32 v2, 0xf0f0f0f, v78
	v_lshrrev_b32_e32 v3, 4, v78
	v_and_b32_e32 v3, 0xf0f0f0f, v3
	v_dot4c_i32_i8_e32 v4, v2, v8
	;; [unrolled: 5-line block ×3, first 2 shown]
	v_dot4c_i32_i8_e32 v4, v3, v13
	v_pk_mul_f16 v14, v5, v85
	v_and_b32_e32 v2, 0xf0f0f0f, v16
	v_lshrrev_b32_e32 v3, 4, v16
	v_mov_b32_e32 v85, 0
	v_and_b32_e32 v3, 0xf0f0f0f, v3
	v_dot4c_i32_i8_e32 v85, v2, v6
	v_dot4c_i32_i8_e32 v85, v3, v10
	v_and_b32_e32 v2, 0xf0f0f0f, v17
	v_lshrrev_b32_e32 v3, 4, v17
	v_and_b32_e32 v3, 0xf0f0f0f, v3
	v_dot4c_i32_i8_e32 v85, v2, v7
	v_dot4c_i32_i8_e32 v85, v3, v11
	v_and_b32_e32 v2, 0xf0f0f0f, v18
	v_lshrrev_b32_e32 v3, 4, v18
	;; [unrolled: 5-line block ×3, first 2 shown]
	v_and_b32_e32 v3, 0xf0f0f0f, v3
	v_dot4c_i32_i8_e32 v85, v2, v9
	v_dot4c_i32_i8_e32 v85, v3, v13
	v_cvt_f32_f16_e32 v3, v92
	v_cvt_f32_f16_e32 v2, v91
	v_cvt_f32_f16_sdwa v17, v92 dst_sel:DWORD dst_unused:UNUSED_PAD src0_sel:WORD_1
	v_cvt_f32_f16_sdwa v16, v91 dst_sel:DWORD dst_unused:UNUSED_PAD src0_sel:WORD_1
	v_cvt_f32_i32_e32 v19, v140
	v_cvt_f32_i32_e32 v18, v90
	v_cvt_f32_f16_e32 v75, v83
	v_cvt_f32_f16_e32 v74, v73
	v_cvt_f32_f16_sdwa v79, v83 dst_sel:DWORD dst_unused:UNUSED_PAD src0_sel:WORD_1
	v_cvt_f32_f16_sdwa v78, v73 dst_sel:DWORD dst_unused:UNUSED_PAD src0_sel:WORD_1
	v_cvt_f32_i32_e32 v81, v82
	v_cvt_f32_i32_e32 v80, v142
	v_pk_fma_f32 v[2:3], v[2:3], v[18:19], v[16:17]
	v_pk_mul_f16 v73, v5, v77
	v_pk_add_f32 v[2:3], v[62:63], v[2:3]
	v_pk_fma_f32 v[16:17], v[74:75], v[80:81], v[78:79]
	v_cvt_f32_f16_e32 v19, v76
	v_cvt_f32_f16_e32 v18, v84
	v_cvt_f32_f16_sdwa v63, v76 dst_sel:DWORD dst_unused:UNUSED_PAD src0_sel:WORD_1
	v_cvt_f32_f16_sdwa v62, v84 dst_sel:DWORD dst_unused:UNUSED_PAD src0_sel:WORD_1
	v_cvt_f32_i32_e32 v75, v87
	v_cvt_f32_i32_e32 v74, v86
	v_cvt_f32_f16_e32 v77, v73
	v_cvt_f32_f16_e32 v76, v14
	v_cvt_f32_f16_sdwa v79, v73 dst_sel:DWORD dst_unused:UNUSED_PAD src0_sel:WORD_1
	v_cvt_f32_f16_sdwa v78, v14 dst_sel:DWORD dst_unused:UNUSED_PAD src0_sel:WORD_1
	v_cvt_f32_i32_e32 v81, v85
	v_cvt_f32_i32_e32 v80, v4
	v_pk_add_f32 v[2:3], v[2:3], v[16:17]
	v_pk_fma_f32 v[16:17], v[18:19], v[74:75], v[62:63]
	v_pk_add_f32 v[2:3], v[2:3], v[16:17]
	v_pk_fma_f32 v[16:17], v[76:77], v[80:81], v[78:79]
	v_pk_add_f32 v[62:63], v[2:3], v[16:17]
	v_and_b32_e32 v2, 0xf0f0f0f, v20
	v_lshrrev_b32_e32 v3, 4, v20
	v_mov_b32_e32 v20, 0
	v_and_b32_e32 v3, 0xf0f0f0f, v3
	v_dot4c_i32_i8_e32 v20, v2, v6
	v_dot4c_i32_i8_e32 v20, v3, v10
	v_and_b32_e32 v2, 0xf0f0f0f, v21
	v_lshrrev_b32_e32 v3, 4, v21
	v_and_b32_e32 v3, 0xf0f0f0f, v3
	v_dot4c_i32_i8_e32 v20, v2, v7
	v_add_u32_e32 v2, 0x2178, v118
	v_dot4c_i32_i8_e32 v20, v3, v11
	ds_read2_b32 v[2:3], v2 offset1:1
	v_add_u32_e32 v4, 0x31f0, v118
	v_add_u32_e32 v14, 0x31f8, v118
	ds_read2_b32 v[16:17], v4 offset1:1
	ds_read2_b32 v[18:19], v14 offset1:1
	v_pk_mul_f16 v21, v5, v15
	s_waitcnt lgkmcnt(2)
	v_and_b32_e32 v4, 0xf0f0f0f, v2
	v_lshrrev_b32_e32 v2, 4, v2
	v_and_b32_e32 v2, 0xf0f0f0f, v2
	v_dot4c_i32_i8_e32 v20, v4, v8
	v_dot4c_i32_i8_e32 v20, v2, v12
	v_and_b32_e32 v2, 0xf0f0f0f, v3
	v_lshrrev_b32_e32 v3, 4, v3
	v_and_b32_e32 v3, 0xf0f0f0f, v3
	v_dot4c_i32_i8_e32 v20, v2, v9
	v_dot4c_i32_i8_e32 v20, v3, v13
	s_waitcnt lgkmcnt(1)
	v_and_b32_e32 v2, 0xf0f0f0f, v16
	v_lshrrev_b32_e32 v3, 4, v16
	v_mov_b32_e32 v16, 0
	v_and_b32_e32 v3, 0xf0f0f0f, v3
	v_dot4c_i32_i8_e32 v16, v2, v6
	v_dot4c_i32_i8_e32 v16, v3, v10
	v_and_b32_e32 v2, 0xf0f0f0f, v17
	v_lshrrev_b32_e32 v3, 4, v17
	v_and_b32_e32 v3, 0xf0f0f0f, v3
	v_dot4c_i32_i8_e32 v16, v2, v7
	v_dot4c_i32_i8_e32 v16, v3, v11
	s_waitcnt lgkmcnt(0)
	v_and_b32_e32 v2, 0xf0f0f0f, v18
	v_lshrrev_b32_e32 v3, 4, v18
	v_and_b32_e32 v3, 0xf0f0f0f, v3
	v_dot4c_i32_i8_e32 v16, v2, v8
	v_dot4c_i32_i8_e32 v16, v3, v12
	v_and_b32_e32 v2, 0xf0f0f0f, v19
	v_lshrrev_b32_e32 v3, 4, v19
	v_and_b32_e32 v3, 0xf0f0f0f, v3
	v_dot4c_i32_i8_e32 v16, v2, v9
	v_dot4c_i32_i8_e32 v16, v3, v13
	v_cvt_f32_f16_e32 v3, v136
	v_cvt_f32_f16_e32 v2, v138
	v_cvt_f32_f16_sdwa v7, v136 dst_sel:DWORD dst_unused:UNUSED_PAD src0_sel:WORD_1
	v_cvt_f32_f16_sdwa v6, v138 dst_sel:DWORD dst_unused:UNUSED_PAD src0_sel:WORD_1
	v_cvt_f32_i32_e32 v9, v141
	v_cvt_f32_i32_e32 v8, v72
	v_cvt_f32_f16_e32 v11, v134
	v_cvt_f32_f16_e32 v10, v94
	v_cvt_f32_f16_sdwa v13, v134 dst_sel:DWORD dst_unused:UNUSED_PAD src0_sel:WORD_1
	v_cvt_f32_f16_sdwa v12, v94 dst_sel:DWORD dst_unused:UNUSED_PAD src0_sel:WORD_1
	v_cvt_f32_i32_e32 v15, v95
	v_cvt_f32_i32_e32 v14, v93
	v_pk_mul_f16 v17, v5, v71
	v_pk_fma_f32 v[2:3], v[2:3], v[8:9], v[6:7]
	v_cvt_f32_f16_e32 v7, v70
	v_pk_fma_f32 v[4:5], v[10:11], v[14:15], v[12:13]
	v_cvt_f32_f16_e32 v6, v89
	v_cvt_f32_f16_sdwa v9, v70 dst_sel:DWORD dst_unused:UNUSED_PAD src0_sel:WORD_1
	v_cvt_f32_f16_sdwa v8, v89 dst_sel:DWORD dst_unused:UNUSED_PAD src0_sel:WORD_1
	v_cvt_f32_i32_e32 v11, v135
	v_cvt_f32_i32_e32 v10, v88
	v_cvt_f32_f16_e32 v13, v17
	v_cvt_f32_f16_e32 v12, v21
	v_cvt_f32_f16_sdwa v15, v17 dst_sel:DWORD dst_unused:UNUSED_PAD src0_sel:WORD_1
	v_cvt_f32_f16_sdwa v14, v21 dst_sel:DWORD dst_unused:UNUSED_PAD src0_sel:WORD_1
	v_cvt_f32_i32_e32 v17, v16
	v_cvt_f32_i32_e32 v16, v20
	v_pk_add_f32 v[2:3], v[56:57], v[2:3]
	v_pk_add_f32 v[2:3], v[2:3], v[4:5]
	v_pk_fma_f32 v[4:5], v[6:7], v[10:11], v[8:9]
	v_pk_add_f32 v[2:3], v[2:3], v[4:5]
	v_pk_fma_f32 v[4:5], v[12:13], v[16:17], v[14:15]
	v_pk_add_f32 v[56:57], v[2:3], v[4:5]
	s_barrier
.LBB219_5:                              ;   in Loop: Header=BB219_6 Depth=1
	v_add_co_u32_e32 v24, vcc, 0x120, v24
	v_addc_co_u32_e32 v25, vcc, 0, v25, vcc
	v_add_co_u32_e32 v26, vcc, 0xa0, v26
	v_addc_co_u32_e32 v1, vcc, 0, v1, vcc
	;; [unrolled: 2-line block ×20, first 2 shown]
	s_add_i32 s18, s18, 8
	s_addk_i32 s19, 0x100
	v_add_co_u32_e32 v68, vcc, 0xa0, v68
	s_cmp_ge_i32 s18, s17
	v_addc_co_u32_e32 v67, vcc, 0, v67, vcc
	s_cbranch_scc1 .LBB219_19
.LBB219_6:                              ; =>This Inner Loop Header: Depth=1
	v_add_co_u32_e32 v2, vcc, s14, v26
	v_addc_co_u32_e32 v3, vcc, v1, v131, vcc
	global_load_dword v4, v[2:3], off
	v_add_co_u32_e32 v2, vcc, s14, v28
	v_addc_co_u32_e32 v3, vcc, v27, v131, vcc
	global_load_dword v5, v[2:3], off
	;; [unrolled: 3-line block ×20, first 2 shown]
	s_add_i32 s4, s19, 0xffffff80
	s_cmp_lt_i32 s4, s15
	s_waitcnt vmcnt(19)
	ds_write_b32 v97, v4
	s_waitcnt vmcnt(18)
	ds_write_b32 v98, v5
	;; [unrolled: 2-line block ×20, first 2 shown]
	s_cbranch_scc0 .LBB219_5
; %bb.7:                                ;   in Loop: Header=BB219_6 Depth=1
	v_add_u32_e32 v2, s18, v113
	v_cmp_gt_i32_e32 vcc, s9, v2
	s_and_b64 s[20:21], s[2:3], vcc
	s_and_saveexec_b64 s[4:5], s[20:21]
	s_cbranch_execz .LBB219_9
; %bb.8:                                ;   in Loop: Header=BB219_6 Depth=1
	v_add_u32_e32 v2, s18, v126
	v_mad_i64_i32 v[2:3], s[20:21], v2, 36, v[22:23]
	global_load_dword v2, v[2:3], off offset:4
	s_waitcnt vmcnt(0)
	ds_write_b32 v114, v2
.LBB219_9:                              ;   in Loop: Header=BB219_6 Depth=1
	s_or_b64 exec, exec, s[4:5]
	s_and_saveexec_b64 s[4:5], s[0:1]
	s_cbranch_execz .LBB219_12
; %bb.10:                               ;   in Loop: Header=BB219_6 Depth=1
	v_add_u32_e32 v2, s18, v96
	v_cmp_gt_i32_e32 vcc, s9, v2
	s_and_b64 s[20:21], s[2:3], vcc
	s_and_b64 exec, exec, s[20:21]
	s_cbranch_execz .LBB219_12
; %bb.11:                               ;   in Loop: Header=BB219_6 Depth=1
	v_add_u32_e32 v2, s18, v124
	v_mad_i64_i32 v[2:3], s[20:21], v2, 36, s[6:7]
	global_load_dword v2, v[2:3], off
	s_waitcnt vmcnt(0)
	ds_write_b32 v115, v2
.LBB219_12:                             ;   in Loop: Header=BB219_6 Depth=1
	s_or_b64 exec, exec, s[4:5]
	s_waitcnt lgkmcnt(0)
	s_barrier
	ds_read_b128 v[2:5], v117
	ds_read2_b32 v[70:71], v118 offset1:1
	ds_read_b128 v[14:17], v116
	ds_read_b128 v[18:21], v116 offset:16
	ds_read_b128 v[6:9], v116 offset:32
	ds_read_b128 v[10:13], v116 offset:48
	ds_read2_b32 v[72:73], v119 offset1:1
	s_waitcnt lgkmcnt(5)
	v_and_b32_e32 v74, 0xf0f0f0f, v70
	v_lshrrev_b32_e32 v70, 4, v70
	v_mov_b32_e32 v84, 0
	v_and_b32_e32 v70, 0xf0f0f0f, v70
	s_waitcnt lgkmcnt(4)
	v_dot4c_i32_i8_e32 v84, v74, v14
	s_waitcnt lgkmcnt(3)
	v_dot4c_i32_i8_e32 v84, v70, v18
	v_and_b32_e32 v70, 0xf0f0f0f, v71
	v_lshrrev_b32_e32 v71, 4, v71
	v_and_b32_e32 v74, 0xf0f0f0f, v71
	v_dot4c_i32_i8_e32 v84, v70, v15
	ds_read2_b32 v[70:71], v118 offset0:2 offset1:3
	v_dot4c_i32_i8_e32 v84, v74, v19
	ds_read2_b32 v[86:87], v118 offset0:4 offset1:5
	ds_read2_b32 v[88:89], v118 offset0:6 offset1:7
	;; [unrolled: 1-line block ×3, first 2 shown]
	s_waitcnt lgkmcnt(4)
	v_pk_mul_f16 v144, v2, v72
	v_mov_b32_e32 v85, 0
	s_waitcnt lgkmcnt(3)
	v_and_b32_e32 v74, 0xf0f0f0f, v70
	v_dot4c_i32_i8_e32 v84, v74, v16
	ds_read2_b32 v[94:95], v118 offset0:10 offset1:11
	ds_read2_b32 v[78:79], v118 offset0:12 offset1:13
	;; [unrolled: 1-line block ×3, first 2 shown]
	ds_read2_b32 v[74:75], v132 offset1:1
	v_lshrrev_b32_e32 v70, 4, v70
	v_and_b32_e32 v70, 0xf0f0f0f, v70
	v_dot4c_i32_i8_e32 v84, v70, v20
	v_and_b32_e32 v70, 0xf0f0f0f, v71
	s_waitcnt lgkmcnt(0)
	v_and_b32_e32 v72, 0xf0f0f0f, v74
	v_lshrrev_b32_e32 v74, 4, v74
	v_and_b32_e32 v74, 0xf0f0f0f, v74
	v_dot4c_i32_i8_e32 v85, v72, v14
	v_lshrrev_b32_e32 v71, 4, v71
	v_dot4c_i32_i8_e32 v85, v74, v18
	v_and_b32_e32 v72, 0xf0f0f0f, v75
	v_lshrrev_b32_e32 v74, 4, v75
	v_and_b32_e32 v71, 0xf0f0f0f, v71
	v_dot4c_i32_i8_e32 v84, v70, v17
	v_and_b32_e32 v74, 0xf0f0f0f, v74
	v_dot4c_i32_i8_e32 v85, v72, v15
	v_dot4c_i32_i8_e32 v84, v71, v21
	ds_read2_b32 v[134:135], v120 offset1:1
	ds_read2_b32 v[70:71], v122 offset0:2 offset1:3
	v_dot4c_i32_i8_e32 v85, v74, v19
	ds_read2_b32 v[74:75], v133 offset1:1
	v_add_u32_e32 v72, 0x2100, v118
	v_add_u32_e32 v77, 0x2108, v118
	v_add_u32_e32 v82, 0x3180, v118
	ds_read2_b32 v[136:137], v72 offset1:1
	ds_read2_b32 v[138:139], v77 offset1:1
	;; [unrolled: 1-line block ×3, first 2 shown]
	s_waitcnt lgkmcnt(3)
	v_and_b32_e32 v72, 0xf0f0f0f, v74
	v_lshrrev_b32_e32 v74, 4, v74
	v_and_b32_e32 v74, 0xf0f0f0f, v74
	v_dot4c_i32_i8_e32 v85, v72, v16
	v_dot4c_i32_i8_e32 v85, v74, v20
	v_and_b32_e32 v72, 0xf0f0f0f, v75
	v_lshrrev_b32_e32 v74, 4, v75
	v_and_b32_e32 v74, 0xf0f0f0f, v74
	v_dot4c_i32_i8_e32 v85, v72, v17
	v_dot4c_i32_i8_e32 v85, v74, v21
	s_waitcnt lgkmcnt(2)
	v_and_b32_e32 v72, 0xf0f0f0f, v136
	v_lshrrev_b32_e32 v74, 4, v136
	v_mov_b32_e32 v145, 0
	v_and_b32_e32 v74, 0xf0f0f0f, v74
	v_dot4c_i32_i8_e32 v145, v72, v14
	v_dot4c_i32_i8_e32 v145, v74, v18
	v_and_b32_e32 v72, 0xf0f0f0f, v137
	v_lshrrev_b32_e32 v74, 4, v137
	v_and_b32_e32 v74, 0xf0f0f0f, v74
	v_dot4c_i32_i8_e32 v145, v72, v15
	v_dot4c_i32_i8_e32 v145, v74, v19
	s_waitcnt lgkmcnt(1)
	v_and_b32_e32 v72, 0xf0f0f0f, v138
	v_lshrrev_b32_e32 v74, 4, v138
	v_and_b32_e32 v74, 0xf0f0f0f, v74
	v_dot4c_i32_i8_e32 v145, v72, v16
	v_dot4c_i32_i8_e32 v145, v74, v20
	v_and_b32_e32 v72, 0xf0f0f0f, v139
	v_dot4c_i32_i8_e32 v145, v72, v17
	s_waitcnt lgkmcnt(0)
	v_and_b32_e32 v72, 0xf0f0f0f, v140
	v_lshrrev_b32_e32 v75, 4, v140
	v_mov_b32_e32 v146, 0
	v_and_b32_e32 v75, 0xf0f0f0f, v75
	v_dot4c_i32_i8_e32 v146, v72, v14
	v_dot4c_i32_i8_e32 v146, v75, v18
	v_and_b32_e32 v14, 0xf0f0f0f, v141
	v_dot4c_i32_i8_e32 v146, v14, v15
	v_add_u32_e32 v14, 0x3188, v118
	ds_read2_b32 v[142:143], v121 offset1:1
	ds_read2_b32 v[82:83], v120 offset0:2 offset1:3
	ds_read2_b32 v[90:91], v119 offset0:2 offset1:3
	v_lshrrev_b32_e32 v18, 4, v141
	ds_read2_b32 v[14:15], v14 offset1:1
	v_and_b32_e32 v18, 0xf0f0f0f, v18
	v_dot4c_i32_i8_e32 v146, v18, v19
	v_add_u32_e32 v18, 0x1090, v118
	v_lshrrev_b32_e32 v74, 4, v139
	v_add_u32_e32 v72, 0x1098, v118
	v_add_u32_e32 v75, 0x2110, v118
	ds_read2_b32 v[18:19], v18 offset1:1
	ds_read2_b32 v[136:137], v72 offset1:1
	;; [unrolled: 1-line block ×4, first 2 shown]
	s_waitcnt lgkmcnt(4)
	v_and_b32_e32 v72, 0xf0f0f0f, v14
	v_lshrrev_b32_e32 v14, 4, v14
	v_and_b32_e32 v74, 0xf0f0f0f, v74
	v_and_b32_e32 v14, 0xf0f0f0f, v14
	v_dot4c_i32_i8_e32 v146, v72, v16
	v_dot4c_i32_i8_e32 v145, v74, v21
	;; [unrolled: 1-line block ×3, first 2 shown]
	v_and_b32_e32 v14, 0xf0f0f0f, v15
	v_pk_mul_f16 v134, v2, v134
	v_pk_mul_f16 v142, v2, v142
	v_dot4c_i32_i8_e32 v146, v14, v17
	ds_read2_b32 v[16:17], v121 offset0:2 offset1:3
	s_waitcnt lgkmcnt(1)
	v_pk_mul_f16 v140, v2, v140
	v_cvt_f32_i32_e32 v14, v145
	v_and_b32_e32 v2, 0xf0f0f0f, v86
	v_lshrrev_b32_e32 v20, 4, v86
	v_mov_b32_e32 v145, 0
	v_and_b32_e32 v20, 0xf0f0f0f, v20
	v_dot4c_i32_i8_e32 v145, v2, v6
	v_dot4c_i32_i8_e32 v145, v20, v10
	v_and_b32_e32 v2, 0xf0f0f0f, v87
	v_lshrrev_b32_e32 v20, 4, v87
	v_and_b32_e32 v20, 0xf0f0f0f, v20
	v_dot4c_i32_i8_e32 v145, v2, v7
	v_dot4c_i32_i8_e32 v145, v20, v11
	v_and_b32_e32 v2, 0xf0f0f0f, v88
	v_lshrrev_b32_e32 v20, 4, v88
	v_and_b32_e32 v20, 0xf0f0f0f, v20
	v_dot4c_i32_i8_e32 v145, v2, v8
	v_dot4c_i32_i8_e32 v145, v20, v12
	v_and_b32_e32 v2, 0xf0f0f0f, v89
	v_lshrrev_b32_e32 v20, 4, v89
	v_dot4c_i32_i8_e32 v145, v2, v9
	v_and_b32_e32 v2, 0xf0f0f0f, v18
	v_lshrrev_b32_e32 v18, 4, v18
	v_mov_b32_e32 v89, 0
	v_and_b32_e32 v18, 0xf0f0f0f, v18
	v_dot4c_i32_i8_e32 v89, v2, v6
	v_dot4c_i32_i8_e32 v89, v18, v10
	v_and_b32_e32 v2, 0xf0f0f0f, v19
	v_lshrrev_b32_e32 v18, 4, v19
	v_and_b32_e32 v18, 0xf0f0f0f, v18
	v_dot4c_i32_i8_e32 v89, v2, v7
	v_dot4c_i32_i8_e32 v89, v18, v11
	v_and_b32_e32 v2, 0xf0f0f0f, v136
	v_lshrrev_b32_e32 v18, 4, v136
	;; [unrolled: 5-line block ×4, first 2 shown]
	v_mov_b32_e32 v136, 0
	v_and_b32_e32 v18, 0xf0f0f0f, v18
	v_dot4c_i32_i8_e32 v136, v2, v6
	v_dot4c_i32_i8_e32 v136, v18, v10
	v_and_b32_e32 v2, 0xf0f0f0f, v139
	v_lshrrev_b32_e32 v18, 4, v139
	v_and_b32_e32 v18, 0xf0f0f0f, v18
	v_dot4c_i32_i8_e32 v136, v2, v7
	v_add_u32_e32 v2, 0x2118, v118
	v_dot4c_i32_i8_e32 v136, v18, v11
	ds_read2_b32 v[18:19], v2 offset1:1
	v_lshrrev_b32_e32 v15, 4, v15
	v_and_b32_e32 v20, 0xf0f0f0f, v20
	v_and_b32_e32 v15, 0xf0f0f0f, v15
	v_dot4c_i32_i8_e32 v145, v20, v13
	v_add_u32_e32 v20, 0x3190, v118
	v_add_u32_e32 v72, 0x3198, v118
	v_add_u32_e32 v2, 0x10a0, v118
	v_dot4c_i32_i8_e32 v146, v15, v21
	v_pk_mul_f16 v88, v3, v73
	ds_read2_b32 v[20:21], v20 offset1:1
	ds_read2_b32 v[72:73], v72 offset1:1
	;; [unrolled: 1-line block ×3, first 2 shown]
	s_waitcnt lgkmcnt(3)
	v_and_b32_e32 v2, 0xf0f0f0f, v18
	v_lshrrev_b32_e32 v18, 4, v18
	v_and_b32_e32 v18, 0xf0f0f0f, v18
	v_dot4c_i32_i8_e32 v136, v2, v8
	v_dot4c_i32_i8_e32 v136, v18, v12
	v_and_b32_e32 v2, 0xf0f0f0f, v19
	v_lshrrev_b32_e32 v18, 4, v19
	v_and_b32_e32 v18, 0xf0f0f0f, v18
	v_dot4c_i32_i8_e32 v136, v2, v9
	v_dot4c_i32_i8_e32 v136, v18, v13
	s_waitcnt lgkmcnt(2)
	v_and_b32_e32 v2, 0xf0f0f0f, v20
	v_lshrrev_b32_e32 v18, 4, v20
	v_mov_b32_e32 v138, 0
	v_and_b32_e32 v18, 0xf0f0f0f, v18
	v_dot4c_i32_i8_e32 v138, v2, v6
	v_dot4c_i32_i8_e32 v138, v18, v10
	v_and_b32_e32 v2, 0xf0f0f0f, v21
	v_lshrrev_b32_e32 v6, 4, v21
	v_and_b32_e32 v6, 0xf0f0f0f, v6
	v_dot4c_i32_i8_e32 v138, v2, v7
	v_dot4c_i32_i8_e32 v138, v6, v11
	s_waitcnt lgkmcnt(1)
	v_and_b32_e32 v2, 0xf0f0f0f, v72
	v_lshrrev_b32_e32 v6, 4, v72
	v_and_b32_e32 v6, 0xf0f0f0f, v6
	v_dot4c_i32_i8_e32 v138, v2, v8
	v_dot4c_i32_i8_e32 v138, v6, v12
	v_and_b32_e32 v2, 0xf0f0f0f, v73
	v_lshrrev_b32_e32 v6, 4, v73
	v_and_b32_e32 v6, 0xf0f0f0f, v6
	v_dot4c_i32_i8_e32 v138, v2, v9
	v_dot4c_i32_i8_e32 v138, v6, v13
	ds_read_b128 v[6:9], v116 offset:64
	ds_read_b128 v[10:13], v116 offset:80
	v_pk_mul_f16 v135, v3, v135
	v_pk_mul_f16 v137, v3, v143
	;; [unrolled: 1-line block ×3, first 2 shown]
	v_and_b32_e32 v2, 0xf0f0f0f, v92
	v_lshrrev_b32_e32 v3, 4, v92
	v_mov_b32_e32 v92, 0
	v_and_b32_e32 v3, 0xf0f0f0f, v3
	s_waitcnt lgkmcnt(1)
	v_dot4c_i32_i8_e32 v92, v2, v6
	s_waitcnt lgkmcnt(0)
	v_dot4c_i32_i8_e32 v92, v3, v10
	v_and_b32_e32 v2, 0xf0f0f0f, v93
	v_lshrrev_b32_e32 v3, 4, v93
	v_and_b32_e32 v3, 0xf0f0f0f, v3
	v_dot4c_i32_i8_e32 v92, v2, v7
	v_dot4c_i32_i8_e32 v92, v3, v11
	v_and_b32_e32 v2, 0xf0f0f0f, v94
	v_lshrrev_b32_e32 v3, 4, v94
	v_and_b32_e32 v3, 0xf0f0f0f, v3
	v_dot4c_i32_i8_e32 v92, v2, v8
	;; [unrolled: 5-line block ×3, first 2 shown]
	v_dot4c_i32_i8_e32 v92, v3, v13
	v_and_b32_e32 v2, 0xf0f0f0f, v86
	v_lshrrev_b32_e32 v3, 4, v86
	v_mov_b32_e32 v86, 0
	v_and_b32_e32 v3, 0xf0f0f0f, v3
	v_dot4c_i32_i8_e32 v86, v2, v6
	v_dot4c_i32_i8_e32 v86, v3, v10
	v_and_b32_e32 v2, 0xf0f0f0f, v87
	v_lshrrev_b32_e32 v3, 4, v87
	v_and_b32_e32 v3, 0xf0f0f0f, v3
	v_dot4c_i32_i8_e32 v86, v2, v7
	v_add_u32_e32 v2, 0x10a8, v118
	v_dot4c_i32_i8_e32 v86, v3, v11
	ds_read2_b32 v[2:3], v2 offset1:1
	v_add_u32_e32 v18, 0x2120, v118
	v_add_u32_e32 v20, 0x2128, v118
	v_add_u32_e32 v72, 0x31a0, v118
	ds_read2_b32 v[18:19], v18 offset1:1
	ds_read2_b32 v[20:21], v20 offset1:1
	;; [unrolled: 1-line block ×3, first 2 shown]
	s_waitcnt lgkmcnt(3)
	v_and_b32_e32 v87, 0xf0f0f0f, v2
	v_lshrrev_b32_e32 v2, 4, v2
	v_and_b32_e32 v2, 0xf0f0f0f, v2
	v_dot4c_i32_i8_e32 v86, v87, v8
	v_dot4c_i32_i8_e32 v86, v2, v12
	v_and_b32_e32 v2, 0xf0f0f0f, v3
	v_lshrrev_b32_e32 v3, 4, v3
	v_and_b32_e32 v3, 0xf0f0f0f, v3
	v_dot4c_i32_i8_e32 v86, v2, v9
	v_dot4c_i32_i8_e32 v86, v3, v13
	s_waitcnt lgkmcnt(2)
	v_and_b32_e32 v2, 0xf0f0f0f, v18
	v_lshrrev_b32_e32 v3, 4, v18
	v_mov_b32_e32 v87, 0
	v_and_b32_e32 v3, 0xf0f0f0f, v3
	v_dot4c_i32_i8_e32 v87, v2, v6
	v_dot4c_i32_i8_e32 v87, v3, v10
	v_and_b32_e32 v2, 0xf0f0f0f, v19
	v_lshrrev_b32_e32 v3, 4, v19
	v_and_b32_e32 v3, 0xf0f0f0f, v3
	v_dot4c_i32_i8_e32 v87, v2, v7
	v_dot4c_i32_i8_e32 v87, v3, v11
	s_waitcnt lgkmcnt(1)
	v_and_b32_e32 v2, 0xf0f0f0f, v20
	v_lshrrev_b32_e32 v3, 4, v20
	v_and_b32_e32 v3, 0xf0f0f0f, v3
	v_dot4c_i32_i8_e32 v87, v2, v8
	v_dot4c_i32_i8_e32 v87, v3, v12
	v_and_b32_e32 v2, 0xf0f0f0f, v21
	v_lshrrev_b32_e32 v3, 4, v21
	v_and_b32_e32 v3, 0xf0f0f0f, v3
	v_dot4c_i32_i8_e32 v87, v2, v9
	v_dot4c_i32_i8_e32 v87, v3, v13
	s_waitcnt lgkmcnt(0)
	v_and_b32_e32 v2, 0xf0f0f0f, v72
	v_lshrrev_b32_e32 v3, 4, v72
	v_mov_b32_e32 v93, 0
	v_and_b32_e32 v3, 0xf0f0f0f, v3
	v_dot4c_i32_i8_e32 v93, v2, v6
	v_dot4c_i32_i8_e32 v93, v3, v10
	v_and_b32_e32 v2, 0xf0f0f0f, v73
	v_lshrrev_b32_e32 v3, 4, v73
	v_and_b32_e32 v3, 0xf0f0f0f, v3
	v_dot4c_i32_i8_e32 v93, v2, v7
	v_add_u32_e32 v2, 0x31a8, v118
	v_dot4c_i32_i8_e32 v93, v3, v11
	ds_read2_b32 v[2:3], v2 offset1:1
	v_add_u32_e32 v6, 0x10b0, v118
	v_add_u32_e32 v7, 0x10b8, v118
	;; [unrolled: 1-line block ×3, first 2 shown]
	ds_read2_b32 v[18:19], v6 offset1:1
	ds_read2_b32 v[20:21], v7 offset1:1
	;; [unrolled: 1-line block ×3, first 2 shown]
	s_waitcnt lgkmcnt(3)
	v_and_b32_e32 v6, 0xf0f0f0f, v2
	v_lshrrev_b32_e32 v2, 4, v2
	v_and_b32_e32 v2, 0xf0f0f0f, v2
	v_dot4c_i32_i8_e32 v93, v6, v8
	v_dot4c_i32_i8_e32 v93, v2, v12
	v_and_b32_e32 v2, 0xf0f0f0f, v3
	v_lshrrev_b32_e32 v3, 4, v3
	v_and_b32_e32 v3, 0xf0f0f0f, v3
	v_dot4c_i32_i8_e32 v93, v2, v9
	v_dot4c_i32_i8_e32 v93, v3, v13
	ds_read_b128 v[6:9], v116 offset:96
	ds_read_b128 v[10:13], v116 offset:112
	v_pk_mul_f16 v90, v4, v90
	v_pk_mul_f16 v82, v4, v82
	;; [unrolled: 1-line block ×4, first 2 shown]
	v_and_b32_e32 v2, 0xf0f0f0f, v78
	v_lshrrev_b32_e32 v3, 4, v78
	v_mov_b32_e32 v4, 0
	v_and_b32_e32 v3, 0xf0f0f0f, v3
	s_waitcnt lgkmcnt(1)
	v_dot4c_i32_i8_e32 v4, v2, v6
	s_waitcnt lgkmcnt(0)
	v_dot4c_i32_i8_e32 v4, v3, v10
	v_and_b32_e32 v2, 0xf0f0f0f, v79
	v_lshrrev_b32_e32 v3, 4, v79
	v_and_b32_e32 v3, 0xf0f0f0f, v3
	v_dot4c_i32_i8_e32 v4, v2, v7
	v_dot4c_i32_i8_e32 v4, v3, v11
	v_and_b32_e32 v2, 0xf0f0f0f, v80
	v_lshrrev_b32_e32 v3, 4, v80
	v_and_b32_e32 v3, 0xf0f0f0f, v3
	v_dot4c_i32_i8_e32 v4, v2, v8
	;; [unrolled: 5-line block ×3, first 2 shown]
	v_dot4c_i32_i8_e32 v4, v3, v13
	v_pk_mul_f16 v80, v5, v91
	v_and_b32_e32 v2, 0xf0f0f0f, v18
	v_lshrrev_b32_e32 v3, 4, v18
	v_mov_b32_e32 v91, 0
	v_and_b32_e32 v3, 0xf0f0f0f, v3
	v_dot4c_i32_i8_e32 v91, v2, v6
	v_dot4c_i32_i8_e32 v91, v3, v10
	v_and_b32_e32 v2, 0xf0f0f0f, v19
	v_lshrrev_b32_e32 v3, 4, v19
	v_and_b32_e32 v3, 0xf0f0f0f, v3
	v_dot4c_i32_i8_e32 v91, v2, v7
	v_dot4c_i32_i8_e32 v91, v3, v11
	v_and_b32_e32 v2, 0xf0f0f0f, v20
	v_lshrrev_b32_e32 v3, 4, v20
	;; [unrolled: 5-line block ×3, first 2 shown]
	v_and_b32_e32 v3, 0xf0f0f0f, v3
	v_dot4c_i32_i8_e32 v91, v2, v9
	v_cvt_f32_f16_e32 v76, v144
	v_cvt_f32_f16_e32 v77, v134
	v_cvt_f32_i32_e32 v85, v85
	v_cvt_f32_i32_e32 v84, v84
	v_dot4c_i32_i8_e32 v91, v3, v13
	v_cvt_f32_f16_sdwa v3, v134 dst_sel:DWORD dst_unused:UNUSED_PAD src0_sel:WORD_1
	v_cvt_f32_f16_sdwa v2, v144 dst_sel:DWORD dst_unused:UNUSED_PAD src0_sel:WORD_1
	v_cvt_f32_f16_e32 v19, v135
	v_cvt_f32_f16_e32 v18, v88
	v_cvt_f32_f16_sdwa v21, v135 dst_sel:DWORD dst_unused:UNUSED_PAD src0_sel:WORD_1
	v_cvt_f32_f16_sdwa v20, v88 dst_sel:DWORD dst_unused:UNUSED_PAD src0_sel:WORD_1
	v_cvt_f32_i32_e32 v79, v89
	v_cvt_f32_i32_e32 v78, v145
	v_pk_fma_f32 v[2:3], v[76:77], v[84:85], v[2:3]
	v_pk_mul_f16 v81, v5, v83
	v_pk_add_f32 v[2:3], v[62:63], v[2:3]
	v_pk_fma_f32 v[18:19], v[18:19], v[78:79], v[20:21]
	v_cvt_f32_f16_e32 v21, v82
	v_cvt_f32_f16_e32 v20, v90
	v_cvt_f32_f16_sdwa v63, v82 dst_sel:DWORD dst_unused:UNUSED_PAD src0_sel:WORD_1
	v_cvt_f32_f16_sdwa v62, v90 dst_sel:DWORD dst_unused:UNUSED_PAD src0_sel:WORD_1
	v_cvt_f32_i32_e32 v77, v86
	v_cvt_f32_i32_e32 v76, v92
	v_cvt_f32_f16_e32 v79, v81
	v_cvt_f32_f16_e32 v78, v80
	v_cvt_f32_f16_sdwa v81, v81 dst_sel:DWORD dst_unused:UNUSED_PAD src0_sel:WORD_1
	v_cvt_f32_f16_sdwa v80, v80 dst_sel:DWORD dst_unused:UNUSED_PAD src0_sel:WORD_1
	v_cvt_f32_i32_e32 v83, v91
	v_cvt_f32_i32_e32 v82, v4
	v_pk_add_f32 v[2:3], v[2:3], v[18:19]
	v_pk_fma_f32 v[18:19], v[20:21], v[76:77], v[62:63]
	v_pk_add_f32 v[2:3], v[2:3], v[18:19]
	v_pk_fma_f32 v[18:19], v[78:79], v[82:83], v[80:81]
	v_pk_add_f32 v[62:63], v[2:3], v[18:19]
	v_and_b32_e32 v2, 0xf0f0f0f, v72
	v_lshrrev_b32_e32 v3, 4, v72
	v_mov_b32_e32 v72, 0
	v_and_b32_e32 v3, 0xf0f0f0f, v3
	v_dot4c_i32_i8_e32 v72, v2, v6
	v_dot4c_i32_i8_e32 v72, v3, v10
	v_and_b32_e32 v2, 0xf0f0f0f, v73
	v_lshrrev_b32_e32 v3, 4, v73
	v_and_b32_e32 v3, 0xf0f0f0f, v3
	v_dot4c_i32_i8_e32 v72, v2, v7
	v_add_u32_e32 v2, 0x2138, v118
	v_dot4c_i32_i8_e32 v72, v3, v11
	ds_read2_b32 v[2:3], v2 offset1:1
	v_add_u32_e32 v4, 0x31b0, v118
	v_add_u32_e32 v20, 0x31b8, v118
	ds_read2_b32 v[18:19], v4 offset1:1
	ds_read2_b32 v[20:21], v20 offset1:1
	v_cvt_f32_f16_e32 v74, v142
	s_waitcnt lgkmcnt(2)
	v_and_b32_e32 v4, 0xf0f0f0f, v2
	v_lshrrev_b32_e32 v2, 4, v2
	v_and_b32_e32 v2, 0xf0f0f0f, v2
	v_dot4c_i32_i8_e32 v72, v4, v8
	v_dot4c_i32_i8_e32 v72, v2, v12
	v_and_b32_e32 v2, 0xf0f0f0f, v3
	v_lshrrev_b32_e32 v3, 4, v3
	v_and_b32_e32 v3, 0xf0f0f0f, v3
	v_dot4c_i32_i8_e32 v72, v2, v9
	v_dot4c_i32_i8_e32 v72, v3, v13
	s_waitcnt lgkmcnt(1)
	v_and_b32_e32 v2, 0xf0f0f0f, v18
	v_lshrrev_b32_e32 v3, 4, v18
	v_mov_b32_e32 v18, 0
	v_and_b32_e32 v3, 0xf0f0f0f, v3
	v_dot4c_i32_i8_e32 v18, v2, v6
	v_dot4c_i32_i8_e32 v18, v3, v10
	v_and_b32_e32 v2, 0xf0f0f0f, v19
	v_lshrrev_b32_e32 v3, 4, v19
	v_and_b32_e32 v3, 0xf0f0f0f, v3
	v_dot4c_i32_i8_e32 v18, v2, v7
	v_dot4c_i32_i8_e32 v18, v3, v11
	s_waitcnt lgkmcnt(0)
	v_and_b32_e32 v2, 0xf0f0f0f, v20
	v_lshrrev_b32_e32 v3, 4, v20
	v_and_b32_e32 v3, 0xf0f0f0f, v3
	v_dot4c_i32_i8_e32 v18, v2, v8
	v_dot4c_i32_i8_e32 v18, v3, v12
	v_and_b32_e32 v2, 0xf0f0f0f, v21
	v_lshrrev_b32_e32 v3, 4, v21
	v_and_b32_e32 v3, 0xf0f0f0f, v3
	v_dot4c_i32_i8_e32 v18, v2, v9
	v_cvt_f32_f16_e32 v7, v139
	v_cvt_f32_f16_e32 v6, v137
	v_cvt_f32_f16_sdwa v9, v139 dst_sel:DWORD dst_unused:UNUSED_PAD src0_sel:WORD_1
	v_cvt_f32_f16_sdwa v8, v137 dst_sel:DWORD dst_unused:UNUSED_PAD src0_sel:WORD_1
	v_cvt_f32_i32_e32 v11, v138
	v_cvt_f32_i32_e32 v10, v136
	v_cvt_f32_f16_e32 v75, v140
	v_cvt_f32_i32_e32 v15, v146
	v_dot4c_i32_i8_e32 v18, v3, v13
	v_cvt_f32_f16_sdwa v3, v140 dst_sel:DWORD dst_unused:UNUSED_PAD src0_sel:WORD_1
	v_cvt_f32_f16_sdwa v2, v142 dst_sel:DWORD dst_unused:UNUSED_PAD src0_sel:WORD_1
	v_pk_mul_f16 v17, v5, v17
	v_pk_mul_f16 v19, v5, v71
	v_pk_fma_f32 v[4:5], v[6:7], v[10:11], v[8:9]
	v_cvt_f32_f16_e32 v7, v70
	v_cvt_f32_f16_e32 v6, v16
	v_cvt_f32_f16_sdwa v9, v70 dst_sel:DWORD dst_unused:UNUSED_PAD src0_sel:WORD_1
	v_cvt_f32_f16_sdwa v8, v16 dst_sel:DWORD dst_unused:UNUSED_PAD src0_sel:WORD_1
	v_cvt_f32_i32_e32 v11, v93
	v_cvt_f32_i32_e32 v10, v87
	v_pk_fma_f32 v[2:3], v[74:75], v[14:15], v[2:3]
	v_cvt_f32_f16_e32 v13, v19
	v_cvt_f32_f16_e32 v12, v17
	v_cvt_f32_f16_sdwa v15, v19 dst_sel:DWORD dst_unused:UNUSED_PAD src0_sel:WORD_1
	v_cvt_f32_f16_sdwa v14, v17 dst_sel:DWORD dst_unused:UNUSED_PAD src0_sel:WORD_1
	v_cvt_f32_i32_e32 v17, v18
	v_cvt_f32_i32_e32 v16, v72
	v_pk_add_f32 v[2:3], v[56:57], v[2:3]
	v_pk_add_f32 v[2:3], v[2:3], v[4:5]
	v_pk_fma_f32 v[4:5], v[6:7], v[10:11], v[8:9]
	v_pk_add_f32 v[2:3], v[2:3], v[4:5]
	v_pk_fma_f32 v[4:5], v[12:13], v[16:17], v[14:15]
	v_pk_add_f32 v[56:57], v[2:3], v[4:5]
	s_cmp_ge_i32 s19, s15
	s_barrier
	s_cbranch_scc1 .LBB219_5
; %bb.13:                               ;   in Loop: Header=BB219_6 Depth=1
	v_add_u32_e32 v2, s18, v123
	v_cmp_gt_i32_e32 vcc, s9, v2
	s_and_b64 s[20:21], s[2:3], vcc
	s_and_saveexec_b64 s[4:5], s[20:21]
	s_cbranch_execz .LBB219_15
; %bb.14:                               ;   in Loop: Header=BB219_6 Depth=1
	v_add_u32_e32 v2, s18, v125
	v_mad_i64_i32 v[2:3], s[20:21], v2, 36, v[22:23]
	global_load_dword v2, v[2:3], off offset:4
	s_waitcnt vmcnt(0)
	ds_write_b32 v114, v2
.LBB219_15:                             ;   in Loop: Header=BB219_6 Depth=1
	s_or_b64 exec, exec, s[4:5]
	s_and_saveexec_b64 s[4:5], s[0:1]
	s_cbranch_execz .LBB219_4
; %bb.16:                               ;   in Loop: Header=BB219_6 Depth=1
	v_add3_u32 v2, v96, s18, 4
	v_cmp_gt_i32_e32 vcc, s9, v2
	s_and_b64 s[20:21], s[2:3], vcc
	s_and_b64 exec, exec, s[20:21]
	s_cbranch_execz .LBB219_4
; %bb.17:                               ;   in Loop: Header=BB219_6 Depth=1
	global_load_dword v2, v[24:25], off
	s_waitcnt vmcnt(0)
	ds_write_b32 v115, v2
	s_branch .LBB219_4
.LBB219_18:
	v_mov_b32_e32 v56, v57
	v_mov_b32_e32 v63, v57
	;; [unrolled: 1-line block ×3, first 2 shown]
.LBB219_19:
	s_mul_i32 s0, s11, s8
	s_waitcnt vmcnt(0)
	v_cmp_gt_i32_e32 vcc, s0, v69
	s_and_saveexec_b64 s[0:1], vcc
	s_cbranch_execz .LBB219_28
; %bb.20:
	v_and_b32_e32 v0, 0x3ff, v0
	v_add_u32_e32 v1, s16, v0
	v_mul_lo_u32 v0, v69, s10
	v_cmp_gt_u32_e32 vcc, s10, v1
	s_and_saveexec_b64 s[0:1], vcc
	s_cbranch_execz .LBB219_22
; %bb.21:
	v_bfe_u32 v2, v62, 16, 1
	s_movk_i32 s2, 0x7fff
	v_add3_u32 v2, v62, v2, s2
	v_lshrrev_b32_e32 v2, 16, v2
	v_mov_b32_e32 v3, 0x7fc0
	v_cmp_o_f32_e32 vcc, v62, v62
	v_cndmask_b32_e32 v4, v3, v2, vcc
	v_add_u32_e32 v2, v0, v1
	v_mov_b32_e32 v3, 0
	v_lshlrev_b64 v[2:3], 1, v[2:3]
	v_mov_b32_e32 v5, s13
	v_add_co_u32_e32 v2, vcc, s12, v2
	v_addc_co_u32_e32 v3, vcc, v5, v3, vcc
	global_store_short v[2:3], v4, off
.LBB219_22:
	s_or_b64 exec, exec, s[0:1]
	v_add_u32_e32 v2, 32, v1
	v_cmp_gt_u32_e32 vcc, s10, v2
	s_and_saveexec_b64 s[0:1], vcc
	s_cbranch_execz .LBB219_24
; %bb.23:
	v_bfe_u32 v3, v63, 16, 1
	s_movk_i32 s2, 0x7fff
	v_add3_u32 v3, v63, v3, s2
	v_lshrrev_b32_e32 v3, 16, v3
	v_mov_b32_e32 v4, 0x7fc0
	v_cmp_o_f32_e32 vcc, v63, v63
	v_cndmask_b32_e32 v4, v4, v3, vcc
	v_add_u32_e32 v2, v0, v2
	v_mov_b32_e32 v3, 0
	v_lshlrev_b64 v[2:3], 1, v[2:3]
	v_mov_b32_e32 v5, s13
	v_add_co_u32_e32 v2, vcc, s12, v2
	v_addc_co_u32_e32 v3, vcc, v5, v3, vcc
	global_store_short v[2:3], v4, off
.LBB219_24:
	s_or_b64 exec, exec, s[0:1]
	v_add_u32_e32 v2, 64, v1
	v_cmp_gt_u32_e32 vcc, s10, v2
	s_and_saveexec_b64 s[0:1], vcc
	s_cbranch_execz .LBB219_26
; %bb.25:
	v_bfe_u32 v3, v56, 16, 1
	s_movk_i32 s2, 0x7fff
	v_add3_u32 v3, v56, v3, s2
	v_lshrrev_b32_e32 v3, 16, v3
	v_mov_b32_e32 v4, 0x7fc0
	v_cmp_o_f32_e32 vcc, v56, v56
	v_cndmask_b32_e32 v4, v4, v3, vcc
	v_add_u32_e32 v2, v0, v2
	v_mov_b32_e32 v3, 0
	v_lshlrev_b64 v[2:3], 1, v[2:3]
	v_mov_b32_e32 v5, s13
	v_add_co_u32_e32 v2, vcc, s12, v2
	v_addc_co_u32_e32 v3, vcc, v5, v3, vcc
	global_store_short v[2:3], v4, off
.LBB219_26:
	s_or_b64 exec, exec, s[0:1]
	v_add_u32_e32 v1, 0x60, v1
	v_cmp_gt_u32_e32 vcc, s10, v1
	s_and_b64 exec, exec, vcc
	s_cbranch_execz .LBB219_28
; %bb.27:
	v_bfe_u32 v2, v57, 16, 1
	s_movk_i32 s0, 0x7fff
	v_add3_u32 v2, v57, v2, s0
	v_add_u32_e32 v0, v0, v1
	v_mov_b32_e32 v1, 0
	v_lshrrev_b32_e32 v2, 16, v2
	v_mov_b32_e32 v3, 0x7fc0
	v_cmp_o_f32_e32 vcc, v57, v57
	v_lshlrev_b64 v[0:1], 1, v[0:1]
	v_cndmask_b32_e32 v2, v3, v2, vcc
	v_mov_b32_e32 v3, s13
	v_add_co_u32_e32 v0, vcc, s12, v0
	v_addc_co_u32_e32 v1, vcc, v3, v1, vcc
	global_store_short v[0:1], v2, off
.LBB219_28:
	s_endpgm
	.section	.rodata,"a",@progbits
	.p2align	6, 0x0
	.amdhsa_kernel _ZL8moe_q4_1IN3c108BFloat16ELb0EEvPKvS3_PT_PKiS7_S7_iiiiiii
		.amdhsa_group_segment_fixed_size 22272
		.amdhsa_private_segment_fixed_size 0
		.amdhsa_kernarg_size 76
		.amdhsa_user_sgpr_count 6
		.amdhsa_user_sgpr_private_segment_buffer 1
		.amdhsa_user_sgpr_dispatch_ptr 0
		.amdhsa_user_sgpr_queue_ptr 0
		.amdhsa_user_sgpr_kernarg_segment_ptr 1
		.amdhsa_user_sgpr_dispatch_id 0
		.amdhsa_user_sgpr_flat_scratch_init 0
		.amdhsa_user_sgpr_kernarg_preload_length 0
		.amdhsa_user_sgpr_kernarg_preload_offset 0
		.amdhsa_user_sgpr_private_segment_size 0
		.amdhsa_uses_dynamic_stack 0
		.amdhsa_system_sgpr_private_segment_wavefront_offset 0
		.amdhsa_system_sgpr_workgroup_id_x 1
		.amdhsa_system_sgpr_workgroup_id_y 1
		.amdhsa_system_sgpr_workgroup_id_z 0
		.amdhsa_system_sgpr_workgroup_info 0
		.amdhsa_system_vgpr_workitem_id 1
		.amdhsa_next_free_vgpr 147
		.amdhsa_next_free_sgpr 24
		.amdhsa_accum_offset 148
		.amdhsa_reserve_vcc 1
		.amdhsa_reserve_flat_scratch 0
		.amdhsa_float_round_mode_32 0
		.amdhsa_float_round_mode_16_64 0
		.amdhsa_float_denorm_mode_32 3
		.amdhsa_float_denorm_mode_16_64 3
		.amdhsa_dx10_clamp 1
		.amdhsa_ieee_mode 1
		.amdhsa_fp16_overflow 0
		.amdhsa_tg_split 0
		.amdhsa_exception_fp_ieee_invalid_op 0
		.amdhsa_exception_fp_denorm_src 0
		.amdhsa_exception_fp_ieee_div_zero 0
		.amdhsa_exception_fp_ieee_overflow 0
		.amdhsa_exception_fp_ieee_underflow 0
		.amdhsa_exception_fp_ieee_inexact 0
		.amdhsa_exception_int_div_zero 0
	.end_amdhsa_kernel
	.section	.text._ZL8moe_q4_1IN3c108BFloat16ELb0EEvPKvS3_PT_PKiS7_S7_iiiiiii,"axG",@progbits,_ZL8moe_q4_1IN3c108BFloat16ELb0EEvPKvS3_PT_PKiS7_S7_iiiiiii,comdat
.Lfunc_end219:
	.size	_ZL8moe_q4_1IN3c108BFloat16ELb0EEvPKvS3_PT_PKiS7_S7_iiiiiii, .Lfunc_end219-_ZL8moe_q4_1IN3c108BFloat16ELb0EEvPKvS3_PT_PKiS7_S7_iiiiiii
                                        ; -- End function
	.section	.AMDGPU.csdata,"",@progbits
; Kernel info:
; codeLenInByte = 9372
; NumSgprs: 28
; NumVgprs: 147
; NumAgprs: 0
; TotalNumVgprs: 147
; ScratchSize: 0
; MemoryBound: 0
; FloatMode: 240
; IeeeMode: 1
; LDSByteSize: 22272 bytes/workgroup (compile time only)
; SGPRBlocks: 3
; VGPRBlocks: 18
; NumSGPRsForWavesPerEU: 28
; NumVGPRsForWavesPerEU: 147
; AccumOffset: 148
; Occupancy: 2
; WaveLimiterHint : 1
; COMPUTE_PGM_RSRC2:SCRATCH_EN: 0
; COMPUTE_PGM_RSRC2:USER_SGPR: 6
; COMPUTE_PGM_RSRC2:TRAP_HANDLER: 0
; COMPUTE_PGM_RSRC2:TGID_X_EN: 1
; COMPUTE_PGM_RSRC2:TGID_Y_EN: 1
; COMPUTE_PGM_RSRC2:TGID_Z_EN: 0
; COMPUTE_PGM_RSRC2:TIDIG_COMP_CNT: 1
; COMPUTE_PGM_RSRC3_GFX90A:ACCUM_OFFSET: 36
; COMPUTE_PGM_RSRC3_GFX90A:TG_SPLIT: 0
	.section	.text._ZL8moe_q4_1IN3c108BFloat16ELb1EEvPKvS3_PT_PKiS7_S7_iiiiiii,"axG",@progbits,_ZL8moe_q4_1IN3c108BFloat16ELb1EEvPKvS3_PT_PKiS7_S7_iiiiiii,comdat
	.globl	_ZL8moe_q4_1IN3c108BFloat16ELb1EEvPKvS3_PT_PKiS7_S7_iiiiiii ; -- Begin function _ZL8moe_q4_1IN3c108BFloat16ELb1EEvPKvS3_PT_PKiS7_S7_iiiiiii
	.p2align	8
	.type	_ZL8moe_q4_1IN3c108BFloat16ELb1EEvPKvS3_PT_PKiS7_S7_iiiiiii,@function
_ZL8moe_q4_1IN3c108BFloat16ELb1EEvPKvS3_PT_PKiS7_S7_iiiiiii: ; @_ZL8moe_q4_1IN3c108BFloat16ELb1EEvPKvS3_PT_PKiS7_S7_iiiiiii
; %bb.0:
	s_load_dwordx4 s[0:3], s[4:5], 0x18
	s_mov_b32 s8, s7
	s_mov_b32 s9, 0
	s_lshl_b64 s[10:11], s[8:9], 2
	s_waitcnt lgkmcnt(0)
	s_add_u32 s2, s2, s10
	s_addc_u32 s3, s3, s11
	s_load_dword s2, s[2:3], 0x0
	s_waitcnt lgkmcnt(0)
	s_cmpk_gt_u32 s2, 0xff
	s_cbranch_scc1 .LBB220_28
; %bb.1:
	s_load_dwordx2 s[10:11], s[4:5], 0x28
	s_lshl_b32 s3, s8, 3
	s_waitcnt lgkmcnt(0)
	s_load_dword s7, s[10:11], 0x0
	s_waitcnt lgkmcnt(0)
	s_cmp_gt_u32 s3, s7
	s_cbranch_scc1 .LBB220_28
; %bb.2:
	v_bfe_u32 v1, v0, 10, 10
	v_add_u32_e32 v88, s3, v1
	v_mov_b32_e32 v89, 0
	v_lshlrev_b64 v[2:3], 2, v[88:89]
	v_mov_b32_e32 v4, s1
	v_add_co_u32_e32 v2, vcc, s0, v2
	v_addc_co_u32_e32 v3, vcc, v4, v3, vcc
	global_load_dword v65, v[2:3], off
	s_load_dwordx8 s[8:15], s[4:5], 0x30
	s_load_dwordx2 s[16:17], s[4:5], 0x10
	s_waitcnt lgkmcnt(0)
	s_lshl_b32 s15, s6, 7
	s_cmp_lt_i32 s9, 32
	s_cbranch_scc1 .LBB220_18
; %bb.3:
	s_ashr_i32 s0, s9, 31
	s_lshr_b32 s0, s0, 27
	s_add_i32 s0, s9, s0
	s_ashr_i32 s18, s0, 5
	s_ashr_i32 s0, s12, 31
	s_lshr_b32 s0, s0, 27
	s_add_i32 s0, s12, s0
	s_ashr_i32 s12, s0, 5
	s_not_b32 s0, s15
	s_mul_i32 s8, s2, s8
	s_add_i32 s2, s0, s10
	v_and_b32_e32 v67, 0x3ff, v0
	v_lshlrev_b32_e32 v2, 2, v67
	v_min_i32_e32 v3, s2, v1
	s_movk_i32 s3, 0x84
	v_mul_lo_u32 v5, v3, s18
	v_mad_u64_u32 v[22:23], s[0:1], v3, s3, v[2:3]
	v_add_u32_e32 v3, 8, v1
	v_min_i32_e32 v3, s2, v3
	v_mul_lo_u32 v7, v3, s18
	v_mad_u64_u32 v[24:25], s[0:1], v3, s3, v[2:3]
	v_add_u32_e32 v3, 16, v1
	v_min_i32_e32 v3, s2, v3
	;; [unrolled: 4-line block ×15, first 2 shown]
	v_mul_lo_u32 v21, v3, s18
	v_mad_u64_u32 v[52:53], s[0:1], v3, s3, v[2:3]
	v_lshlrev_b32_e32 v3, 2, v1
	v_lshrrev_b32_e32 v69, 3, v67
	v_add_u32_e32 v23, v69, v3
	v_min_i32_e32 v25, s2, v23
	v_ashrrev_i32_e32 v27, 31, v25
	v_lshrrev_b32_e32 v27, 30, v27
	v_and_b32_e32 v63, 7, v67
	v_mul_lo_u32 v53, v25, s18
	v_add_u32_e32 v27, v25, v27
	v_lshlrev_b32_e32 v89, 5, v25
	v_add_u32_e32 v25, 32, v23
	v_and_b32_e32 v27, -4, v27
	v_lshlrev_b32_e32 v29, 2, v63
	s_movk_i32 s3, 0x4200
	v_min_i32_e32 v25, s2, v25
	v_add3_u32 v88, v27, v29, s3
	v_ashrrev_i32_e32 v27, 31, v25
	v_lshrrev_b32_e32 v27, 30, v27
	v_mul_lo_u32 v59, v25, s18
	v_add_u32_e32 v27, v25, v27
	v_lshlrev_b32_e32 v102, 5, v25
	v_add_u32_e32 v25, 64, v23
	s_load_dwordx4 s[4:7], s[4:5], 0x0
	v_and_b32_e32 v27, -4, v27
	v_min_i32_e32 v25, s2, v25
	v_add3_u32 v95, v27, v29, s3
	v_ashrrev_i32_e32 v27, 31, v25
	v_add_u32_e32 v23, 0x60, v23
	v_lshrrev_b32_e32 v27, 30, v27
	v_min_i32_e32 v23, s2, v23
	v_mul_lo_u32 v61, v25, s18
	v_add_u32_e32 v27, v25, v27
	v_lshlrev_b32_e32 v104, 5, v25
	v_ashrrev_i32_e32 v25, 31, v23
	v_and_b32_e32 v6, 12, v2
	v_lshrrev_b32_e32 v25, 30, v25
	v_and_b32_e32 v2, 28, v2
	v_mul_lo_u32 v94, v23, s18
	v_add_u32_e32 v25, v23, v25
	v_lshlrev_b32_e32 v106, 5, v23
	v_and_b32_e32 v23, 31, v67
	s_waitcnt lgkmcnt(0)
	v_add_co_u32_e32 v54, vcc, s6, v2
	v_lshlrev_b32_e32 v2, 7, v1
	v_lshl_or_b32 v23, v23, 2, v2
	v_add_u32_e32 v71, 0x5280, v23
	v_mov_b32_e32 v23, 0x5680
	v_add_u32_e32 v75, 0x5280, v2
	v_lshl_add_u32 v77, v1, 4, v23
	v_and_b32_e32 v1, 0xfc, v67
	v_lshlrev_b32_e32 v2, 5, v67
	v_or_b32_e32 v3, v3, v67
	v_add3_u32 v81, v2, v1, s3
	v_add_u32_e32 v1, 32, v67
	v_lshl_add_u32 v73, v3, 2, v23
	v_and_b32_e32 v2, 0x1fc, v1
	v_lshlrev_b32_e32 v3, 5, v1
	v_add3_u32 v83, v3, v2, s3
	v_add_u32_e32 v2, 64, v67
	v_and_b32_e32 v3, 0x1fc, v2
	v_lshlrev_b32_e32 v2, 5, v2
	s_abs_i32 s2, s14
	v_add3_u32 v85, v2, v3, s3
	v_cvt_f32_u32_e32 v3, s2
	v_add_u32_e32 v2, 0x60, v67
	v_and_b32_e32 v23, 0x1fc, v2
	v_lshlrev_b32_e32 v2, 5, v2
	v_add3_u32 v87, v2, v23, s3
	v_rcp_iflag_f32_e32 v2, v3
	v_and_b32_e32 v27, -4, v27
	v_and_b32_e32 v25, -4, v25
	v_add3_u32 v103, v27, v29, s3
	v_mul_f32_e32 v2, 0x4f7ffffe, v2
	v_cvt_u32_f32_e32 v2, v2
	v_add3_u32 v105, v25, v29, s3
	s_sub_i32 s3, 0, s2
	s_waitcnt vmcnt(0)
	v_sub_u32_e32 v3, 0, v65
	v_mul_lo_u32 v23, s3, v2
	v_mul_hi_u32 v23, v2, v23
	v_max_i32_e32 v3, v65, v3
	v_add_u32_e32 v2, v2, v23
	v_mul_hi_u32 v2, v3, v2
	v_mov_b32_e32 v25, s7
	v_mul_lo_u32 v23, v2, s2
	v_addc_co_u32_e32 v55, vcc, 0, v25, vcc
	v_sub_u32_e32 v3, v3, v23
	v_add_u32_e32 v23, 1, v2
	v_cmp_le_u32_e32 vcc, s2, v3
	v_cndmask_b32_e32 v2, v2, v23, vcc
	v_subrev_u32_e32 v23, s2, v3
	v_cndmask_b32_e32 v3, v3, v23, vcc
	v_lshrrev_b32_e32 v91, 3, v1
	v_xor_b32_e32 v1, s14, v65
	v_add_u32_e32 v23, 1, v2
	v_cmp_le_u32_e32 vcc, s2, v3
	v_ashrrev_i32_e32 v1, 31, v1
	v_cndmask_b32_e32 v2, v2, v23, vcc
	v_xor_b32_e32 v2, v2, v1
	v_sub_u32_e32 v1, v2, v1
	v_cmp_gt_i32_e64 s[2:3], s11, v1
	v_mul_lo_u32 v1, v1, s12
	v_ashrrev_i32_e32 v2, 31, v1
	v_add_co_u32_e32 v3, vcc, v1, v67
	s_mul_i32 s19, s18, s15
	v_addc_co_u32_e32 v23, vcc, 0, v2, vcc
	v_mad_u64_u32 v[2:3], s[22:23], v3, 36, s[6:7]
	s_movk_i32 s21, 0x90
	v_mad_i32_i24 v3, v23, 36, v3
	v_add_co_u32_e32 v56, vcc, s21, v2
	s_mul_hi_i32 s21, s19, 20
	s_mul_i32 s22, s19, 20
	v_lshrrev_b32_e32 v4, 2, v67
	v_addc_co_u32_e32 v57, vcc, 0, v3, vcc
	v_mov_b32_e32 v2, s22
	v_mov_b32_e32 v3, s21
	v_mad_u64_u32 v[2:3], s[22:23], v4, 20, v[2:3]
	v_mad_i64_i32 v[4:5], s[22:23], v5, 20, v[2:3]
	v_add_u32_e32 v93, v67, v1
	v_add_u32_e32 v97, v91, v1
	;; [unrolled: 1-line block ×3, first 2 shown]
	v_add_co_u32_e32 v1, vcc, v4, v6
	v_addc_co_u32_e32 v4, vcc, 0, v5, vcc
	v_mov_b32_e32 v51, s5
	v_add_co_u32_e32 v1, vcc, s4, v1
	v_addc_co_u32_e32 v4, vcc, v4, v51, vcc
	v_add_co_u32_e32 v58, vcc, 4, v1
	v_addc_co_u32_e32 v1, vcc, 0, v4, vcc
	v_mad_i64_i32 v[4:5], s[22:23], v7, 20, v[2:3]
	v_add_co_u32_e32 v4, vcc, v4, v6
	v_addc_co_u32_e32 v5, vcc, 0, v5, vcc
	v_add_co_u32_e32 v4, vcc, s4, v4
	v_addc_co_u32_e32 v5, vcc, v5, v51, vcc
	v_add_co_u32_e32 v60, vcc, 4, v4
	v_addc_co_u32_e32 v23, vcc, 0, v5, vcc
	v_mad_i64_i32 v[4:5], s[22:23], v8, 20, v[2:3]
	v_add_co_u32_e32 v4, vcc, v4, v6
	v_addc_co_u32_e32 v5, vcc, 0, v5, vcc
	;; [unrolled: 7-line block ×15, first 2 shown]
	v_add_co_u32_e32 v2, vcc, s4, v2
	v_addc_co_u32_e32 v3, vcc, v3, v51, vcc
	v_add_co_u32_e32 v90, vcc, 4, v2
	v_addc_co_u32_e32 v51, vcc, 0, v3, vcc
	v_mad_i64_i32 v[2:3], s[22:23], v53, 20, 0
	v_mad_i64_i32 v[2:3], s[22:23], s19, 20, v[2:3]
	v_mad_u64_u32 v[2:3], s[22:23], v63, 20, v[2:3]
	v_mov_b32_e32 v4, s5
	v_add_co_u32_e32 v92, vcc, s4, v2
	v_addc_co_u32_e32 v53, vcc, v4, v3, vcc
	v_mad_i64_i32 v[2:3], s[22:23], v59, 20, 0
	v_mad_i64_i32 v[2:3], s[22:23], s19, 20, v[2:3]
	v_mad_u64_u32 v[2:3], s[22:23], v63, 20, v[2:3]
	v_add_co_u32_e32 v96, vcc, s4, v2
	v_addc_co_u32_e32 v59, vcc, v4, v3, vcc
	v_mad_i64_i32 v[2:3], s[22:23], v61, 20, 0
	v_mad_i64_i32 v[2:3], s[22:23], s19, 20, v[2:3]
	v_mad_u64_u32 v[2:3], s[22:23], v63, 20, v[2:3]
	;; [unrolled: 5-line block ×3, first 2 shown]
	s_ashr_i32 s20, s8, 31
	v_mul_u32_u24_e32 v79, 0x84, v67
	v_add_co_u32_e32 v100, vcc, s4, v2
	v_mov_b32_e32 v94, 0
	s_mov_b32 s10, 0
	v_cmp_gt_u32_e64 s[0:1], 4, v67
	v_addc_co_u32_e32 v63, vcc, v4, v3, vcc
	s_movk_i32 s19, 0x80
	v_add_u32_e32 v101, v88, v89
	v_add_u32_e32 v128, v95, v102
	;; [unrolled: 1-line block ×4, first 2 shown]
	v_mov_b32_e32 v131, s20
	v_add_u32_e32 v132, 0x1080, v79
	v_mov_b32_e32 v95, v94
	v_mov_b32_e32 v88, v94
	;; [unrolled: 1-line block ×3, first 2 shown]
	s_branch .LBB220_6
.LBB220_4:                              ;   in Loop: Header=BB220_6 Depth=1
	s_or_b64 exec, exec, s[4:5]
	s_waitcnt lgkmcnt(0)
	s_barrier
	ds_read_b128 v[2:5], v77
	ds_read2_b32 v[102:103], v79 offset0:16 offset1:17
	ds_read_b128 v[14:17], v75
	ds_read_b128 v[18:21], v75 offset:16
	ds_read_b128 v[6:9], v75 offset:32
	;; [unrolled: 1-line block ×3, first 2 shown]
	ds_read2_b32 v[104:105], v81 offset0:4 offset1:5
	s_waitcnt lgkmcnt(5)
	v_and_b32_e32 v106, 0xf0f0f0f, v102
	v_lshrrev_b32_e32 v102, 4, v102
	v_mov_b32_e32 v122, 0
	v_and_b32_e32 v102, 0xf0f0f0f, v102
	s_waitcnt lgkmcnt(4)
	v_dot4c_i32_i8_e32 v122, v106, v14
	s_waitcnt lgkmcnt(3)
	v_dot4c_i32_i8_e32 v122, v102, v18
	v_and_b32_e32 v102, 0xf0f0f0f, v103
	v_lshrrev_b32_e32 v103, 4, v103
	v_and_b32_e32 v106, 0xf0f0f0f, v103
	v_dot4c_i32_i8_e32 v122, v102, v15
	ds_read2_b32 v[102:103], v79 offset0:18 offset1:19
	v_dot4c_i32_i8_e32 v122, v106, v19
	ds_read2_b32 v[112:113], v79 offset0:20 offset1:21
	ds_read2_b32 v[114:115], v79 offset0:22 offset1:23
	;; [unrolled: 1-line block ×3, first 2 shown]
	s_waitcnt lgkmcnt(4)
	v_pk_mul_f16 v123, v2, v104
	v_mov_b32_e32 v133, 0
	s_waitcnt lgkmcnt(3)
	v_and_b32_e32 v106, 0xf0f0f0f, v102
	v_lshrrev_b32_e32 v102, 4, v102
	v_and_b32_e32 v102, 0xf0f0f0f, v102
	v_dot4c_i32_i8_e32 v122, v106, v16
	v_dot4c_i32_i8_e32 v122, v102, v20
	v_and_b32_e32 v102, 0xf0f0f0f, v103
	v_dot4c_i32_i8_e32 v122, v102, v17
	v_add_u32_e32 v102, 0x10c0, v79
	ds_read2_b32 v[108:109], v102 offset1:1
	ds_read2_b32 v[120:121], v79 offset0:26 offset1:27
	ds_read2_b32 v[106:107], v79 offset0:28 offset1:29
	;; [unrolled: 1-line block ×3, first 2 shown]
	v_lshrrev_b32_e32 v103, 4, v103
	s_waitcnt lgkmcnt(3)
	v_and_b32_e32 v104, 0xf0f0f0f, v108
	v_lshrrev_b32_e32 v108, 4, v108
	v_and_b32_e32 v108, 0xf0f0f0f, v108
	v_dot4c_i32_i8_e32 v133, v104, v14
	v_dot4c_i32_i8_e32 v133, v108, v18
	v_and_b32_e32 v104, 0xf0f0f0f, v109
	v_lshrrev_b32_e32 v108, 4, v109
	v_and_b32_e32 v103, 0xf0f0f0f, v103
	v_and_b32_e32 v108, 0xf0f0f0f, v108
	v_dot4c_i32_i8_e32 v133, v104, v15
	v_add_u32_e32 v104, 0x10c8, v79
	v_dot4c_i32_i8_e32 v122, v103, v21
	ds_read2_b32 v[124:125], v83 offset0:4 offset1:5
	ds_read2_b32 v[102:103], v87 offset0:6 offset1:7
	v_dot4c_i32_i8_e32 v133, v108, v19
	ds_read2_b32 v[108:109], v104 offset1:1
	v_add_u32_e32 v116, 0x2140, v79
	v_add_u32_e32 v104, 0x31c0, v79
	;; [unrolled: 1-line block ×3, first 2 shown]
	ds_read2_b32 v[126:127], v116 offset1:1
	ds_read2_b32 v[134:135], v117 offset1:1
	;; [unrolled: 1-line block ×3, first 2 shown]
	s_waitcnt lgkmcnt(3)
	v_and_b32_e32 v104, 0xf0f0f0f, v108
	v_lshrrev_b32_e32 v108, 4, v108
	v_and_b32_e32 v108, 0xf0f0f0f, v108
	v_dot4c_i32_i8_e32 v133, v104, v16
	v_dot4c_i32_i8_e32 v133, v108, v20
	v_and_b32_e32 v104, 0xf0f0f0f, v109
	v_dot4c_i32_i8_e32 v133, v104, v17
	s_waitcnt lgkmcnt(2)
	v_lshrrev_b32_e32 v104, 4, v126
	v_and_b32_e32 v140, 0xf0f0f0f, v126
	v_and_b32_e32 v126, 0xf0f0f0f, v104
	v_mov_b32_e32 v104, 0
	v_dot4c_i32_i8_e32 v104, v140, v14
	v_dot4c_i32_i8_e32 v104, v126, v18
	v_and_b32_e32 v126, 0xf0f0f0f, v127
	v_lshrrev_b32_e32 v127, 4, v127
	v_and_b32_e32 v127, 0xf0f0f0f, v127
	v_dot4c_i32_i8_e32 v104, v126, v15
	v_dot4c_i32_i8_e32 v104, v127, v19
	s_waitcnt lgkmcnt(1)
	v_and_b32_e32 v126, 0xf0f0f0f, v134
	v_lshrrev_b32_e32 v127, 4, v134
	v_and_b32_e32 v127, 0xf0f0f0f, v127
	v_dot4c_i32_i8_e32 v104, v126, v16
	v_dot4c_i32_i8_e32 v104, v127, v20
	v_and_b32_e32 v126, 0xf0f0f0f, v135
	v_lshrrev_b32_e32 v127, 4, v135
	v_and_b32_e32 v127, 0xf0f0f0f, v127
	v_dot4c_i32_i8_e32 v104, v126, v17
	v_dot4c_i32_i8_e32 v104, v127, v21
	s_waitcnt lgkmcnt(0)
	v_and_b32_e32 v126, 0xf0f0f0f, v136
	v_lshrrev_b32_e32 v127, 4, v136
	v_mov_b32_e32 v140, 0
	v_and_b32_e32 v127, 0xf0f0f0f, v127
	v_dot4c_i32_i8_e32 v140, v126, v14
	v_lshrrev_b32_e32 v108, 4, v109
	v_dot4c_i32_i8_e32 v140, v127, v18
	v_and_b32_e32 v14, 0xf0f0f0f, v137
	v_and_b32_e32 v108, 0xf0f0f0f, v108
	v_dot4c_i32_i8_e32 v140, v14, v15
	v_add_u32_e32 v14, 0x31c8, v79
	v_dot4c_i32_i8_e32 v133, v108, v21
	ds_read2_b32 v[138:139], v85 offset0:4 offset1:5
	ds_read2_b32 v[108:109], v83 offset0:6 offset1:7
	;; [unrolled: 1-line block ×3, first 2 shown]
	ds_read2_b32 v[14:15], v14 offset1:1
	v_lshrrev_b32_e32 v18, 4, v137
	v_and_b32_e32 v18, 0xf0f0f0f, v18
	v_dot4c_i32_i8_e32 v140, v18, v19
	v_add_u32_e32 v18, 0x10d0, v79
	v_add_u32_e32 v126, 0x10d8, v79
	;; [unrolled: 1-line block ×3, first 2 shown]
	s_waitcnt lgkmcnt(0)
	v_and_b32_e32 v136, 0xf0f0f0f, v14
	ds_read2_b32 v[18:19], v18 offset1:1
	ds_read2_b32 v[126:127], v126 offset1:1
	;; [unrolled: 1-line block ×3, first 2 shown]
	v_dot4c_i32_i8_e32 v140, v136, v16
	ds_read2_b32 v[136:137], v87 offset0:4 offset1:5
	v_lshrrev_b32_e32 v14, 4, v14
	v_and_b32_e32 v14, 0xf0f0f0f, v14
	v_dot4c_i32_i8_e32 v140, v14, v20
	v_and_b32_e32 v14, 0xf0f0f0f, v15
	v_lshrrev_b32_e32 v15, 4, v15
	v_and_b32_e32 v15, 0xf0f0f0f, v15
	v_dot4c_i32_i8_e32 v140, v14, v17
	v_pk_mul_f16 v124, v2, v124
	v_pk_mul_f16 v138, v2, v138
	v_dot4c_i32_i8_e32 v140, v15, v21
	ds_read2_b32 v[14:15], v85 offset0:6 offset1:7
	s_waitcnt lgkmcnt(1)
	v_pk_mul_f16 v136, v2, v136
	v_and_b32_e32 v2, 0xf0f0f0f, v112
	v_lshrrev_b32_e32 v16, 4, v112
	v_mov_b32_e32 v141, 0
	v_and_b32_e32 v16, 0xf0f0f0f, v16
	v_dot4c_i32_i8_e32 v141, v2, v6
	v_dot4c_i32_i8_e32 v141, v16, v10
	v_and_b32_e32 v2, 0xf0f0f0f, v113
	v_lshrrev_b32_e32 v16, 4, v113
	v_and_b32_e32 v16, 0xf0f0f0f, v16
	v_dot4c_i32_i8_e32 v141, v2, v7
	v_dot4c_i32_i8_e32 v141, v16, v11
	v_and_b32_e32 v2, 0xf0f0f0f, v114
	v_lshrrev_b32_e32 v16, 4, v114
	;; [unrolled: 5-line block ×4, first 2 shown]
	v_mov_b32_e32 v114, 0
	v_and_b32_e32 v16, 0xf0f0f0f, v16
	v_dot4c_i32_i8_e32 v114, v2, v6
	v_dot4c_i32_i8_e32 v114, v16, v10
	v_and_b32_e32 v2, 0xf0f0f0f, v19
	v_lshrrev_b32_e32 v16, 4, v19
	v_and_b32_e32 v16, 0xf0f0f0f, v16
	v_dot4c_i32_i8_e32 v114, v2, v7
	v_dot4c_i32_i8_e32 v114, v16, v11
	v_and_b32_e32 v2, 0xf0f0f0f, v126
	v_lshrrev_b32_e32 v16, 4, v126
	;; [unrolled: 5-line block ×3, first 2 shown]
	v_and_b32_e32 v16, 0xf0f0f0f, v16
	v_dot4c_i32_i8_e32 v114, v2, v9
	v_dot4c_i32_i8_e32 v114, v16, v13
	v_pk_mul_f16 v115, v3, v125
	v_and_b32_e32 v2, 0xf0f0f0f, v134
	v_lshrrev_b32_e32 v16, 4, v134
	v_mov_b32_e32 v125, 0
	v_and_b32_e32 v16, 0xf0f0f0f, v16
	v_dot4c_i32_i8_e32 v125, v2, v6
	v_dot4c_i32_i8_e32 v125, v16, v10
	v_and_b32_e32 v2, 0xf0f0f0f, v135
	v_lshrrev_b32_e32 v16, 4, v135
	v_and_b32_e32 v16, 0xf0f0f0f, v16
	v_dot4c_i32_i8_e32 v125, v2, v7
	v_add_u32_e32 v2, 0x2158, v79
	v_dot4c_i32_i8_e32 v125, v16, v11
	ds_read2_b32 v[16:17], v2 offset1:1
	v_add_u32_e32 v18, 0x31d0, v79
	v_add_u32_e32 v20, 0x31d8, v79
	;; [unrolled: 1-line block ×3, first 2 shown]
	ds_read2_b32 v[18:19], v18 offset1:1
	ds_read2_b32 v[20:21], v20 offset1:1
	;; [unrolled: 1-line block ×3, first 2 shown]
	s_waitcnt lgkmcnt(3)
	v_and_b32_e32 v2, 0xf0f0f0f, v16
	v_lshrrev_b32_e32 v16, 4, v16
	v_and_b32_e32 v16, 0xf0f0f0f, v16
	v_dot4c_i32_i8_e32 v125, v2, v8
	v_dot4c_i32_i8_e32 v125, v16, v12
	v_and_b32_e32 v2, 0xf0f0f0f, v17
	v_lshrrev_b32_e32 v16, 4, v17
	v_and_b32_e32 v16, 0xf0f0f0f, v16
	v_dot4c_i32_i8_e32 v125, v2, v9
	v_dot4c_i32_i8_e32 v125, v16, v13
	s_waitcnt lgkmcnt(2)
	v_and_b32_e32 v2, 0xf0f0f0f, v18
	v_lshrrev_b32_e32 v16, 4, v18
	v_mov_b32_e32 v127, 0
	v_and_b32_e32 v16, 0xf0f0f0f, v16
	v_dot4c_i32_i8_e32 v127, v2, v6
	v_dot4c_i32_i8_e32 v127, v16, v10
	v_and_b32_e32 v2, 0xf0f0f0f, v19
	v_lshrrev_b32_e32 v6, 4, v19
	v_and_b32_e32 v6, 0xf0f0f0f, v6
	v_dot4c_i32_i8_e32 v127, v2, v7
	v_dot4c_i32_i8_e32 v127, v6, v11
	s_waitcnt lgkmcnt(1)
	v_and_b32_e32 v2, 0xf0f0f0f, v20
	v_lshrrev_b32_e32 v6, 4, v20
	v_and_b32_e32 v6, 0xf0f0f0f, v6
	v_dot4c_i32_i8_e32 v127, v2, v8
	v_dot4c_i32_i8_e32 v127, v6, v12
	v_and_b32_e32 v2, 0xf0f0f0f, v21
	v_lshrrev_b32_e32 v6, 4, v21
	v_and_b32_e32 v6, 0xf0f0f0f, v6
	v_dot4c_i32_i8_e32 v127, v2, v9
	v_dot4c_i32_i8_e32 v127, v6, v13
	ds_read_b128 v[6:9], v75 offset:64
	ds_read_b128 v[10:13], v75 offset:80
	v_pk_mul_f16 v105, v3, v105
	v_pk_mul_f16 v126, v3, v139
	;; [unrolled: 1-line block ×3, first 2 shown]
	v_and_b32_e32 v2, 0xf0f0f0f, v118
	v_lshrrev_b32_e32 v3, 4, v118
	v_mov_b32_e32 v118, 0
	v_and_b32_e32 v3, 0xf0f0f0f, v3
	s_waitcnt lgkmcnt(1)
	v_dot4c_i32_i8_e32 v118, v2, v6
	s_waitcnt lgkmcnt(0)
	v_dot4c_i32_i8_e32 v118, v3, v10
	v_and_b32_e32 v2, 0xf0f0f0f, v119
	v_lshrrev_b32_e32 v3, 4, v119
	v_and_b32_e32 v3, 0xf0f0f0f, v3
	v_dot4c_i32_i8_e32 v118, v2, v7
	v_dot4c_i32_i8_e32 v118, v3, v11
	v_and_b32_e32 v2, 0xf0f0f0f, v120
	v_lshrrev_b32_e32 v3, 4, v120
	v_and_b32_e32 v3, 0xf0f0f0f, v3
	v_dot4c_i32_i8_e32 v118, v2, v8
	;; [unrolled: 5-line block ×3, first 2 shown]
	v_dot4c_i32_i8_e32 v118, v3, v13
	v_and_b32_e32 v2, 0xf0f0f0f, v112
	v_lshrrev_b32_e32 v3, 4, v112
	v_mov_b32_e32 v119, 0
	v_and_b32_e32 v3, 0xf0f0f0f, v3
	v_dot4c_i32_i8_e32 v119, v2, v6
	v_dot4c_i32_i8_e32 v119, v3, v10
	v_and_b32_e32 v2, 0xf0f0f0f, v113
	v_lshrrev_b32_e32 v3, 4, v113
	v_and_b32_e32 v3, 0xf0f0f0f, v3
	v_dot4c_i32_i8_e32 v119, v2, v7
	v_add_u32_e32 v2, 0x10e8, v79
	v_dot4c_i32_i8_e32 v119, v3, v11
	ds_read2_b32 v[2:3], v2 offset1:1
	v_add_u32_e32 v16, 0x2160, v79
	v_add_u32_e32 v18, 0x2168, v79
	;; [unrolled: 1-line block ×3, first 2 shown]
	ds_read2_b32 v[16:17], v16 offset1:1
	ds_read2_b32 v[18:19], v18 offset1:1
	;; [unrolled: 1-line block ×3, first 2 shown]
	s_waitcnt lgkmcnt(3)
	v_and_b32_e32 v112, 0xf0f0f0f, v2
	v_lshrrev_b32_e32 v2, 4, v2
	v_and_b32_e32 v2, 0xf0f0f0f, v2
	v_dot4c_i32_i8_e32 v119, v112, v8
	v_dot4c_i32_i8_e32 v119, v2, v12
	v_and_b32_e32 v2, 0xf0f0f0f, v3
	v_lshrrev_b32_e32 v3, 4, v3
	v_and_b32_e32 v3, 0xf0f0f0f, v3
	v_dot4c_i32_i8_e32 v119, v2, v9
	v_dot4c_i32_i8_e32 v119, v3, v13
	s_waitcnt lgkmcnt(2)
	v_and_b32_e32 v2, 0xf0f0f0f, v16
	v_lshrrev_b32_e32 v3, 4, v16
	v_mov_b32_e32 v120, 0
	v_and_b32_e32 v3, 0xf0f0f0f, v3
	v_dot4c_i32_i8_e32 v120, v2, v6
	v_dot4c_i32_i8_e32 v120, v3, v10
	v_and_b32_e32 v2, 0xf0f0f0f, v17
	v_lshrrev_b32_e32 v3, 4, v17
	v_and_b32_e32 v3, 0xf0f0f0f, v3
	v_dot4c_i32_i8_e32 v120, v2, v7
	v_dot4c_i32_i8_e32 v120, v3, v11
	s_waitcnt lgkmcnt(1)
	v_and_b32_e32 v2, 0xf0f0f0f, v18
	v_lshrrev_b32_e32 v3, 4, v18
	v_and_b32_e32 v3, 0xf0f0f0f, v3
	v_dot4c_i32_i8_e32 v120, v2, v8
	v_dot4c_i32_i8_e32 v120, v3, v12
	v_and_b32_e32 v2, 0xf0f0f0f, v19
	v_lshrrev_b32_e32 v3, 4, v19
	v_and_b32_e32 v3, 0xf0f0f0f, v3
	v_dot4c_i32_i8_e32 v120, v2, v9
	v_dot4c_i32_i8_e32 v120, v3, v13
	s_waitcnt lgkmcnt(0)
	v_and_b32_e32 v2, 0xf0f0f0f, v20
	v_lshrrev_b32_e32 v3, 4, v20
	v_mov_b32_e32 v135, 0
	v_and_b32_e32 v3, 0xf0f0f0f, v3
	v_dot4c_i32_i8_e32 v135, v2, v6
	v_dot4c_i32_i8_e32 v135, v3, v10
	v_and_b32_e32 v2, 0xf0f0f0f, v21
	v_lshrrev_b32_e32 v3, 4, v21
	v_and_b32_e32 v3, 0xf0f0f0f, v3
	v_dot4c_i32_i8_e32 v135, v2, v7
	v_add_u32_e32 v2, 0x31e8, v79
	v_dot4c_i32_i8_e32 v135, v3, v11
	ds_read2_b32 v[2:3], v2 offset1:1
	v_add_u32_e32 v6, 0x10f0, v79
	v_add_u32_e32 v7, 0x10f8, v79
	v_add_u32_e32 v10, 0x2170, v79
	ds_read2_b32 v[16:17], v6 offset1:1
	ds_read2_b32 v[18:19], v7 offset1:1
	;; [unrolled: 1-line block ×3, first 2 shown]
	s_waitcnt lgkmcnt(3)
	v_and_b32_e32 v6, 0xf0f0f0f, v2
	v_lshrrev_b32_e32 v2, 4, v2
	v_and_b32_e32 v2, 0xf0f0f0f, v2
	v_dot4c_i32_i8_e32 v135, v6, v8
	v_dot4c_i32_i8_e32 v135, v2, v12
	v_and_b32_e32 v2, 0xf0f0f0f, v3
	v_lshrrev_b32_e32 v3, 4, v3
	v_and_b32_e32 v3, 0xf0f0f0f, v3
	v_dot4c_i32_i8_e32 v135, v2, v9
	v_dot4c_i32_i8_e32 v135, v3, v13
	ds_read_b128 v[6:9], v75 offset:96
	ds_read_b128 v[10:13], v75 offset:112
	v_pk_mul_f16 v116, v4, v116
	v_pk_mul_f16 v108, v4, v108
	;; [unrolled: 1-line block ×4, first 2 shown]
	v_and_b32_e32 v2, 0xf0f0f0f, v106
	v_lshrrev_b32_e32 v3, 4, v106
	v_mov_b32_e32 v4, 0
	v_and_b32_e32 v3, 0xf0f0f0f, v3
	s_waitcnt lgkmcnt(1)
	v_dot4c_i32_i8_e32 v4, v2, v6
	s_waitcnt lgkmcnt(0)
	v_dot4c_i32_i8_e32 v4, v3, v10
	v_and_b32_e32 v2, 0xf0f0f0f, v107
	v_lshrrev_b32_e32 v3, 4, v107
	v_and_b32_e32 v3, 0xf0f0f0f, v3
	v_dot4c_i32_i8_e32 v4, v2, v7
	v_dot4c_i32_i8_e32 v4, v3, v11
	v_and_b32_e32 v2, 0xf0f0f0f, v110
	v_lshrrev_b32_e32 v3, 4, v110
	v_and_b32_e32 v3, 0xf0f0f0f, v3
	v_dot4c_i32_i8_e32 v4, v2, v8
	;; [unrolled: 5-line block ×3, first 2 shown]
	v_dot4c_i32_i8_e32 v4, v3, v13
	v_pk_mul_f16 v14, v5, v117
	v_and_b32_e32 v2, 0xf0f0f0f, v16
	v_lshrrev_b32_e32 v3, 4, v16
	v_mov_b32_e32 v117, 0
	v_and_b32_e32 v3, 0xf0f0f0f, v3
	v_dot4c_i32_i8_e32 v117, v2, v6
	v_dot4c_i32_i8_e32 v117, v3, v10
	v_and_b32_e32 v2, 0xf0f0f0f, v17
	v_lshrrev_b32_e32 v3, 4, v17
	v_and_b32_e32 v3, 0xf0f0f0f, v3
	v_dot4c_i32_i8_e32 v117, v2, v7
	v_dot4c_i32_i8_e32 v117, v3, v11
	v_and_b32_e32 v2, 0xf0f0f0f, v18
	v_lshrrev_b32_e32 v3, 4, v18
	;; [unrolled: 5-line block ×3, first 2 shown]
	v_and_b32_e32 v3, 0xf0f0f0f, v3
	v_dot4c_i32_i8_e32 v117, v2, v9
	v_dot4c_i32_i8_e32 v117, v3, v13
	v_cvt_f32_f16_e32 v3, v124
	v_cvt_f32_f16_e32 v2, v123
	v_cvt_f32_f16_sdwa v17, v124 dst_sel:DWORD dst_unused:UNUSED_PAD src0_sel:WORD_1
	v_cvt_f32_f16_sdwa v16, v123 dst_sel:DWORD dst_unused:UNUSED_PAD src0_sel:WORD_1
	v_cvt_f32_i32_e32 v19, v133
	v_cvt_f32_i32_e32 v18, v122
	v_cvt_f32_f16_e32 v107, v115
	v_cvt_f32_f16_e32 v106, v105
	v_cvt_f32_f16_sdwa v111, v115 dst_sel:DWORD dst_unused:UNUSED_PAD src0_sel:WORD_1
	v_cvt_f32_f16_sdwa v110, v105 dst_sel:DWORD dst_unused:UNUSED_PAD src0_sel:WORD_1
	v_cvt_f32_i32_e32 v113, v114
	v_cvt_f32_i32_e32 v112, v141
	v_pk_fma_f32 v[2:3], v[2:3], v[18:19], v[16:17]
	v_pk_mul_f16 v105, v5, v109
	v_pk_add_f32 v[2:3], v[94:95], v[2:3]
	v_pk_fma_f32 v[16:17], v[106:107], v[112:113], v[110:111]
	v_cvt_f32_f16_e32 v19, v108
	v_cvt_f32_f16_e32 v18, v116
	v_cvt_f32_f16_sdwa v95, v108 dst_sel:DWORD dst_unused:UNUSED_PAD src0_sel:WORD_1
	v_cvt_f32_f16_sdwa v94, v116 dst_sel:DWORD dst_unused:UNUSED_PAD src0_sel:WORD_1
	v_cvt_f32_i32_e32 v107, v119
	v_cvt_f32_i32_e32 v106, v118
	v_cvt_f32_f16_e32 v109, v105
	v_cvt_f32_f16_e32 v108, v14
	v_cvt_f32_f16_sdwa v111, v105 dst_sel:DWORD dst_unused:UNUSED_PAD src0_sel:WORD_1
	v_cvt_f32_f16_sdwa v110, v14 dst_sel:DWORD dst_unused:UNUSED_PAD src0_sel:WORD_1
	v_cvt_f32_i32_e32 v113, v117
	v_cvt_f32_i32_e32 v112, v4
	v_pk_add_f32 v[2:3], v[2:3], v[16:17]
	v_pk_fma_f32 v[16:17], v[18:19], v[106:107], v[94:95]
	v_pk_add_f32 v[2:3], v[2:3], v[16:17]
	v_pk_fma_f32 v[16:17], v[108:109], v[112:113], v[110:111]
	v_pk_add_f32 v[94:95], v[2:3], v[16:17]
	v_and_b32_e32 v2, 0xf0f0f0f, v20
	v_lshrrev_b32_e32 v3, 4, v20
	v_mov_b32_e32 v20, 0
	v_and_b32_e32 v3, 0xf0f0f0f, v3
	v_dot4c_i32_i8_e32 v20, v2, v6
	v_dot4c_i32_i8_e32 v20, v3, v10
	v_and_b32_e32 v2, 0xf0f0f0f, v21
	v_lshrrev_b32_e32 v3, 4, v21
	v_and_b32_e32 v3, 0xf0f0f0f, v3
	v_dot4c_i32_i8_e32 v20, v2, v7
	v_add_u32_e32 v2, 0x2178, v79
	v_dot4c_i32_i8_e32 v20, v3, v11
	ds_read2_b32 v[2:3], v2 offset1:1
	v_add_u32_e32 v4, 0x31f0, v79
	v_add_u32_e32 v14, 0x31f8, v79
	ds_read2_b32 v[16:17], v4 offset1:1
	ds_read2_b32 v[18:19], v14 offset1:1
	v_pk_mul_f16 v21, v5, v15
	s_waitcnt lgkmcnt(2)
	v_and_b32_e32 v4, 0xf0f0f0f, v2
	v_lshrrev_b32_e32 v2, 4, v2
	v_and_b32_e32 v2, 0xf0f0f0f, v2
	v_dot4c_i32_i8_e32 v20, v4, v8
	v_dot4c_i32_i8_e32 v20, v2, v12
	v_and_b32_e32 v2, 0xf0f0f0f, v3
	v_lshrrev_b32_e32 v3, 4, v3
	v_and_b32_e32 v3, 0xf0f0f0f, v3
	v_dot4c_i32_i8_e32 v20, v2, v9
	v_dot4c_i32_i8_e32 v20, v3, v13
	s_waitcnt lgkmcnt(1)
	v_and_b32_e32 v2, 0xf0f0f0f, v16
	v_lshrrev_b32_e32 v3, 4, v16
	v_mov_b32_e32 v16, 0
	v_and_b32_e32 v3, 0xf0f0f0f, v3
	v_dot4c_i32_i8_e32 v16, v2, v6
	v_dot4c_i32_i8_e32 v16, v3, v10
	v_and_b32_e32 v2, 0xf0f0f0f, v17
	v_lshrrev_b32_e32 v3, 4, v17
	v_and_b32_e32 v3, 0xf0f0f0f, v3
	v_dot4c_i32_i8_e32 v16, v2, v7
	v_dot4c_i32_i8_e32 v16, v3, v11
	s_waitcnt lgkmcnt(0)
	v_and_b32_e32 v2, 0xf0f0f0f, v18
	v_lshrrev_b32_e32 v3, 4, v18
	v_and_b32_e32 v3, 0xf0f0f0f, v3
	v_dot4c_i32_i8_e32 v16, v2, v8
	v_dot4c_i32_i8_e32 v16, v3, v12
	v_and_b32_e32 v2, 0xf0f0f0f, v19
	v_lshrrev_b32_e32 v3, 4, v19
	v_and_b32_e32 v3, 0xf0f0f0f, v3
	v_dot4c_i32_i8_e32 v16, v2, v9
	v_dot4c_i32_i8_e32 v16, v3, v13
	v_cvt_f32_f16_e32 v3, v136
	v_cvt_f32_f16_e32 v2, v138
	v_cvt_f32_f16_sdwa v7, v136 dst_sel:DWORD dst_unused:UNUSED_PAD src0_sel:WORD_1
	v_cvt_f32_f16_sdwa v6, v138 dst_sel:DWORD dst_unused:UNUSED_PAD src0_sel:WORD_1
	v_cvt_f32_i32_e32 v9, v140
	v_cvt_f32_i32_e32 v8, v104
	v_cvt_f32_f16_e32 v11, v134
	v_cvt_f32_f16_e32 v10, v126
	v_cvt_f32_f16_sdwa v13, v134 dst_sel:DWORD dst_unused:UNUSED_PAD src0_sel:WORD_1
	v_cvt_f32_f16_sdwa v12, v126 dst_sel:DWORD dst_unused:UNUSED_PAD src0_sel:WORD_1
	v_cvt_f32_i32_e32 v15, v127
	v_cvt_f32_i32_e32 v14, v125
	v_pk_mul_f16 v17, v5, v103
	v_pk_fma_f32 v[2:3], v[2:3], v[8:9], v[6:7]
	v_cvt_f32_f16_e32 v7, v102
	v_pk_fma_f32 v[4:5], v[10:11], v[14:15], v[12:13]
	v_cvt_f32_f16_e32 v6, v121
	v_cvt_f32_f16_sdwa v9, v102 dst_sel:DWORD dst_unused:UNUSED_PAD src0_sel:WORD_1
	v_cvt_f32_f16_sdwa v8, v121 dst_sel:DWORD dst_unused:UNUSED_PAD src0_sel:WORD_1
	v_cvt_f32_i32_e32 v11, v135
	v_cvt_f32_i32_e32 v10, v120
	v_cvt_f32_f16_e32 v13, v17
	v_cvt_f32_f16_e32 v12, v21
	v_cvt_f32_f16_sdwa v15, v17 dst_sel:DWORD dst_unused:UNUSED_PAD src0_sel:WORD_1
	v_cvt_f32_f16_sdwa v14, v21 dst_sel:DWORD dst_unused:UNUSED_PAD src0_sel:WORD_1
	v_cvt_f32_i32_e32 v17, v16
	v_cvt_f32_i32_e32 v16, v20
	v_pk_add_f32 v[2:3], v[88:89], v[2:3]
	v_pk_add_f32 v[2:3], v[2:3], v[4:5]
	v_pk_fma_f32 v[4:5], v[6:7], v[10:11], v[8:9]
	v_pk_add_f32 v[2:3], v[2:3], v[4:5]
	v_pk_fma_f32 v[4:5], v[12:13], v[16:17], v[14:15]
	v_pk_add_f32 v[88:89], v[2:3], v[4:5]
	s_barrier
.LBB220_5:                              ;   in Loop: Header=BB220_6 Depth=1
	v_add_co_u32_e32 v56, vcc, 0x120, v56
	v_addc_co_u32_e32 v57, vcc, 0, v57, vcc
	v_add_co_u32_e32 v58, vcc, 0xa0, v58
	v_addc_co_u32_e32 v1, vcc, 0, v1, vcc
	;; [unrolled: 2-line block ×20, first 2 shown]
	s_add_i32 s10, s10, 8
	s_addk_i32 s19, 0x100
	v_add_co_u32_e32 v100, vcc, 0xa0, v100
	s_cmp_ge_i32 s10, s18
	v_addc_co_u32_e32 v63, vcc, 0, v63, vcc
	s_cbranch_scc1 .LBB220_19
.LBB220_6:                              ; =>This Inner Loop Header: Depth=1
	v_add_co_u32_e32 v2, vcc, s8, v58
	v_addc_co_u32_e32 v3, vcc, v1, v131, vcc
	global_load_dword v4, v[2:3], off
	v_add_co_u32_e32 v2, vcc, s8, v60
	v_addc_co_u32_e32 v3, vcc, v23, v131, vcc
	global_load_dword v5, v[2:3], off
	;; [unrolled: 3-line block ×20, first 2 shown]
	s_add_i32 s4, s19, 0xffffff80
	s_cmp_lt_i32 s4, s9
	s_waitcnt vmcnt(19)
	ds_write_b32 v22, v4
	s_waitcnt vmcnt(18)
	ds_write_b32 v24, v5
	;; [unrolled: 2-line block ×20, first 2 shown]
	s_cbranch_scc0 .LBB220_5
; %bb.7:                                ;   in Loop: Header=BB220_6 Depth=1
	v_add_u32_e32 v2, s10, v69
	v_cmp_gt_i32_e32 vcc, s12, v2
	s_and_b64 s[20:21], s[2:3], vcc
	s_and_saveexec_b64 s[4:5], s[20:21]
	s_cbranch_execz .LBB220_9
; %bb.8:                                ;   in Loop: Header=BB220_6 Depth=1
	v_add_u32_e32 v2, s10, v99
	v_mad_i64_i32 v[2:3], s[20:21], v2, 36, v[54:55]
	global_load_dword v2, v[2:3], off offset:4
	s_waitcnt vmcnt(0)
	ds_write_b32 v71, v2
.LBB220_9:                              ;   in Loop: Header=BB220_6 Depth=1
	s_or_b64 exec, exec, s[4:5]
	s_and_saveexec_b64 s[4:5], s[0:1]
	s_cbranch_execz .LBB220_12
; %bb.10:                               ;   in Loop: Header=BB220_6 Depth=1
	v_add_u32_e32 v2, s10, v67
	v_cmp_gt_i32_e32 vcc, s12, v2
	s_and_b64 s[20:21], s[2:3], vcc
	s_and_b64 exec, exec, s[20:21]
	s_cbranch_execz .LBB220_12
; %bb.11:                               ;   in Loop: Header=BB220_6 Depth=1
	v_add_u32_e32 v2, s10, v93
	v_mad_i64_i32 v[2:3], s[20:21], v2, 36, s[6:7]
	global_load_dword v2, v[2:3], off
	s_waitcnt vmcnt(0)
	ds_write_b32 v73, v2
.LBB220_12:                             ;   in Loop: Header=BB220_6 Depth=1
	s_or_b64 exec, exec, s[4:5]
	s_waitcnt lgkmcnt(0)
	s_barrier
	ds_read_b128 v[2:5], v77
	ds_read2_b32 v[102:103], v79 offset1:1
	ds_read_b128 v[14:17], v75
	ds_read_b128 v[18:21], v75 offset:16
	ds_read_b128 v[6:9], v75 offset:32
	;; [unrolled: 1-line block ×3, first 2 shown]
	ds_read2_b32 v[104:105], v81 offset1:1
	s_waitcnt lgkmcnt(5)
	v_and_b32_e32 v106, 0xf0f0f0f, v102
	v_lshrrev_b32_e32 v102, 4, v102
	v_mov_b32_e32 v116, 0
	v_and_b32_e32 v102, 0xf0f0f0f, v102
	s_waitcnt lgkmcnt(4)
	v_dot4c_i32_i8_e32 v116, v106, v14
	s_waitcnt lgkmcnt(3)
	v_dot4c_i32_i8_e32 v116, v102, v18
	v_and_b32_e32 v102, 0xf0f0f0f, v103
	v_lshrrev_b32_e32 v103, 4, v103
	v_and_b32_e32 v106, 0xf0f0f0f, v103
	v_dot4c_i32_i8_e32 v116, v102, v15
	ds_read2_b32 v[102:103], v79 offset0:2 offset1:3
	v_dot4c_i32_i8_e32 v116, v106, v19
	ds_read2_b32 v[118:119], v79 offset0:4 offset1:5
	ds_read2_b32 v[120:121], v79 offset0:6 offset1:7
	;; [unrolled: 1-line block ×3, first 2 shown]
	s_waitcnt lgkmcnt(4)
	v_pk_mul_f16 v133, v2, v104
	v_mov_b32_e32 v117, 0
	s_waitcnt lgkmcnt(3)
	v_and_b32_e32 v106, 0xf0f0f0f, v102
	v_dot4c_i32_i8_e32 v116, v106, v16
	ds_read2_b32 v[126:127], v79 offset0:10 offset1:11
	ds_read2_b32 v[110:111], v79 offset0:12 offset1:13
	;; [unrolled: 1-line block ×3, first 2 shown]
	ds_read2_b32 v[106:107], v132 offset1:1
	v_lshrrev_b32_e32 v102, 4, v102
	v_and_b32_e32 v102, 0xf0f0f0f, v102
	v_dot4c_i32_i8_e32 v116, v102, v20
	v_and_b32_e32 v102, 0xf0f0f0f, v103
	s_waitcnt lgkmcnt(0)
	v_and_b32_e32 v104, 0xf0f0f0f, v106
	v_lshrrev_b32_e32 v106, 4, v106
	v_and_b32_e32 v106, 0xf0f0f0f, v106
	v_dot4c_i32_i8_e32 v117, v104, v14
	v_lshrrev_b32_e32 v103, 4, v103
	v_dot4c_i32_i8_e32 v117, v106, v18
	v_and_b32_e32 v104, 0xf0f0f0f, v107
	v_lshrrev_b32_e32 v106, 4, v107
	v_and_b32_e32 v103, 0xf0f0f0f, v103
	v_dot4c_i32_i8_e32 v116, v102, v17
	v_and_b32_e32 v106, 0xf0f0f0f, v106
	v_dot4c_i32_i8_e32 v117, v104, v15
	v_add_u32_e32 v104, 0x1088, v79
	v_dot4c_i32_i8_e32 v116, v103, v21
	ds_read2_b32 v[134:135], v83 offset1:1
	ds_read2_b32 v[102:103], v87 offset0:2 offset1:3
	v_dot4c_i32_i8_e32 v117, v106, v19
	ds_read2_b32 v[106:107], v104 offset1:1
	v_add_u32_e32 v109, 0x2100, v79
	v_add_u32_e32 v104, 0x3180, v79
	;; [unrolled: 1-line block ×3, first 2 shown]
	ds_read2_b32 v[136:137], v109 offset1:1
	ds_read2_b32 v[138:139], v114 offset1:1
	;; [unrolled: 1-line block ×3, first 2 shown]
	s_waitcnt lgkmcnt(3)
	v_and_b32_e32 v104, 0xf0f0f0f, v106
	v_lshrrev_b32_e32 v106, 4, v106
	v_and_b32_e32 v106, 0xf0f0f0f, v106
	v_dot4c_i32_i8_e32 v117, v104, v16
	v_dot4c_i32_i8_e32 v117, v106, v20
	v_and_b32_e32 v104, 0xf0f0f0f, v107
	v_lshrrev_b32_e32 v106, 4, v107
	v_and_b32_e32 v106, 0xf0f0f0f, v106
	v_dot4c_i32_i8_e32 v117, v104, v17
	v_dot4c_i32_i8_e32 v117, v106, v21
	s_waitcnt lgkmcnt(2)
	v_and_b32_e32 v104, 0xf0f0f0f, v136
	v_lshrrev_b32_e32 v106, 4, v136
	v_mov_b32_e32 v144, 0
	v_and_b32_e32 v106, 0xf0f0f0f, v106
	v_dot4c_i32_i8_e32 v144, v104, v14
	v_dot4c_i32_i8_e32 v144, v106, v18
	v_and_b32_e32 v104, 0xf0f0f0f, v137
	v_lshrrev_b32_e32 v106, 4, v137
	v_and_b32_e32 v106, 0xf0f0f0f, v106
	v_dot4c_i32_i8_e32 v144, v104, v15
	v_dot4c_i32_i8_e32 v144, v106, v19
	s_waitcnt lgkmcnt(1)
	v_and_b32_e32 v104, 0xf0f0f0f, v138
	v_lshrrev_b32_e32 v106, 4, v138
	v_and_b32_e32 v106, 0xf0f0f0f, v106
	v_dot4c_i32_i8_e32 v144, v104, v16
	v_dot4c_i32_i8_e32 v144, v106, v20
	v_and_b32_e32 v104, 0xf0f0f0f, v139
	v_dot4c_i32_i8_e32 v144, v104, v17
	s_waitcnt lgkmcnt(0)
	v_and_b32_e32 v104, 0xf0f0f0f, v140
	v_lshrrev_b32_e32 v107, 4, v140
	v_mov_b32_e32 v145, 0
	v_and_b32_e32 v107, 0xf0f0f0f, v107
	v_dot4c_i32_i8_e32 v145, v104, v14
	v_dot4c_i32_i8_e32 v145, v107, v18
	v_and_b32_e32 v14, 0xf0f0f0f, v141
	v_dot4c_i32_i8_e32 v145, v14, v15
	v_add_u32_e32 v14, 0x3188, v79
	ds_read2_b32 v[142:143], v85 offset1:1
	ds_read2_b32 v[114:115], v83 offset0:2 offset1:3
	ds_read2_b32 v[122:123], v81 offset0:2 offset1:3
	v_lshrrev_b32_e32 v18, 4, v141
	ds_read2_b32 v[14:15], v14 offset1:1
	v_and_b32_e32 v18, 0xf0f0f0f, v18
	v_dot4c_i32_i8_e32 v145, v18, v19
	v_add_u32_e32 v18, 0x1090, v79
	v_lshrrev_b32_e32 v106, 4, v139
	v_add_u32_e32 v104, 0x1098, v79
	v_add_u32_e32 v107, 0x2110, v79
	ds_read2_b32 v[18:19], v18 offset1:1
	ds_read2_b32 v[136:137], v104 offset1:1
	ds_read2_b32 v[138:139], v107 offset1:1
	ds_read2_b32 v[140:141], v87 offset1:1
	s_waitcnt lgkmcnt(4)
	v_and_b32_e32 v104, 0xf0f0f0f, v14
	v_lshrrev_b32_e32 v14, 4, v14
	v_and_b32_e32 v106, 0xf0f0f0f, v106
	v_and_b32_e32 v14, 0xf0f0f0f, v14
	v_dot4c_i32_i8_e32 v145, v104, v16
	v_dot4c_i32_i8_e32 v144, v106, v21
	;; [unrolled: 1-line block ×3, first 2 shown]
	v_and_b32_e32 v14, 0xf0f0f0f, v15
	v_pk_mul_f16 v134, v2, v134
	v_pk_mul_f16 v142, v2, v142
	v_dot4c_i32_i8_e32 v145, v14, v17
	ds_read2_b32 v[16:17], v85 offset0:2 offset1:3
	s_waitcnt lgkmcnt(1)
	v_pk_mul_f16 v140, v2, v140
	v_cvt_f32_i32_e32 v14, v144
	v_and_b32_e32 v2, 0xf0f0f0f, v118
	v_lshrrev_b32_e32 v20, 4, v118
	v_mov_b32_e32 v144, 0
	v_and_b32_e32 v20, 0xf0f0f0f, v20
	v_dot4c_i32_i8_e32 v144, v2, v6
	v_dot4c_i32_i8_e32 v144, v20, v10
	v_and_b32_e32 v2, 0xf0f0f0f, v119
	v_lshrrev_b32_e32 v20, 4, v119
	v_and_b32_e32 v20, 0xf0f0f0f, v20
	v_dot4c_i32_i8_e32 v144, v2, v7
	v_dot4c_i32_i8_e32 v144, v20, v11
	v_and_b32_e32 v2, 0xf0f0f0f, v120
	v_lshrrev_b32_e32 v20, 4, v120
	;; [unrolled: 5-line block ×3, first 2 shown]
	v_dot4c_i32_i8_e32 v144, v2, v9
	v_and_b32_e32 v2, 0xf0f0f0f, v18
	v_lshrrev_b32_e32 v18, 4, v18
	v_mov_b32_e32 v121, 0
	v_and_b32_e32 v18, 0xf0f0f0f, v18
	v_dot4c_i32_i8_e32 v121, v2, v6
	v_dot4c_i32_i8_e32 v121, v18, v10
	v_and_b32_e32 v2, 0xf0f0f0f, v19
	v_lshrrev_b32_e32 v18, 4, v19
	v_and_b32_e32 v18, 0xf0f0f0f, v18
	v_dot4c_i32_i8_e32 v121, v2, v7
	v_dot4c_i32_i8_e32 v121, v18, v11
	v_and_b32_e32 v2, 0xf0f0f0f, v136
	v_lshrrev_b32_e32 v18, 4, v136
	;; [unrolled: 5-line block ×4, first 2 shown]
	v_mov_b32_e32 v136, 0
	v_and_b32_e32 v18, 0xf0f0f0f, v18
	v_dot4c_i32_i8_e32 v136, v2, v6
	v_dot4c_i32_i8_e32 v136, v18, v10
	v_and_b32_e32 v2, 0xf0f0f0f, v139
	v_lshrrev_b32_e32 v18, 4, v139
	v_and_b32_e32 v18, 0xf0f0f0f, v18
	v_dot4c_i32_i8_e32 v136, v2, v7
	v_add_u32_e32 v2, 0x2118, v79
	v_dot4c_i32_i8_e32 v136, v18, v11
	ds_read2_b32 v[18:19], v2 offset1:1
	v_lshrrev_b32_e32 v15, 4, v15
	v_and_b32_e32 v20, 0xf0f0f0f, v20
	v_and_b32_e32 v15, 0xf0f0f0f, v15
	v_dot4c_i32_i8_e32 v144, v20, v13
	v_add_u32_e32 v20, 0x3190, v79
	v_add_u32_e32 v104, 0x3198, v79
	;; [unrolled: 1-line block ×3, first 2 shown]
	v_dot4c_i32_i8_e32 v145, v15, v21
	v_pk_mul_f16 v120, v3, v105
	ds_read2_b32 v[20:21], v20 offset1:1
	ds_read2_b32 v[104:105], v104 offset1:1
	;; [unrolled: 1-line block ×3, first 2 shown]
	s_waitcnt lgkmcnt(3)
	v_and_b32_e32 v2, 0xf0f0f0f, v18
	v_lshrrev_b32_e32 v18, 4, v18
	v_and_b32_e32 v18, 0xf0f0f0f, v18
	v_dot4c_i32_i8_e32 v136, v2, v8
	v_dot4c_i32_i8_e32 v136, v18, v12
	v_and_b32_e32 v2, 0xf0f0f0f, v19
	v_lshrrev_b32_e32 v18, 4, v19
	v_and_b32_e32 v18, 0xf0f0f0f, v18
	v_dot4c_i32_i8_e32 v136, v2, v9
	v_dot4c_i32_i8_e32 v136, v18, v13
	s_waitcnt lgkmcnt(2)
	v_and_b32_e32 v2, 0xf0f0f0f, v20
	v_lshrrev_b32_e32 v18, 4, v20
	v_mov_b32_e32 v138, 0
	v_and_b32_e32 v18, 0xf0f0f0f, v18
	v_dot4c_i32_i8_e32 v138, v2, v6
	v_dot4c_i32_i8_e32 v138, v18, v10
	v_and_b32_e32 v2, 0xf0f0f0f, v21
	v_lshrrev_b32_e32 v6, 4, v21
	v_and_b32_e32 v6, 0xf0f0f0f, v6
	v_dot4c_i32_i8_e32 v138, v2, v7
	v_dot4c_i32_i8_e32 v138, v6, v11
	s_waitcnt lgkmcnt(1)
	v_and_b32_e32 v2, 0xf0f0f0f, v104
	v_lshrrev_b32_e32 v6, 4, v104
	v_and_b32_e32 v6, 0xf0f0f0f, v6
	v_dot4c_i32_i8_e32 v138, v2, v8
	v_dot4c_i32_i8_e32 v138, v6, v12
	v_and_b32_e32 v2, 0xf0f0f0f, v105
	v_lshrrev_b32_e32 v6, 4, v105
	v_and_b32_e32 v6, 0xf0f0f0f, v6
	v_dot4c_i32_i8_e32 v138, v2, v9
	v_dot4c_i32_i8_e32 v138, v6, v13
	ds_read_b128 v[6:9], v75 offset:64
	ds_read_b128 v[10:13], v75 offset:80
	v_pk_mul_f16 v135, v3, v135
	v_pk_mul_f16 v137, v3, v143
	;; [unrolled: 1-line block ×3, first 2 shown]
	v_and_b32_e32 v2, 0xf0f0f0f, v124
	v_lshrrev_b32_e32 v3, 4, v124
	v_mov_b32_e32 v124, 0
	v_and_b32_e32 v3, 0xf0f0f0f, v3
	s_waitcnt lgkmcnt(1)
	v_dot4c_i32_i8_e32 v124, v2, v6
	s_waitcnt lgkmcnt(0)
	v_dot4c_i32_i8_e32 v124, v3, v10
	v_and_b32_e32 v2, 0xf0f0f0f, v125
	v_lshrrev_b32_e32 v3, 4, v125
	v_and_b32_e32 v3, 0xf0f0f0f, v3
	v_dot4c_i32_i8_e32 v124, v2, v7
	v_dot4c_i32_i8_e32 v124, v3, v11
	v_and_b32_e32 v2, 0xf0f0f0f, v126
	v_lshrrev_b32_e32 v3, 4, v126
	v_and_b32_e32 v3, 0xf0f0f0f, v3
	v_dot4c_i32_i8_e32 v124, v2, v8
	;; [unrolled: 5-line block ×3, first 2 shown]
	v_dot4c_i32_i8_e32 v124, v3, v13
	v_and_b32_e32 v2, 0xf0f0f0f, v118
	v_lshrrev_b32_e32 v3, 4, v118
	v_mov_b32_e32 v118, 0
	v_and_b32_e32 v3, 0xf0f0f0f, v3
	v_dot4c_i32_i8_e32 v118, v2, v6
	v_dot4c_i32_i8_e32 v118, v3, v10
	v_and_b32_e32 v2, 0xf0f0f0f, v119
	v_lshrrev_b32_e32 v3, 4, v119
	v_and_b32_e32 v3, 0xf0f0f0f, v3
	v_dot4c_i32_i8_e32 v118, v2, v7
	v_add_u32_e32 v2, 0x10a8, v79
	v_dot4c_i32_i8_e32 v118, v3, v11
	ds_read2_b32 v[2:3], v2 offset1:1
	v_add_u32_e32 v18, 0x2120, v79
	v_add_u32_e32 v20, 0x2128, v79
	;; [unrolled: 1-line block ×3, first 2 shown]
	ds_read2_b32 v[18:19], v18 offset1:1
	ds_read2_b32 v[20:21], v20 offset1:1
	;; [unrolled: 1-line block ×3, first 2 shown]
	s_waitcnt lgkmcnt(3)
	v_and_b32_e32 v119, 0xf0f0f0f, v2
	v_lshrrev_b32_e32 v2, 4, v2
	v_and_b32_e32 v2, 0xf0f0f0f, v2
	v_dot4c_i32_i8_e32 v118, v119, v8
	v_dot4c_i32_i8_e32 v118, v2, v12
	v_and_b32_e32 v2, 0xf0f0f0f, v3
	v_lshrrev_b32_e32 v3, 4, v3
	v_and_b32_e32 v3, 0xf0f0f0f, v3
	v_dot4c_i32_i8_e32 v118, v2, v9
	v_dot4c_i32_i8_e32 v118, v3, v13
	s_waitcnt lgkmcnt(2)
	v_and_b32_e32 v2, 0xf0f0f0f, v18
	v_lshrrev_b32_e32 v3, 4, v18
	v_mov_b32_e32 v119, 0
	v_and_b32_e32 v3, 0xf0f0f0f, v3
	v_dot4c_i32_i8_e32 v119, v2, v6
	v_dot4c_i32_i8_e32 v119, v3, v10
	v_and_b32_e32 v2, 0xf0f0f0f, v19
	v_lshrrev_b32_e32 v3, 4, v19
	v_and_b32_e32 v3, 0xf0f0f0f, v3
	v_dot4c_i32_i8_e32 v119, v2, v7
	v_dot4c_i32_i8_e32 v119, v3, v11
	s_waitcnt lgkmcnt(1)
	v_and_b32_e32 v2, 0xf0f0f0f, v20
	v_lshrrev_b32_e32 v3, 4, v20
	v_and_b32_e32 v3, 0xf0f0f0f, v3
	v_dot4c_i32_i8_e32 v119, v2, v8
	v_dot4c_i32_i8_e32 v119, v3, v12
	v_and_b32_e32 v2, 0xf0f0f0f, v21
	v_lshrrev_b32_e32 v3, 4, v21
	v_and_b32_e32 v3, 0xf0f0f0f, v3
	v_dot4c_i32_i8_e32 v119, v2, v9
	v_dot4c_i32_i8_e32 v119, v3, v13
	s_waitcnt lgkmcnt(0)
	v_and_b32_e32 v2, 0xf0f0f0f, v104
	v_lshrrev_b32_e32 v3, 4, v104
	v_mov_b32_e32 v125, 0
	v_and_b32_e32 v3, 0xf0f0f0f, v3
	v_dot4c_i32_i8_e32 v125, v2, v6
	v_dot4c_i32_i8_e32 v125, v3, v10
	v_and_b32_e32 v2, 0xf0f0f0f, v105
	v_lshrrev_b32_e32 v3, 4, v105
	v_and_b32_e32 v3, 0xf0f0f0f, v3
	v_dot4c_i32_i8_e32 v125, v2, v7
	v_add_u32_e32 v2, 0x31a8, v79
	v_dot4c_i32_i8_e32 v125, v3, v11
	ds_read2_b32 v[2:3], v2 offset1:1
	v_add_u32_e32 v6, 0x10b0, v79
	v_add_u32_e32 v7, 0x10b8, v79
	;; [unrolled: 1-line block ×3, first 2 shown]
	ds_read2_b32 v[18:19], v6 offset1:1
	ds_read2_b32 v[20:21], v7 offset1:1
	;; [unrolled: 1-line block ×3, first 2 shown]
	s_waitcnt lgkmcnt(3)
	v_and_b32_e32 v6, 0xf0f0f0f, v2
	v_lshrrev_b32_e32 v2, 4, v2
	v_and_b32_e32 v2, 0xf0f0f0f, v2
	v_dot4c_i32_i8_e32 v125, v6, v8
	v_dot4c_i32_i8_e32 v125, v2, v12
	v_and_b32_e32 v2, 0xf0f0f0f, v3
	v_lshrrev_b32_e32 v3, 4, v3
	v_and_b32_e32 v3, 0xf0f0f0f, v3
	v_dot4c_i32_i8_e32 v125, v2, v9
	v_dot4c_i32_i8_e32 v125, v3, v13
	ds_read_b128 v[6:9], v75 offset:96
	ds_read_b128 v[10:13], v75 offset:112
	v_pk_mul_f16 v122, v4, v122
	v_pk_mul_f16 v114, v4, v114
	;; [unrolled: 1-line block ×4, first 2 shown]
	v_and_b32_e32 v2, 0xf0f0f0f, v110
	v_lshrrev_b32_e32 v3, 4, v110
	v_mov_b32_e32 v4, 0
	v_and_b32_e32 v3, 0xf0f0f0f, v3
	s_waitcnt lgkmcnt(1)
	v_dot4c_i32_i8_e32 v4, v2, v6
	s_waitcnt lgkmcnt(0)
	v_dot4c_i32_i8_e32 v4, v3, v10
	v_and_b32_e32 v2, 0xf0f0f0f, v111
	v_lshrrev_b32_e32 v3, 4, v111
	v_and_b32_e32 v3, 0xf0f0f0f, v3
	v_dot4c_i32_i8_e32 v4, v2, v7
	v_dot4c_i32_i8_e32 v4, v3, v11
	v_and_b32_e32 v2, 0xf0f0f0f, v112
	v_lshrrev_b32_e32 v3, 4, v112
	v_and_b32_e32 v3, 0xf0f0f0f, v3
	v_dot4c_i32_i8_e32 v4, v2, v8
	;; [unrolled: 5-line block ×3, first 2 shown]
	v_dot4c_i32_i8_e32 v4, v3, v13
	v_pk_mul_f16 v112, v5, v123
	v_and_b32_e32 v2, 0xf0f0f0f, v18
	v_lshrrev_b32_e32 v3, 4, v18
	v_mov_b32_e32 v123, 0
	v_and_b32_e32 v3, 0xf0f0f0f, v3
	v_dot4c_i32_i8_e32 v123, v2, v6
	v_dot4c_i32_i8_e32 v123, v3, v10
	v_and_b32_e32 v2, 0xf0f0f0f, v19
	v_lshrrev_b32_e32 v3, 4, v19
	v_and_b32_e32 v3, 0xf0f0f0f, v3
	v_dot4c_i32_i8_e32 v123, v2, v7
	v_dot4c_i32_i8_e32 v123, v3, v11
	v_and_b32_e32 v2, 0xf0f0f0f, v20
	v_lshrrev_b32_e32 v3, 4, v20
	;; [unrolled: 5-line block ×3, first 2 shown]
	v_and_b32_e32 v3, 0xf0f0f0f, v3
	v_dot4c_i32_i8_e32 v123, v2, v9
	v_cvt_f32_f16_e32 v108, v133
	v_cvt_f32_f16_e32 v109, v134
	v_cvt_f32_i32_e32 v117, v117
	v_cvt_f32_i32_e32 v116, v116
	v_dot4c_i32_i8_e32 v123, v3, v13
	v_cvt_f32_f16_sdwa v3, v134 dst_sel:DWORD dst_unused:UNUSED_PAD src0_sel:WORD_1
	v_cvt_f32_f16_sdwa v2, v133 dst_sel:DWORD dst_unused:UNUSED_PAD src0_sel:WORD_1
	v_cvt_f32_f16_e32 v19, v135
	v_cvt_f32_f16_e32 v18, v120
	v_cvt_f32_f16_sdwa v21, v135 dst_sel:DWORD dst_unused:UNUSED_PAD src0_sel:WORD_1
	v_cvt_f32_f16_sdwa v20, v120 dst_sel:DWORD dst_unused:UNUSED_PAD src0_sel:WORD_1
	v_cvt_f32_i32_e32 v111, v121
	v_cvt_f32_i32_e32 v110, v144
	v_pk_fma_f32 v[2:3], v[108:109], v[116:117], v[2:3]
	v_pk_mul_f16 v113, v5, v115
	v_pk_add_f32 v[2:3], v[94:95], v[2:3]
	v_pk_fma_f32 v[18:19], v[18:19], v[110:111], v[20:21]
	v_cvt_f32_f16_e32 v21, v114
	v_cvt_f32_f16_e32 v20, v122
	v_cvt_f32_f16_sdwa v95, v114 dst_sel:DWORD dst_unused:UNUSED_PAD src0_sel:WORD_1
	v_cvt_f32_f16_sdwa v94, v122 dst_sel:DWORD dst_unused:UNUSED_PAD src0_sel:WORD_1
	v_cvt_f32_i32_e32 v109, v118
	v_cvt_f32_i32_e32 v108, v124
	v_cvt_f32_f16_e32 v111, v113
	v_cvt_f32_f16_e32 v110, v112
	v_cvt_f32_f16_sdwa v113, v113 dst_sel:DWORD dst_unused:UNUSED_PAD src0_sel:WORD_1
	v_cvt_f32_f16_sdwa v112, v112 dst_sel:DWORD dst_unused:UNUSED_PAD src0_sel:WORD_1
	v_cvt_f32_i32_e32 v115, v123
	v_cvt_f32_i32_e32 v114, v4
	v_pk_add_f32 v[2:3], v[2:3], v[18:19]
	v_pk_fma_f32 v[18:19], v[20:21], v[108:109], v[94:95]
	v_pk_add_f32 v[2:3], v[2:3], v[18:19]
	v_pk_fma_f32 v[18:19], v[110:111], v[114:115], v[112:113]
	v_pk_add_f32 v[94:95], v[2:3], v[18:19]
	v_and_b32_e32 v2, 0xf0f0f0f, v104
	v_lshrrev_b32_e32 v3, 4, v104
	v_mov_b32_e32 v104, 0
	v_and_b32_e32 v3, 0xf0f0f0f, v3
	v_dot4c_i32_i8_e32 v104, v2, v6
	v_dot4c_i32_i8_e32 v104, v3, v10
	v_and_b32_e32 v2, 0xf0f0f0f, v105
	v_lshrrev_b32_e32 v3, 4, v105
	v_and_b32_e32 v3, 0xf0f0f0f, v3
	v_dot4c_i32_i8_e32 v104, v2, v7
	v_add_u32_e32 v2, 0x2138, v79
	v_dot4c_i32_i8_e32 v104, v3, v11
	ds_read2_b32 v[2:3], v2 offset1:1
	v_add_u32_e32 v4, 0x31b0, v79
	v_add_u32_e32 v20, 0x31b8, v79
	ds_read2_b32 v[18:19], v4 offset1:1
	ds_read2_b32 v[20:21], v20 offset1:1
	v_cvt_f32_f16_e32 v106, v142
	s_waitcnt lgkmcnt(2)
	v_and_b32_e32 v4, 0xf0f0f0f, v2
	v_lshrrev_b32_e32 v2, 4, v2
	v_and_b32_e32 v2, 0xf0f0f0f, v2
	v_dot4c_i32_i8_e32 v104, v4, v8
	v_dot4c_i32_i8_e32 v104, v2, v12
	v_and_b32_e32 v2, 0xf0f0f0f, v3
	v_lshrrev_b32_e32 v3, 4, v3
	v_and_b32_e32 v3, 0xf0f0f0f, v3
	v_dot4c_i32_i8_e32 v104, v2, v9
	v_dot4c_i32_i8_e32 v104, v3, v13
	s_waitcnt lgkmcnt(1)
	v_and_b32_e32 v2, 0xf0f0f0f, v18
	v_lshrrev_b32_e32 v3, 4, v18
	v_mov_b32_e32 v18, 0
	v_and_b32_e32 v3, 0xf0f0f0f, v3
	v_dot4c_i32_i8_e32 v18, v2, v6
	v_dot4c_i32_i8_e32 v18, v3, v10
	v_and_b32_e32 v2, 0xf0f0f0f, v19
	v_lshrrev_b32_e32 v3, 4, v19
	v_and_b32_e32 v3, 0xf0f0f0f, v3
	v_dot4c_i32_i8_e32 v18, v2, v7
	v_dot4c_i32_i8_e32 v18, v3, v11
	s_waitcnt lgkmcnt(0)
	v_and_b32_e32 v2, 0xf0f0f0f, v20
	v_lshrrev_b32_e32 v3, 4, v20
	v_and_b32_e32 v3, 0xf0f0f0f, v3
	v_dot4c_i32_i8_e32 v18, v2, v8
	v_dot4c_i32_i8_e32 v18, v3, v12
	v_and_b32_e32 v2, 0xf0f0f0f, v21
	v_lshrrev_b32_e32 v3, 4, v21
	v_and_b32_e32 v3, 0xf0f0f0f, v3
	v_dot4c_i32_i8_e32 v18, v2, v9
	v_cvt_f32_f16_e32 v7, v139
	v_cvt_f32_f16_e32 v6, v137
	v_cvt_f32_f16_sdwa v9, v139 dst_sel:DWORD dst_unused:UNUSED_PAD src0_sel:WORD_1
	v_cvt_f32_f16_sdwa v8, v137 dst_sel:DWORD dst_unused:UNUSED_PAD src0_sel:WORD_1
	v_cvt_f32_i32_e32 v11, v138
	v_cvt_f32_i32_e32 v10, v136
	v_cvt_f32_f16_e32 v107, v140
	v_cvt_f32_i32_e32 v15, v145
	v_dot4c_i32_i8_e32 v18, v3, v13
	v_cvt_f32_f16_sdwa v3, v140 dst_sel:DWORD dst_unused:UNUSED_PAD src0_sel:WORD_1
	v_cvt_f32_f16_sdwa v2, v142 dst_sel:DWORD dst_unused:UNUSED_PAD src0_sel:WORD_1
	v_pk_mul_f16 v17, v5, v17
	v_pk_mul_f16 v19, v5, v103
	v_pk_fma_f32 v[4:5], v[6:7], v[10:11], v[8:9]
	v_cvt_f32_f16_e32 v7, v102
	v_cvt_f32_f16_e32 v6, v16
	v_cvt_f32_f16_sdwa v9, v102 dst_sel:DWORD dst_unused:UNUSED_PAD src0_sel:WORD_1
	v_cvt_f32_f16_sdwa v8, v16 dst_sel:DWORD dst_unused:UNUSED_PAD src0_sel:WORD_1
	v_cvt_f32_i32_e32 v11, v125
	v_cvt_f32_i32_e32 v10, v119
	v_pk_fma_f32 v[2:3], v[106:107], v[14:15], v[2:3]
	v_cvt_f32_f16_e32 v13, v19
	v_cvt_f32_f16_e32 v12, v17
	v_cvt_f32_f16_sdwa v15, v19 dst_sel:DWORD dst_unused:UNUSED_PAD src0_sel:WORD_1
	v_cvt_f32_f16_sdwa v14, v17 dst_sel:DWORD dst_unused:UNUSED_PAD src0_sel:WORD_1
	v_cvt_f32_i32_e32 v17, v18
	v_cvt_f32_i32_e32 v16, v104
	v_pk_add_f32 v[2:3], v[88:89], v[2:3]
	v_pk_add_f32 v[2:3], v[2:3], v[4:5]
	v_pk_fma_f32 v[4:5], v[6:7], v[10:11], v[8:9]
	v_pk_add_f32 v[2:3], v[2:3], v[4:5]
	v_pk_fma_f32 v[4:5], v[12:13], v[16:17], v[14:15]
	v_pk_add_f32 v[88:89], v[2:3], v[4:5]
	s_cmp_ge_i32 s19, s9
	s_barrier
	s_cbranch_scc1 .LBB220_5
; %bb.13:                               ;   in Loop: Header=BB220_6 Depth=1
	v_add_u32_e32 v2, s10, v91
	v_cmp_gt_i32_e32 vcc, s12, v2
	s_and_b64 s[20:21], s[2:3], vcc
	s_and_saveexec_b64 s[4:5], s[20:21]
	s_cbranch_execz .LBB220_15
; %bb.14:                               ;   in Loop: Header=BB220_6 Depth=1
	v_add_u32_e32 v2, s10, v97
	v_mad_i64_i32 v[2:3], s[20:21], v2, 36, v[54:55]
	global_load_dword v2, v[2:3], off offset:4
	s_waitcnt vmcnt(0)
	ds_write_b32 v71, v2
.LBB220_15:                             ;   in Loop: Header=BB220_6 Depth=1
	s_or_b64 exec, exec, s[4:5]
	s_and_saveexec_b64 s[4:5], s[0:1]
	s_cbranch_execz .LBB220_4
; %bb.16:                               ;   in Loop: Header=BB220_6 Depth=1
	v_add3_u32 v2, v67, s10, 4
	v_cmp_gt_i32_e32 vcc, s12, v2
	s_and_b64 s[20:21], s[2:3], vcc
	s_and_b64 exec, exec, s[20:21]
	s_cbranch_execz .LBB220_4
; %bb.17:                               ;   in Loop: Header=BB220_6 Depth=1
	global_load_dword v2, v[56:57], off
	s_waitcnt vmcnt(0)
	ds_write_b32 v73, v2
	s_branch .LBB220_4
.LBB220_18:
	v_mov_b32_e32 v88, v89
	v_mov_b32_e32 v95, v89
	;; [unrolled: 1-line block ×3, first 2 shown]
.LBB220_19:
	s_mul_i32 s0, s14, s11
	s_waitcnt vmcnt(0)
	v_cmp_gt_i32_e32 vcc, s0, v65
	s_and_saveexec_b64 s[0:1], vcc
	s_cbranch_execz .LBB220_28
; %bb.20:
	v_and_b32_e32 v0, 0x3ff, v0
	v_add_u32_e32 v1, s15, v0
	v_mul_lo_u32 v0, v65, s13
	v_cmp_gt_u32_e32 vcc, s13, v1
	s_and_saveexec_b64 s[0:1], vcc
	s_cbranch_execz .LBB220_22
; %bb.21:
	v_bfe_u32 v2, v94, 16, 1
	s_movk_i32 s2, 0x7fff
	v_add3_u32 v2, v94, v2, s2
	v_lshrrev_b32_e32 v2, 16, v2
	v_mov_b32_e32 v3, 0x7fc0
	v_cmp_o_f32_e32 vcc, v94, v94
	v_cndmask_b32_e32 v4, v3, v2, vcc
	v_add_u32_e32 v2, v0, v1
	v_mov_b32_e32 v3, 0
	v_lshlrev_b64 v[2:3], 1, v[2:3]
	v_mov_b32_e32 v5, s17
	v_add_co_u32_e32 v2, vcc, s16, v2
	v_addc_co_u32_e32 v3, vcc, v5, v3, vcc
	global_store_short v[2:3], v4, off
.LBB220_22:
	s_or_b64 exec, exec, s[0:1]
	v_add_u32_e32 v2, 32, v1
	v_cmp_gt_u32_e32 vcc, s13, v2
	s_and_saveexec_b64 s[0:1], vcc
	s_cbranch_execz .LBB220_24
; %bb.23:
	v_bfe_u32 v3, v95, 16, 1
	s_movk_i32 s2, 0x7fff
	v_add3_u32 v3, v95, v3, s2
	v_lshrrev_b32_e32 v3, 16, v3
	v_mov_b32_e32 v4, 0x7fc0
	v_cmp_o_f32_e32 vcc, v95, v95
	v_cndmask_b32_e32 v4, v4, v3, vcc
	v_add_u32_e32 v2, v0, v2
	v_mov_b32_e32 v3, 0
	v_lshlrev_b64 v[2:3], 1, v[2:3]
	v_mov_b32_e32 v5, s17
	v_add_co_u32_e32 v2, vcc, s16, v2
	v_addc_co_u32_e32 v3, vcc, v5, v3, vcc
	global_store_short v[2:3], v4, off
.LBB220_24:
	s_or_b64 exec, exec, s[0:1]
	v_add_u32_e32 v2, 64, v1
	;; [unrolled: 21-line block ×3, first 2 shown]
	v_cmp_gt_u32_e32 vcc, s13, v1
	s_and_b64 exec, exec, vcc
	s_cbranch_execz .LBB220_28
; %bb.27:
	v_bfe_u32 v2, v89, 16, 1
	s_movk_i32 s0, 0x7fff
	v_add3_u32 v2, v89, v2, s0
	v_add_u32_e32 v0, v0, v1
	v_mov_b32_e32 v1, 0
	v_lshrrev_b32_e32 v2, 16, v2
	v_mov_b32_e32 v3, 0x7fc0
	v_cmp_o_f32_e32 vcc, v89, v89
	v_lshlrev_b64 v[0:1], 1, v[0:1]
	v_cndmask_b32_e32 v2, v3, v2, vcc
	v_mov_b32_e32 v3, s17
	v_add_co_u32_e32 v0, vcc, s16, v0
	v_addc_co_u32_e32 v1, vcc, v3, v1, vcc
	global_store_short v[0:1], v2, off
.LBB220_28:
	s_endpgm
	.section	.rodata,"a",@progbits
	.p2align	6, 0x0
	.amdhsa_kernel _ZL8moe_q4_1IN3c108BFloat16ELb1EEvPKvS3_PT_PKiS7_S7_iiiiiii
		.amdhsa_group_segment_fixed_size 22272
		.amdhsa_private_segment_fixed_size 0
		.amdhsa_kernarg_size 76
		.amdhsa_user_sgpr_count 6
		.amdhsa_user_sgpr_private_segment_buffer 1
		.amdhsa_user_sgpr_dispatch_ptr 0
		.amdhsa_user_sgpr_queue_ptr 0
		.amdhsa_user_sgpr_kernarg_segment_ptr 1
		.amdhsa_user_sgpr_dispatch_id 0
		.amdhsa_user_sgpr_flat_scratch_init 0
		.amdhsa_user_sgpr_kernarg_preload_length 0
		.amdhsa_user_sgpr_kernarg_preload_offset 0
		.amdhsa_user_sgpr_private_segment_size 0
		.amdhsa_uses_dynamic_stack 0
		.amdhsa_system_sgpr_private_segment_wavefront_offset 0
		.amdhsa_system_sgpr_workgroup_id_x 1
		.amdhsa_system_sgpr_workgroup_id_y 1
		.amdhsa_system_sgpr_workgroup_id_z 0
		.amdhsa_system_sgpr_workgroup_info 0
		.amdhsa_system_vgpr_workitem_id 1
		.amdhsa_next_free_vgpr 146
		.amdhsa_next_free_sgpr 24
		.amdhsa_accum_offset 148
		.amdhsa_reserve_vcc 1
		.amdhsa_reserve_flat_scratch 0
		.amdhsa_float_round_mode_32 0
		.amdhsa_float_round_mode_16_64 0
		.amdhsa_float_denorm_mode_32 3
		.amdhsa_float_denorm_mode_16_64 3
		.amdhsa_dx10_clamp 1
		.amdhsa_ieee_mode 1
		.amdhsa_fp16_overflow 0
		.amdhsa_tg_split 0
		.amdhsa_exception_fp_ieee_invalid_op 0
		.amdhsa_exception_fp_denorm_src 0
		.amdhsa_exception_fp_ieee_div_zero 0
		.amdhsa_exception_fp_ieee_overflow 0
		.amdhsa_exception_fp_ieee_underflow 0
		.amdhsa_exception_fp_ieee_inexact 0
		.amdhsa_exception_int_div_zero 0
	.end_amdhsa_kernel
	.section	.text._ZL8moe_q4_1IN3c108BFloat16ELb1EEvPKvS3_PT_PKiS7_S7_iiiiiii,"axG",@progbits,_ZL8moe_q4_1IN3c108BFloat16ELb1EEvPKvS3_PT_PKiS7_S7_iiiiiii,comdat
.Lfunc_end220:
	.size	_ZL8moe_q4_1IN3c108BFloat16ELb1EEvPKvS3_PT_PKiS7_S7_iiiiiii, .Lfunc_end220-_ZL8moe_q4_1IN3c108BFloat16ELb1EEvPKvS3_PT_PKiS7_S7_iiiiiii
                                        ; -- End function
	.section	.AMDGPU.csdata,"",@progbits
; Kernel info:
; codeLenInByte = 9636
; NumSgprs: 28
; NumVgprs: 146
; NumAgprs: 0
; TotalNumVgprs: 146
; ScratchSize: 0
; MemoryBound: 0
; FloatMode: 240
; IeeeMode: 1
; LDSByteSize: 22272 bytes/workgroup (compile time only)
; SGPRBlocks: 3
; VGPRBlocks: 18
; NumSGPRsForWavesPerEU: 28
; NumVGPRsForWavesPerEU: 146
; AccumOffset: 148
; Occupancy: 2
; WaveLimiterHint : 1
; COMPUTE_PGM_RSRC2:SCRATCH_EN: 0
; COMPUTE_PGM_RSRC2:USER_SGPR: 6
; COMPUTE_PGM_RSRC2:TRAP_HANDLER: 0
; COMPUTE_PGM_RSRC2:TGID_X_EN: 1
; COMPUTE_PGM_RSRC2:TGID_Y_EN: 1
; COMPUTE_PGM_RSRC2:TGID_Z_EN: 0
; COMPUTE_PGM_RSRC2:TIDIG_COMP_CNT: 1
; COMPUTE_PGM_RSRC3_GFX90A:ACCUM_OFFSET: 36
; COMPUTE_PGM_RSRC3_GFX90A:TG_SPLIT: 0
	.section	.text._ZL8moe_q5_0IN3c108BFloat16ELb0EEvPKvS3_PT_PKiS7_S7_iiiiiii,"axG",@progbits,_ZL8moe_q5_0IN3c108BFloat16ELb0EEvPKvS3_PT_PKiS7_S7_iiiiiii,comdat
	.globl	_ZL8moe_q5_0IN3c108BFloat16ELb0EEvPKvS3_PT_PKiS7_S7_iiiiiii ; -- Begin function _ZL8moe_q5_0IN3c108BFloat16ELb0EEvPKvS3_PT_PKiS7_S7_iiiiiii
	.p2align	8
	.type	_ZL8moe_q5_0IN3c108BFloat16ELb0EEvPKvS3_PT_PKiS7_S7_iiiiiii,@function
_ZL8moe_q5_0IN3c108BFloat16ELb0EEvPKvS3_PT_PKiS7_S7_iiiiiii: ; @_ZL8moe_q5_0IN3c108BFloat16ELb0EEvPKvS3_PT_PKiS7_S7_iiiiiii
; %bb.0:
	s_load_dwordx4 s[0:3], s[4:5], 0x18
	s_mov_b32 s8, s7
	s_mov_b32 s9, 0
	s_lshl_b64 s[10:11], s[8:9], 2
	s_waitcnt lgkmcnt(0)
	s_add_u32 s2, s2, s10
	s_addc_u32 s3, s3, s11
	s_load_dword s2, s[2:3], 0x0
	s_waitcnt lgkmcnt(0)
	s_cmpk_gt_u32 s2, 0xff
	s_cbranch_scc1 .LBB221_28
; %bb.1:
	s_load_dwordx2 s[10:11], s[4:5], 0x28
	s_lshl_b32 s3, s8, 3
	s_waitcnt lgkmcnt(0)
	s_load_dword s7, s[10:11], 0x0
	s_waitcnt lgkmcnt(0)
	s_cmp_gt_u32 s3, s7
	s_cbranch_scc1 .LBB221_28
; %bb.2:
	v_bfe_u32 v1, v0, 10, 10
	v_add_u32_e32 v86, s3, v1
	v_mov_b32_e32 v87, 0
	v_lshlrev_b64 v[2:3], 2, v[86:87]
	v_mov_b32_e32 v4, s1
	v_add_co_u32_e32 v2, vcc, s0, v2
	v_addc_co_u32_e32 v3, vcc, v4, v3, vcc
	global_load_dword v101, v[2:3], off
	s_load_dwordx2 s[14:15], s[4:5], 0x30
	s_load_dwordx2 s[12:13], s[4:5], 0x10
	s_load_dwordx4 s[8:11], s[4:5], 0x3c
	s_lshl_b32 s16, s6, 7
	s_waitcnt lgkmcnt(0)
	s_cmp_lt_i32 s15, 32
	s_cbranch_scc1 .LBB221_18
; %bb.3:
	s_ashr_i32 s1, s9, 31
	s_lshr_b32 s1, s1, 27
	s_add_i32 s1, s9, s1
	v_and_b32_e32 v104, 0x3ff, v0
	s_ashr_i32 s9, s1, 5
	v_lshlrev_b32_e32 v3, 3, v104
	s_movk_i32 s1, 0x104
	s_ashr_i32 s0, s15, 31
	v_mad_u32_u24 v106, v1, s1, v3
	v_lshlrev_b32_e32 v3, 2, v1
	v_lshrrev_b32_e32 v122, 3, v104
	s_load_dwordx4 s[4:7], s[4:5], 0x0
	s_lshr_b32 s0, s0, 27
	v_and_b32_e32 v21, 7, v104
	v_add_u32_e32 v22, v122, v3
	s_add_i32 s0, s15, s0
	s_mul_i32 s14, s2, s14
	v_and_b32_e32 v23, 0x1ffc, v22
	v_lshlrev_b32_e32 v24, 2, v21
	s_mov_b32 s2, 0x8200
	s_ashr_i32 s17, s0, 5
	v_add3_u32 v87, v23, v24, s2
	v_add_u32_e32 v23, 32, v22
	v_lshlrev_b32_e32 v2, 2, v104
	v_mul_lo_u32 v86, s17, v22
	v_lshlrev_b32_e32 v91, 5, v22
	v_and_b32_e32 v25, 0x3ffc, v23
	v_lshlrev_b32_e32 v103, 5, v23
	v_add_u32_e32 v23, 64, v22
	v_add_u32_e32 v22, 0x60, v22
	v_and_b32_e32 v105, 12, v2
	v_add3_u32 v102, v25, v24, s2
	v_and_b32_e32 v25, 0x3ffc, v23
	v_lshlrev_b32_e32 v139, 5, v23
	v_and_b32_e32 v23, 0x3ffc, v22
	v_and_b32_e32 v2, 28, v2
	v_add3_u32 v138, v25, v24, s2
	v_add3_u32 v140, v23, v24, s2
	v_lshlrev_b32_e32 v141, 5, v22
	v_and_b32_e32 v24, 31, v104
	s_waitcnt lgkmcnt(0)
	v_add_co_u32_e32 v22, vcc, s6, v2
	v_lshlrev_b32_e32 v2, 7, v1
	v_lshl_or_b32 v24, v24, 2, v2
	v_add_u32_e32 v123, 0x9280, v24
	v_mov_b32_e32 v24, 0x9680
	v_mul_lo_u32 v5, s17, v1
	v_add_u32_e32 v125, 0x9280, v2
	v_lshl_add_u32 v126, v1, 4, v24
	v_and_b32_e32 v1, 0xfc, v104
	v_lshlrev_b32_e32 v2, 5, v104
	v_or_b32_e32 v3, v3, v104
	v_add3_u32 v128, v2, v1, s2
	v_add_u32_e32 v1, 32, v104
	v_lshl_add_u32 v124, v3, 2, v24
	v_and_b32_e32 v2, 0x1fc, v1
	v_lshlrev_b32_e32 v3, 5, v1
	v_add3_u32 v129, v3, v2, s2
	v_add_u32_e32 v2, 64, v104
	v_and_b32_e32 v3, 0x1fc, v2
	v_lshlrev_b32_e32 v2, 5, v2
	s_abs_i32 s3, s11
	v_add3_u32 v130, v2, v3, s2
	v_cvt_f32_u32_e32 v3, s3
	v_add_u32_e32 v2, 0x60, v104
	v_and_b32_e32 v24, 0x1fc, v2
	v_lshlrev_b32_e32 v2, 5, v2
	v_add3_u32 v131, v2, v24, s2
	v_rcp_iflag_f32_e32 v2, v3
	s_sub_i32 s2, 0, s3
	s_waitcnt vmcnt(0)
	v_sub_u32_e32 v3, 0, v101
	v_max_i32_e32 v3, v101, v3
	v_mul_f32_e32 v2, 0x4f7ffffe, v2
	v_cvt_u32_f32_e32 v2, v2
	v_mov_b32_e32 v23, s7
	v_addc_co_u32_e32 v23, vcc, 0, v23, vcc
	v_mul_lo_u32 v24, s2, v2
	v_mul_hi_u32 v24, v2, v24
	v_add_u32_e32 v2, v2, v24
	v_mul_hi_u32 v2, v3, v2
	v_mul_lo_u32 v24, v2, s3
	v_sub_u32_e32 v3, v3, v24
	v_add_u32_e32 v24, 1, v2
	v_cmp_le_u32_e32 vcc, s3, v3
	v_cndmask_b32_e32 v2, v2, v24, vcc
	v_subrev_u32_e32 v24, s3, v3
	v_cndmask_b32_e32 v3, v3, v24, vcc
	v_lshrrev_b32_e32 v132, 3, v1
	v_xor_b32_e32 v1, s11, v101
	v_add_u32_e32 v24, 1, v2
	v_cmp_le_u32_e32 vcc, s3, v3
	v_ashrrev_i32_e32 v1, 31, v1
	v_cndmask_b32_e32 v2, v2, v24, vcc
	v_xor_b32_e32 v2, v2, v1
	v_sub_u32_e32 v1, v2, v1
	v_cmp_gt_i32_e64 s[2:3], s8, v1
	v_mul_lo_u32 v1, v1, s9
	v_ashrrev_i32_e32 v2, 31, v1
	v_add_co_u32_e32 v3, vcc, v1, v104
	s_mul_i32 s20, s17, s16
	v_addc_co_u32_e32 v24, vcc, 0, v2, vcc
	v_mad_u64_u32 v[2:3], s[22:23], v3, 36, s[6:7]
	s_movk_i32 s21, 0x90
	v_mad_i32_i24 v3, v24, 36, v3
	v_add_co_u32_e32 v24, vcc, s21, v2
	s_mul_hi_i32 s21, s20, 22
	s_mul_i32 s22, s20, 22
	v_lshrrev_b32_e32 v4, 2, v104
	v_addc_co_u32_e32 v25, vcc, 0, v3, vcc
	v_mov_b32_e32 v2, s22
	v_mov_b32_e32 v3, s21
	s_lshl_b32 s1, s17, 3
	v_mad_u64_u32 v[2:3], s[22:23], v4, 22, v[2:3]
	v_add_u32_e32 v6, s1, v5
	v_mad_u64_u32 v[4:5], s[22:23], v5, 22, v[2:3]
	v_add_u32_e32 v133, v104, v1
	v_add_u32_e32 v134, v132, v1
	;; [unrolled: 1-line block ×3, first 2 shown]
	v_add_co_u32_e32 v1, vcc, v4, v105
	v_addc_co_u32_e32 v27, vcc, 0, v5, vcc
	v_mov_b32_e32 v136, s5
	v_add_co_u32_e32 v26, vcc, s4, v1
	v_addc_co_u32_e32 v1, vcc, v136, v27, vcc
	v_add_co_u32_e32 v28, vcc, s4, v4
	v_addc_co_u32_e32 v27, vcc, v136, v5, vcc
	v_mad_u64_u32 v[4:5], s[22:23], v6, 22, v[2:3]
	v_add_u32_e32 v7, s1, v6
	v_mov_b32_e32 v6, s5
	v_add_co_u32_e32 v4, vcc, s4, v4
	v_addc_co_u32_e32 v5, vcc, v5, v6, vcc
	v_add_co_u32_e32 v30, vcc, v4, v105
	v_addc_co_u32_e32 v29, vcc, 0, v5, vcc
	;; [unrolled: 2-line block ×3, first 2 shown]
	v_mad_u64_u32 v[4:5], s[22:23], v7, 22, v[2:3]
	v_add_co_u32_e32 v4, vcc, s4, v4
	v_addc_co_u32_e32 v5, vcc, v5, v6, vcc
	v_add_co_u32_e32 v34, vcc, v4, v105
	v_addc_co_u32_e32 v33, vcc, 0, v5, vcc
	v_add_u32_e32 v8, s1, v7
	v_add_co_u32_e32 v36, vcc, 2, v4
	v_addc_co_u32_e32 v35, vcc, 0, v5, vcc
	v_mad_u64_u32 v[4:5], s[22:23], v8, 22, v[2:3]
	v_add_co_u32_e32 v4, vcc, s4, v4
	v_addc_co_u32_e32 v5, vcc, v5, v6, vcc
	v_add_co_u32_e32 v38, vcc, v4, v105
	v_addc_co_u32_e32 v37, vcc, 0, v5, vcc
	v_add_u32_e32 v9, s1, v8
	v_add_co_u32_e32 v40, vcc, 2, v4
	v_addc_co_u32_e32 v39, vcc, 0, v5, vcc
	;; [unrolled: 8-line block ×13, first 2 shown]
	v_mad_u64_u32 v[2:3], s[22:23], v20, 22, v[2:3]
	v_mov_b32_e32 v4, s5
	v_add_co_u32_e32 v2, vcc, s4, v2
	v_addc_co_u32_e32 v3, vcc, v3, v4, vcc
	v_add_co_u32_e32 v88, vcc, v2, v105
	v_addc_co_u32_e32 v85, vcc, 0, v3, vcc
	v_add_co_u32_e32 v92, vcc, 2, v2
	v_addc_co_u32_e32 v89, vcc, 0, v3, vcc
	v_mad_u64_u32 v[2:3], s[22:23], v86, 22, 0
	v_mad_i64_i32 v[2:3], s[22:23], s20, 22, v[2:3]
	s_andn2_b32 s0, s0, 31
	v_mad_u64_u32 v[2:3], s[22:23], v21, 22, v[2:3]
	v_add_u32_e32 v90, s0, v86
	v_add_co_u32_e32 v94, vcc, s4, v2
	v_addc_co_u32_e32 v93, vcc, v136, v3, vcc
	v_mad_u64_u32 v[2:3], s[22:23], v90, 22, 0
	v_mad_i64_i32 v[2:3], s[22:23], s20, 22, v[2:3]
	v_mad_u64_u32 v[2:3], s[22:23], v21, 22, v[2:3]
	v_add_u32_e32 v97, s0, v90
	v_add_co_u32_e32 v96, vcc, s4, v2
	v_addc_co_u32_e32 v95, vcc, v136, v3, vcc
	v_mad_u64_u32 v[2:3], s[22:23], v97, 22, 0
	v_mad_i64_i32 v[2:3], s[22:23], s20, 22, v[2:3]
	;; [unrolled: 6-line block ×3, first 2 shown]
	v_mad_u64_u32 v[2:3], s[20:21], v21, 22, v[2:3]
	v_add_co_u32_e32 v100, vcc, s4, v2
	v_mov_b32_e32 v90, 0
	s_ashr_i32 s18, s14, 31
	s_mov_b32 s19, 0
	v_add_u32_e32 v107, 0x820, v106
	v_add_u32_e32 v108, 0x1040, v106
	;; [unrolled: 1-line block ×15, first 2 shown]
	v_cmp_gt_u32_e64 s[0:1], 4, v104
	v_mul_u32_u24_e32 v127, 0x104, v104
	v_addc_co_u32_e32 v99, vcc, v136, v3, vcc
	s_movk_i32 s20, 0x80
	s_movk_i32 s21, 0x1f00
	;; [unrolled: 1-line block ×4, first 2 shown]
	v_add_u32_e32 v136, v87, v91
	v_add_u32_e32 v137, v102, v103
	;; [unrolled: 1-line block ×4, first 2 shown]
	v_mov_b32_e32 v140, 8
	v_mov_b32_e32 v91, v90
	;; [unrolled: 1-line block ×4, first 2 shown]
	s_branch .LBB221_6
.LBB221_4:                              ;   in Loop: Header=BB221_6 Depth=1
	s_or_b64 exec, exec, s[4:5]
	s_waitcnt lgkmcnt(0)
	s_barrier
	ds_read_b128 v[2:5], v126
	ds_read2_b32 v[102:103], v127 offset0:32 offset1:33
	ds_read_b128 v[14:17], v125
	ds_read_b128 v[18:21], v125 offset:16
	ds_read_b128 v[6:9], v125 offset:32
	;; [unrolled: 1-line block ×3, first 2 shown]
	ds_read2_b32 v[142:143], v127 offset0:34 offset1:35
	v_mov_b32_e32 v141, 0
	s_waitcnt lgkmcnt(4)
	v_dot4c_i32_i8_e32 v141, v102, v14
	s_waitcnt lgkmcnt(3)
	v_dot4c_i32_i8_e32 v141, v103, v18
	ds_read2_b32 v[102:103], v127 offset0:36 offset1:37
	ds_read2_b32 v[144:145], v127 offset0:38 offset1:39
	;; [unrolled: 1-line block ×3, first 2 shown]
	s_waitcnt lgkmcnt(3)
	v_dot4c_i32_i8_e32 v141, v142, v15
	v_dot4c_i32_i8_e32 v141, v143, v19
	s_waitcnt lgkmcnt(2)
	v_dot4c_i32_i8_e32 v141, v102, v16
	v_add_u32_e32 v102, 0x2100, v127
	ds_read2_b32 v[142:143], v102 offset1:1
	v_mov_b32_e32 v156, 0
	v_dot4c_i32_i8_e32 v141, v103, v20
	ds_read2_b32 v[102:103], v131 offset0:6 offset1:7
	s_waitcnt lgkmcnt(3)
	v_dot4c_i32_i8_e32 v141, v144, v17
	s_waitcnt lgkmcnt(1)
	v_dot4c_i32_i8_e32 v156, v142, v14
	v_add_u32_e32 v142, 0x2108, v127
	v_dot4c_i32_i8_e32 v156, v143, v18
	ds_read2_b32 v[142:143], v142 offset1:1
	v_add_u32_e32 v144, 0x2110, v127
	v_add_u32_e32 v148, 0x2118, v127
	;; [unrolled: 1-line block ×3, first 2 shown]
	v_dot4c_i32_i8_e32 v141, v145, v21
	ds_read2_b32 v[144:145], v144 offset1:1
	ds_read2_b32 v[148:149], v148 offset1:1
	ds_read2_b32 v[150:151], v150 offset1:1
	s_waitcnt lgkmcnt(3)
	v_dot4c_i32_i8_e32 v156, v142, v15
	v_dot4c_i32_i8_e32 v156, v143, v19
	s_waitcnt lgkmcnt(2)
	v_dot4c_i32_i8_e32 v156, v144, v16
	v_dot4c_i32_i8_e32 v156, v145, v20
	v_mov_b32_e32 v157, 0
	s_waitcnt lgkmcnt(1)
	v_dot4c_i32_i8_e32 v156, v148, v17
	s_waitcnt lgkmcnt(0)
	v_dot4c_i32_i8_e32 v157, v150, v14
	v_add_u32_e32 v142, 0x4188, v127
	v_add_u32_e32 v144, 0x4190, v127
	;; [unrolled: 1-line block ×4, first 2 shown]
	v_dot4c_i32_i8_e32 v156, v149, v21
	v_dot4c_i32_i8_e32 v157, v151, v18
	ds_read2_b32 v[142:143], v142 offset1:1
	ds_read2_b32 v[144:145], v144 offset1:1
	;; [unrolled: 1-line block ×4, first 2 shown]
	v_mov_b32_e32 v158, 0
	v_mov_b32_e32 v159, 0
	v_dot4c_i32_i8_e32 v159, v146, v6
	s_waitcnt lgkmcnt(3)
	v_dot4c_i32_i8_e32 v157, v142, v15
	s_waitcnt lgkmcnt(0)
	v_dot4c_i32_i8_e32 v158, v150, v14
	v_add_u32_e32 v14, 0x6208, v127
	v_dot4c_i32_i8_e32 v157, v143, v19
	ds_read2_b32 v[142:143], v14 offset1:1
	v_dot4c_i32_i8_e32 v157, v144, v16
	v_dot4c_i32_i8_e32 v157, v145, v20
	;; [unrolled: 1-line block ×4, first 2 shown]
	v_add_u32_e32 v18, 0x6210, v127
	v_add_u32_e32 v148, 0x6218, v127
	v_dot4c_i32_i8_e32 v157, v149, v21
	v_add_u32_e32 v14, 0x2120, v127
	ds_read2_b32 v[144:145], v18 offset1:1
	ds_read2_b32 v[148:149], v148 offset1:1
	;; [unrolled: 1-line block ×3, first 2 shown]
	s_waitcnt lgkmcnt(3)
	v_dot4c_i32_i8_e32 v158, v142, v15
	v_dot4c_i32_i8_e32 v158, v143, v19
	ds_read2_b32 v[14:15], v127 offset0:42 offset1:43
	s_waitcnt lgkmcnt(3)
	v_dot4c_i32_i8_e32 v158, v144, v16
	v_dot4c_i32_i8_e32 v158, v145, v20
	s_waitcnt lgkmcnt(2)
	v_dot4c_i32_i8_e32 v158, v148, v17
	v_dot4c_i32_i8_e32 v158, v149, v21
	;; [unrolled: 1-line block ×3, first 2 shown]
	ds_read2_b32 v[16:17], v127 offset0:44 offset1:45
	ds_read2_b32 v[18:19], v127 offset0:46 offset1:47
	;; [unrolled: 1-line block ×3, first 2 shown]
	s_waitcnt lgkmcnt(3)
	v_dot4c_i32_i8_e32 v159, v14, v7
	v_add_u32_e32 v14, 0x2128, v127
	v_dot4c_i32_i8_e32 v159, v15, v11
	ds_read2_b32 v[14:15], v14 offset1:1
	s_waitcnt lgkmcnt(3)
	v_dot4c_i32_i8_e32 v159, v16, v8
	v_dot4c_i32_i8_e32 v159, v17, v12
	v_mov_b32_e32 v160, 0
	s_waitcnt lgkmcnt(2)
	v_dot4c_i32_i8_e32 v159, v18, v9
	v_dot4c_i32_i8_e32 v160, v150, v6
	v_add_u32_e32 v16, 0x2130, v127
	v_add_u32_e32 v18, 0x2138, v127
	;; [unrolled: 1-line block ×3, first 2 shown]
	v_dot4c_i32_i8_e32 v159, v19, v13
	v_dot4c_i32_i8_e32 v160, v151, v10
	ds_read2_b32 v[16:17], v16 offset1:1
	ds_read2_b32 v[18:19], v18 offset1:1
	ds_read2_b32 v[142:143], v142 offset1:1
	s_waitcnt lgkmcnt(3)
	v_dot4c_i32_i8_e32 v160, v14, v7
	v_dot4c_i32_i8_e32 v160, v15, v11
	s_waitcnt lgkmcnt(2)
	v_dot4c_i32_i8_e32 v160, v16, v8
	v_dot4c_i32_i8_e32 v160, v17, v12
	v_mov_b32_e32 v161, 0
	s_waitcnt lgkmcnt(1)
	v_dot4c_i32_i8_e32 v160, v18, v9
	s_waitcnt lgkmcnt(0)
	v_dot4c_i32_i8_e32 v161, v142, v6
	v_add_u32_e32 v14, 0x41a8, v127
	v_add_u32_e32 v16, 0x41b0, v127
	;; [unrolled: 1-line block ×4, first 2 shown]
	v_dot4c_i32_i8_e32 v160, v19, v13
	v_dot4c_i32_i8_e32 v161, v143, v10
	ds_read2_b32 v[14:15], v14 offset1:1
	ds_read2_b32 v[16:17], v16 offset1:1
	;; [unrolled: 1-line block ×4, first 2 shown]
	v_mov_b32_e32 v162, 0
	v_mov_b32_e32 v163, 0
	;; [unrolled: 1-line block ×3, first 2 shown]
	s_waitcnt lgkmcnt(3)
	v_dot4c_i32_i8_e32 v161, v14, v7
	s_waitcnt lgkmcnt(0)
	v_dot4c_i32_i8_e32 v162, v142, v6
	v_add_u32_e32 v6, 0x6228, v127
	v_dot4c_i32_i8_e32 v161, v15, v11
	ds_read2_b32 v[14:15], v6 offset1:1
	v_dot4c_i32_i8_e32 v161, v16, v8
	v_dot4c_i32_i8_e32 v161, v17, v12
	;; [unrolled: 1-line block ×4, first 2 shown]
	v_add_u32_e32 v10, 0x6230, v127
	v_add_u32_e32 v18, 0x6238, v127
	v_dot4c_i32_i8_e32 v161, v19, v13
	v_add_u32_e32 v6, 0x2140, v127
	ds_read2_b32 v[16:17], v10 offset1:1
	ds_read2_b32 v[18:19], v18 offset1:1
	;; [unrolled: 1-line block ×3, first 2 shown]
	s_waitcnt lgkmcnt(3)
	v_dot4c_i32_i8_e32 v162, v14, v7
	v_dot4c_i32_i8_e32 v162, v15, v11
	s_waitcnt lgkmcnt(2)
	v_dot4c_i32_i8_e32 v162, v16, v8
	v_dot4c_i32_i8_e32 v162, v17, v12
	;; [unrolled: 3-line block ×3, first 2 shown]
	ds_read_b128 v[8:11], v125 offset:64
	ds_read_b128 v[12:15], v125 offset:80
	ds_read2_b32 v[6:7], v130 offset0:4 offset1:5
	ds_read2_b32 v[144:145], v129 offset0:6 offset1:7
	;; [unrolled: 1-line block ×5, first 2 shown]
	s_waitcnt lgkmcnt(6)
	v_dot4c_i32_i8_e32 v163, v20, v8
	s_waitcnt lgkmcnt(5)
	v_dot4c_i32_i8_e32 v163, v21, v12
	ds_read2_b32 v[18:19], v127 offset0:52 offset1:53
	ds_read2_b32 v[20:21], v127 offset0:54 offset1:55
	;; [unrolled: 1-line block ×3, first 2 shown]
	v_dot4c_i32_i8_e32 v164, v142, v8
	s_waitcnt lgkmcnt(3)
	v_dot4c_i32_i8_e32 v163, v16, v9
	v_add_u32_e32 v16, 0x2148, v127
	v_dot4c_i32_i8_e32 v163, v17, v13
	ds_read2_b32 v[16:17], v16 offset1:1
	s_waitcnt lgkmcnt(3)
	v_dot4c_i32_i8_e32 v163, v18, v10
	v_dot4c_i32_i8_e32 v163, v19, v14
	s_waitcnt lgkmcnt(2)
	v_dot4c_i32_i8_e32 v163, v20, v11
	v_add_u32_e32 v18, 0x2150, v127
	v_add_u32_e32 v20, 0x2158, v127
	;; [unrolled: 1-line block ×3, first 2 shown]
	v_dot4c_i32_i8_e32 v163, v21, v15
	v_dot4c_i32_i8_e32 v164, v143, v12
	ds_read2_b32 v[18:19], v18 offset1:1
	ds_read2_b32 v[20:21], v20 offset1:1
	;; [unrolled: 1-line block ×3, first 2 shown]
	s_waitcnt lgkmcnt(3)
	v_dot4c_i32_i8_e32 v164, v16, v9
	v_dot4c_i32_i8_e32 v164, v17, v13
	s_waitcnt lgkmcnt(2)
	v_dot4c_i32_i8_e32 v164, v18, v10
	v_dot4c_i32_i8_e32 v164, v19, v14
	v_mov_b32_e32 v165, 0
	s_waitcnt lgkmcnt(1)
	v_dot4c_i32_i8_e32 v164, v20, v11
	s_waitcnt lgkmcnt(0)
	v_dot4c_i32_i8_e32 v165, v142, v8
	v_add_u32_e32 v16, 0x41c8, v127
	v_add_u32_e32 v18, 0x41d0, v127
	;; [unrolled: 1-line block ×4, first 2 shown]
	v_dot4c_i32_i8_e32 v164, v21, v15
	ds_read2_b32 v[20:21], v131 offset0:4 offset1:5
	ds_read2_b32 v[152:153], v130 offset0:6 offset1:7
	v_dot4c_i32_i8_e32 v165, v143, v12
	ds_read2_b32 v[16:17], v16 offset1:1
	ds_read2_b32 v[18:19], v18 offset1:1
	;; [unrolled: 1-line block ×4, first 2 shown]
	v_mov_b32_e32 v166, 0
	v_mov_b32_e32 v167, 0
	;; [unrolled: 1-line block ×3, first 2 shown]
	s_waitcnt lgkmcnt(3)
	v_dot4c_i32_i8_e32 v165, v16, v9
	s_waitcnt lgkmcnt(0)
	v_dot4c_i32_i8_e32 v166, v154, v8
	v_add_u32_e32 v8, 0x6248, v127
	v_dot4c_i32_i8_e32 v165, v17, v13
	ds_read2_b32 v[16:17], v8 offset1:1
	v_dot4c_i32_i8_e32 v165, v18, v10
	v_dot4c_i32_i8_e32 v165, v19, v14
	;; [unrolled: 1-line block ×4, first 2 shown]
	v_add_u32_e32 v12, 0x6250, v127
	v_add_u32_e32 v142, 0x6258, v127
	v_dot4c_i32_i8_e32 v165, v143, v15
	v_add_u32_e32 v8, 0x2160, v127
	ds_read2_b32 v[18:19], v12 offset1:1
	ds_read2_b32 v[142:143], v142 offset1:1
	;; [unrolled: 1-line block ×3, first 2 shown]
	s_waitcnt lgkmcnt(3)
	v_dot4c_i32_i8_e32 v166, v16, v9
	v_dot4c_i32_i8_e32 v166, v17, v13
	s_waitcnt lgkmcnt(2)
	v_dot4c_i32_i8_e32 v166, v18, v10
	v_dot4c_i32_i8_e32 v166, v19, v14
	ds_read_b128 v[16:19], v125 offset:96
	s_waitcnt lgkmcnt(2)
	v_dot4c_i32_i8_e32 v166, v142, v11
	ds_read_b128 v[8:11], v125 offset:112
	ds_read2_b32 v[12:13], v127 offset0:58 offset1:59
	v_dot4c_i32_i8_e32 v166, v143, v15
	s_waitcnt lgkmcnt(2)
	v_dot4c_i32_i8_e32 v167, v150, v16
	v_dot4c_i32_i8_e32 v168, v154, v16
	s_waitcnt lgkmcnt(1)
	v_dot4c_i32_i8_e32 v167, v151, v8
	ds_read2_b32 v[14:15], v127 offset0:60 offset1:61
	ds_read2_b32 v[142:143], v128 offset0:4 offset1:5
	;; [unrolled: 1-line block ×3, first 2 shown]
	s_waitcnt lgkmcnt(3)
	v_dot4c_i32_i8_e32 v167, v12, v17
	v_add_u32_e32 v12, 0x2168, v127
	v_dot4c_i32_i8_e32 v167, v13, v9
	ds_read2_b32 v[12:13], v12 offset1:1
	s_waitcnt lgkmcnt(3)
	v_dot4c_i32_i8_e32 v167, v14, v18
	v_dot4c_i32_i8_e32 v167, v15, v10
	s_waitcnt lgkmcnt(1)
	v_dot4c_i32_i8_e32 v167, v150, v19
	v_add_u32_e32 v14, 0x2170, v127
	v_add_u32_e32 v150, 0x2178, v127
	;; [unrolled: 1-line block ×3, first 2 shown]
	v_dot4c_i32_i8_e32 v167, v151, v11
	v_dot4c_i32_i8_e32 v168, v155, v8
	ds_read2_b32 v[14:15], v14 offset1:1
	ds_read2_b32 v[150:151], v150 offset1:1
	;; [unrolled: 1-line block ×3, first 2 shown]
	s_waitcnt lgkmcnt(3)
	v_dot4c_i32_i8_e32 v168, v12, v17
	v_dot4c_i32_i8_e32 v168, v13, v9
	s_waitcnt lgkmcnt(2)
	v_dot4c_i32_i8_e32 v168, v14, v18
	v_dot4c_i32_i8_e32 v168, v15, v10
	s_waitcnt lgkmcnt(1)
	v_dot4c_i32_i8_e32 v168, v150, v19
	v_cvt_f32_i32_e32 v15, v156
	v_cvt_f32_i32_e32 v14, v141
	v_dot4c_i32_i8_e32 v168, v151, v11
	v_cvt_f32_i32_e32 v151, v160
	v_cvt_f32_i32_e32 v150, v159
	v_mov_b32_e32 v12, v142
	v_mov_b32_e32 v13, v146
	v_pk_mul_f32 v[12:13], v[2:3], v[12:13] op_sel_hi:[0,1]
	v_mov_b32_e32 v146, v143
	v_pk_fma_f32 v[12:13], v[12:13], v[14:15], v[90:91]
	v_pk_mul_f32 v[14:15], v[2:3], v[146:147] op_sel:[1,0]
	v_pk_fma_f32 v[12:13], v[14:15], v[150:151], v[12:13]
	v_cvt_f32_i32_e32 v15, v164
	v_cvt_f32_i32_e32 v14, v163
	v_mov_b32_e32 v90, v148
	v_mov_b32_e32 v91, v144
	v_pk_mul_f32 v[90:91], v[4:5], v[90:91] op_sel_hi:[0,1]
	v_pk_fma_f32 v[12:13], v[90:91], v[14:15], v[12:13]
	v_cvt_f32_i32_e32 v15, v168
	v_cvt_f32_i32_e32 v14, v167
	v_mov_b32_e32 v142, v5
	v_mov_b32_e32 v144, v149
	v_pk_mul_f32 v[90:91], v[142:143], v[144:145] op_sel_hi:[0,1]
	v_add_u32_e32 v5, 0x41e8, v127
	v_pk_fma_f32 v[90:91], v[90:91], v[14:15], v[12:13]
	ds_read2_b32 v[12:13], v5 offset1:1
	v_mov_b32_e32 v141, 0
	s_waitcnt lgkmcnt(1)
	v_dot4c_i32_i8_e32 v141, v154, v16
	v_add_u32_e32 v14, 0x41f0, v127
	v_dot4c_i32_i8_e32 v141, v155, v8
	v_add_u32_e32 v143, 0x41f8, v127
	v_add_u32_e32 v5, 0x6260, v127
	ds_read2_b32 v[14:15], v14 offset1:1
	ds_read2_b32 v[144:145], v143 offset1:1
	;; [unrolled: 1-line block ×3, first 2 shown]
	s_waitcnt lgkmcnt(3)
	v_dot4c_i32_i8_e32 v141, v12, v17
	v_add_u32_e32 v5, 0x6268, v127
	v_dot4c_i32_i8_e32 v141, v13, v9
	ds_read2_b32 v[12:13], v5 offset1:1
	s_waitcnt lgkmcnt(3)
	v_dot4c_i32_i8_e32 v141, v14, v18
	v_add_u32_e32 v5, 0x6270, v127
	v_dot4c_i32_i8_e32 v141, v15, v10
	v_mov_b32_e32 v143, 0
	ds_read2_b32 v[14:15], v5 offset1:1
	s_waitcnt lgkmcnt(3)
	v_dot4c_i32_i8_e32 v141, v144, v19
	s_waitcnt lgkmcnt(2)
	v_dot4c_i32_i8_e32 v143, v146, v16
	v_add_u32_e32 v5, 0x6278, v127
	v_dot4c_i32_i8_e32 v141, v145, v11
	v_dot4c_i32_i8_e32 v143, v147, v8
	ds_read2_b32 v[144:145], v5 offset1:1
	s_waitcnt lgkmcnt(2)
	v_dot4c_i32_i8_e32 v143, v12, v17
	v_dot4c_i32_i8_e32 v143, v13, v9
	s_waitcnt lgkmcnt(1)
	v_dot4c_i32_i8_e32 v143, v14, v18
	v_dot4c_i32_i8_e32 v143, v15, v10
	;; [unrolled: 3-line block ×3, first 2 shown]
	v_cvt_f32_i32_e32 v11, v158
	v_cvt_f32_i32_e32 v10, v157
	;; [unrolled: 1-line block ×4, first 2 shown]
	v_mov_b32_e32 v8, v6
	v_mov_b32_e32 v9, v20
	v_pk_mul_f32 v[8:9], v[2:3], v[8:9] op_sel_hi:[0,1]
	v_mov_b32_e32 v20, v7
	v_pk_fma_f32 v[8:9], v[8:9], v[10:11], v[86:87]
	v_pk_mul_f32 v[2:3], v[2:3], v[20:21] op_sel:[1,0]
	v_pk_fma_f32 v[2:3], v[2:3], v[12:13], v[8:9]
	v_mov_b32_e32 v6, v152
	v_mov_b32_e32 v7, v102
	v_cvt_f32_i32_e32 v9, v166
	v_cvt_f32_i32_e32 v8, v165
	v_pk_mul_f32 v[4:5], v[4:5], v[6:7] op_sel_hi:[0,1]
	v_cvt_f32_i32_e32 v7, v143
	v_cvt_f32_i32_e32 v6, v141
	v_mov_b32_e32 v102, v153
	v_pk_fma_f32 v[2:3], v[4:5], v[8:9], v[2:3]
	v_pk_mul_f32 v[4:5], v[142:143], v[102:103] op_sel_hi:[0,1]
	v_pk_fma_f32 v[86:87], v[4:5], v[6:7], v[2:3]
	s_barrier
.LBB221_5:                              ;   in Loop: Header=BB221_6 Depth=1
	v_add_co_u32_e32 v24, vcc, 0x120, v24
	v_addc_co_u32_e32 v25, vcc, 0, v25, vcc
	v_add_co_u32_e32 v26, vcc, 0xb0, v26
	v_addc_co_u32_e32 v1, vcc, 0, v1, vcc
	;; [unrolled: 2-line block ×36, first 2 shown]
	s_add_i32 s19, s19, 8
	s_addk_i32 s20, 0x100
	v_add_co_u32_e32 v100, vcc, 0xb0, v100
	s_cmp_ge_i32 s19, s17
	v_addc_co_u32_e32 v99, vcc, 0, v99, vcc
	s_cbranch_scc1 .LBB221_19
.LBB221_6:                              ; =>This Inner Loop Header: Depth=1
	v_mov_b32_e32 v2, s18
	v_add_co_u32_e32 v4, vcc, s14, v26
	v_addc_co_u32_e32 v5, vcc, v1, v2, vcc
	global_load_dword v3, v[4:5], off offset:6
	v_add_co_u32_e32 v4, vcc, s14, v28
	v_addc_co_u32_e32 v5, vcc, v27, v2, vcc
	global_load_dword v8, v[4:5], off offset:2
	v_add_co_u32_e32 v4, vcc, s14, v30
	v_addc_co_u32_e32 v5, vcc, v29, v2, vcc
	v_add_co_u32_e32 v6, vcc, s14, v32
	v_addc_co_u32_e32 v7, vcc, v31, v2, vcc
	global_load_dword v9, v[6:7], off
	global_load_dword v10, v[4:5], off offset:6
	v_add_co_u32_e32 v4, vcc, s14, v34
	v_addc_co_u32_e32 v5, vcc, v33, v2, vcc
	v_add_co_u32_e32 v6, vcc, s14, v36
	v_addc_co_u32_e32 v7, vcc, v35, v2, vcc
	global_load_dword v11, v[4:5], off offset:6
	global_load_dword v12, v[6:7], off
	s_add_i32 s4, s20, 0xffffff80
	s_cmp_lt_i32 s4, s15
	s_waitcnt vmcnt(5)
	v_and_b32_e32 v5, 0xf0f0f0f, v3
	v_lshrrev_b32_e32 v3, 4, v3
	v_and_b32_e32 v3, 0xf0f0f0f, v3
	s_waitcnt vmcnt(4)
	v_ashrrev_i32_e32 v4, v105, v8
	v_lshlrev_b32_e32 v7, 4, v4
	v_lshlrev_b32_e32 v13, 18, v4
	;; [unrolled: 1-line block ×3, first 2 shown]
	v_lshrrev_b32_e32 v15, 12, v4
	v_lshrrev_b32_e32 v16, 5, v4
	v_lshlrev_b32_e32 v17, 2, v4
	v_and_b32_e32 v7, 16, v7
	s_waitcnt vmcnt(3)
	v_ashrrev_i32_e32 v8, v105, v9
	v_lshlrev_b32_e32 v9, 11, v4
	v_lshlrev_b32_e32 v4, 9, v4
	v_and_b32_e32 v9, 0x1000, v9
	v_and_b32_e32 v13, 0x100000, v13
	;; [unrolled: 1-line block ×6, first 2 shown]
	v_lshlrev_b32_e32 v18, 4, v8
	v_lshlrev_b32_e32 v19, 11, v8
	v_and_b32_e32 v4, 0x10000000, v4
	v_or3_b32 v7, v7, v5, v9
	v_or3_b32 v5, v5, v13, v14
	;; [unrolled: 1-line block ×3, first 2 shown]
	s_waitcnt vmcnt(2)
	v_and_b32_e32 v6, 0xf0f0f0f, v10
	v_and_b32_e32 v18, 16, v18
	;; [unrolled: 1-line block ×4, first 2 shown]
	v_lshlrev_b16_e32 v7, 8, v7
	v_and_b32_sdwa v15, v5, s21 dst_sel:DWORD dst_unused:UNUSED_PAD src0_sel:WORD_1 src1_sel:DWORD
	v_lshlrev_b16_sdwa v5, v140, v5 dst_sel:DWORD dst_unused:UNUSED_PAD src0_sel:DWORD src1_sel:WORD_1
	v_or3_b32 v3, v9, v4, v3
	v_or3_b32 v13, v18, v6, v19
	v_add_u16_e32 v7, 0xf000, v7
	v_add_u16_e32 v5, 0xf000, v5
	v_lshlrev_b16_e32 v16, 8, v3
	v_and_b32_sdwa v17, v3, s23 dst_sel:DWORD dst_unused:UNUSED_PAD src0_sel:WORD_1 src1_sel:DWORD
	v_and_b32_e32 v4, 0x1f00, v13
	v_lshlrev_b16_e32 v9, 8, v13
	v_and_b32_e32 v13, 0x1f00, v3
	v_lshlrev_b16_sdwa v3, v140, v3 dst_sel:DWORD dst_unused:UNUSED_PAD src0_sel:DWORD src1_sel:WORD_1
	v_or_b32_sdwa v7, v14, v7 dst_sel:DWORD dst_unused:UNUSED_PAD src0_sel:DWORD src1_sel:BYTE_1
	v_or_b32_sdwa v5, v15, v5 dst_sel:DWORD dst_unused:UNUSED_PAD src0_sel:DWORD src1_sel:BYTE_1
	v_add_i16 v14, v16, s22 clamp
	v_add_i16 v15, v17, s22 clamp
	v_lshlrev_b32_e32 v20, 18, v8
	v_lshlrev_b32_e32 v21, 25, v8
	v_add_i16 v3, v3, s22 clamp
	v_add_u16_e32 v7, 0xf000, v7
	v_add_u16_sdwa v5, v5, s22 dst_sel:WORD_1 dst_unused:UNUSED_PAD src0_sel:DWORD src1_sel:DWORD
	v_or_b32_sdwa v13, v13, v14 dst_sel:DWORD dst_unused:UNUSED_PAD src0_sel:DWORD src1_sel:BYTE_1
	v_and_b32_e32 v14, 0xffffff00, v15
	v_and_b32_e32 v20, 0x100000, v20
	;; [unrolled: 1-line block ×3, first 2 shown]
	v_or_b32_e32 v5, v7, v5
	v_add_u16_e32 v7, 0xf000, v13
	v_or_b32_sdwa v3, v3, v14 dst_sel:WORD_1 dst_unused:UNUSED_PAD src0_sel:BYTE_1 src1_sel:DWORD
	v_or3_b32 v6, v6, v20, v21
	v_or_b32_e32 v3, v7, v3
	ds_write2_b32 v106, v5, v3 offset1:1
	v_add_u16_e32 v3, 0xf000, v9
	v_lshlrev_b16_sdwa v5, v140, v6 dst_sel:DWORD dst_unused:UNUSED_PAD src0_sel:DWORD src1_sel:WORD_1
	v_or_b32_sdwa v3, v4, v3 dst_sel:DWORD dst_unused:UNUSED_PAD src0_sel:DWORD src1_sel:BYTE_1
	v_and_b32_sdwa v4, v6, s21 dst_sel:DWORD dst_unused:UNUSED_PAD src0_sel:WORD_1 src1_sel:DWORD
	v_add_u16_e32 v5, 0xf000, v5
	v_or_b32_sdwa v4, v4, v5 dst_sel:DWORD dst_unused:UNUSED_PAD src0_sel:DWORD src1_sel:BYTE_1
	v_add_u16_e32 v3, 0xf000, v3
	v_add_u16_sdwa v4, v4, s22 dst_sel:WORD_1 dst_unused:UNUSED_PAD src0_sel:DWORD src1_sel:DWORD
	v_or_b32_e32 v3, v3, v4
	v_lshrrev_b32_e32 v4, 4, v10
	v_and_b32_e32 v9, 0xf0f0f0f, v4
	v_lshrrev_b32_e32 v4, 12, v8
	v_and_b32_e32 v10, 16, v4
	v_add_co_u32_e32 v4, vcc, s14, v38
	v_addc_co_u32_e32 v5, vcc, v37, v2, vcc
	v_add_co_u32_e32 v6, vcc, s14, v40
	v_addc_co_u32_e32 v7, vcc, v39, v2, vcc
	v_lshrrev_b32_e32 v13, 5, v8
	global_load_dword v14, v[6:7], off
	global_load_dword v15, v[4:5], off offset:6
	v_lshlrev_b32_e32 v5, 2, v8
	v_and_b32_e32 v4, 0x1000, v13
	v_and_b32_e32 v5, 0x100000, v5
	v_lshlrev_b32_e32 v6, 9, v8
	v_and_b32_e32 v6, 0x10000000, v6
	v_or3_b32 v4, v4, v10, v5
	v_or3_b32 v4, v4, v6, v9
	v_lshlrev_b16_e32 v6, 8, v4
	v_and_b32_e32 v5, 0x1f00, v4
	v_add_i16 v6, v6, s22 clamp
	v_or_b32_sdwa v5, v5, v6 dst_sel:DWORD dst_unused:UNUSED_PAD src0_sel:DWORD src1_sel:BYTE_1
	v_and_b32_sdwa v6, v4, s23 dst_sel:DWORD dst_unused:UNUSED_PAD src0_sel:WORD_1 src1_sel:DWORD
	v_add_i16 v6, v6, s22 clamp
	v_lshlrev_b16_sdwa v4, v140, v4 dst_sel:DWORD dst_unused:UNUSED_PAD src0_sel:DWORD src1_sel:WORD_1
	v_and_b32_e32 v6, 0xffffff00, v6
	v_add_i16 v4, v4, s22 clamp
	v_add_u16_e32 v5, 0xf000, v5
	v_or_b32_sdwa v4, v4, v6 dst_sel:WORD_1 dst_unused:UNUSED_PAD src0_sel:BYTE_1 src1_sel:DWORD
	v_or_b32_e32 v4, v5, v4
	ds_write2_b32 v107, v3, v4 offset1:1
	s_waitcnt vmcnt(2)
	v_ashrrev_i32_e32 v3, v105, v12
	v_lshlrev_b32_e32 v5, 4, v3
	v_lshlrev_b32_e32 v6, 11, v3
	v_and_b32_e32 v4, 0xf0f0f0f, v11
	v_and_b32_e32 v5, 16, v5
	;; [unrolled: 1-line block ×3, first 2 shown]
	v_or3_b32 v5, v5, v4, v6
	v_lshlrev_b32_e32 v6, 18, v3
	v_lshlrev_b32_e32 v7, 25, v3
	v_and_b32_e32 v6, 0x100000, v6
	v_and_b32_e32 v7, 0x10000000, v7
	v_or3_b32 v4, v4, v6, v7
	v_and_b32_e32 v6, 0x1f00, v5
	v_lshlrev_b16_e32 v5, 8, v5
	v_add_u16_e32 v5, 0xf000, v5
	v_or_b32_sdwa v5, v6, v5 dst_sel:DWORD dst_unused:UNUSED_PAD src0_sel:DWORD src1_sel:BYTE_1
	v_and_b32_sdwa v6, v4, s21 dst_sel:DWORD dst_unused:UNUSED_PAD src0_sel:WORD_1 src1_sel:DWORD
	v_lshlrev_b16_sdwa v4, v140, v4 dst_sel:DWORD dst_unused:UNUSED_PAD src0_sel:DWORD src1_sel:WORD_1
	v_add_u16_e32 v4, 0xf000, v4
	v_or_b32_sdwa v4, v6, v4 dst_sel:DWORD dst_unused:UNUSED_PAD src0_sel:DWORD src1_sel:BYTE_1
	v_add_u16_e32 v5, 0xf000, v5
	v_add_u16_sdwa v4, v4, s22 dst_sel:WORD_1 dst_unused:UNUSED_PAD src0_sel:DWORD src1_sel:DWORD
	v_or_b32_e32 v8, v5, v4
	v_lshrrev_b32_e32 v4, 4, v11
	v_and_b32_e32 v9, 0xf0f0f0f, v4
	v_lshrrev_b32_e32 v4, 12, v3
	v_and_b32_e32 v10, 16, v4
	v_add_co_u32_e32 v4, vcc, s14, v42
	v_addc_co_u32_e32 v5, vcc, v41, v2, vcc
	v_add_co_u32_e32 v6, vcc, s14, v44
	v_addc_co_u32_e32 v7, vcc, v43, v2, vcc
	global_load_dword v12, v[6:7], off
	global_load_dword v13, v[4:5], off offset:6
	v_lshrrev_b32_e32 v11, 5, v3
	v_lshlrev_b32_e32 v5, 2, v3
	v_and_b32_e32 v4, 0x1000, v11
	v_and_b32_e32 v5, 0x100000, v5
	v_lshlrev_b32_e32 v3, 9, v3
	v_and_b32_e32 v3, 0x10000000, v3
	v_or3_b32 v4, v4, v10, v5
	v_or3_b32 v3, v4, v3, v9
	v_lshlrev_b16_e32 v5, 8, v3
	v_and_b32_e32 v4, 0x1f00, v3
	v_add_i16 v5, v5, s22 clamp
	v_or_b32_sdwa v4, v4, v5 dst_sel:DWORD dst_unused:UNUSED_PAD src0_sel:DWORD src1_sel:BYTE_1
	v_and_b32_sdwa v5, v3, s23 dst_sel:DWORD dst_unused:UNUSED_PAD src0_sel:WORD_1 src1_sel:DWORD
	v_add_i16 v5, v5, s22 clamp
	v_lshlrev_b16_sdwa v3, v140, v3 dst_sel:DWORD dst_unused:UNUSED_PAD src0_sel:DWORD src1_sel:WORD_1
	v_and_b32_e32 v5, 0xffffff00, v5
	v_add_i16 v3, v3, s22 clamp
	v_add_u16_e32 v4, 0xf000, v4
	v_or_b32_sdwa v3, v3, v5 dst_sel:WORD_1 dst_unused:UNUSED_PAD src0_sel:BYTE_1 src1_sel:DWORD
	v_or_b32_e32 v3, v4, v3
	ds_write2_b32 v108, v8, v3 offset1:1
	s_waitcnt vmcnt(3)
	v_ashrrev_i32_e32 v3, v105, v14
	v_lshlrev_b32_e32 v5, 4, v3
	v_lshlrev_b32_e32 v6, 11, v3
	s_waitcnt vmcnt(2)
	v_and_b32_e32 v4, 0xf0f0f0f, v15
	v_and_b32_e32 v5, 16, v5
	;; [unrolled: 1-line block ×3, first 2 shown]
	v_or3_b32 v5, v5, v4, v6
	v_lshlrev_b32_e32 v6, 18, v3
	v_lshlrev_b32_e32 v7, 25, v3
	v_and_b32_e32 v6, 0x100000, v6
	v_and_b32_e32 v7, 0x10000000, v7
	v_or3_b32 v4, v4, v6, v7
	v_and_b32_e32 v6, 0x1f00, v5
	v_lshlrev_b16_e32 v5, 8, v5
	v_add_u16_e32 v5, 0xf000, v5
	v_or_b32_sdwa v5, v6, v5 dst_sel:DWORD dst_unused:UNUSED_PAD src0_sel:DWORD src1_sel:BYTE_1
	v_and_b32_sdwa v6, v4, s21 dst_sel:DWORD dst_unused:UNUSED_PAD src0_sel:WORD_1 src1_sel:DWORD
	v_lshlrev_b16_sdwa v4, v140, v4 dst_sel:DWORD dst_unused:UNUSED_PAD src0_sel:DWORD src1_sel:WORD_1
	v_add_u16_e32 v4, 0xf000, v4
	v_or_b32_sdwa v4, v6, v4 dst_sel:DWORD dst_unused:UNUSED_PAD src0_sel:DWORD src1_sel:BYTE_1
	v_add_u16_e32 v5, 0xf000, v5
	v_add_u16_sdwa v4, v4, s22 dst_sel:WORD_1 dst_unused:UNUSED_PAD src0_sel:DWORD src1_sel:DWORD
	v_or_b32_e32 v8, v5, v4
	v_lshrrev_b32_e32 v4, 4, v15
	v_and_b32_e32 v9, 0xf0f0f0f, v4
	v_lshrrev_b32_e32 v4, 12, v3
	v_and_b32_e32 v10, 16, v4
	v_add_co_u32_e32 v4, vcc, s14, v46
	v_addc_co_u32_e32 v5, vcc, v45, v2, vcc
	v_add_co_u32_e32 v6, vcc, s14, v48
	v_addc_co_u32_e32 v7, vcc, v47, v2, vcc
	v_lshrrev_b32_e32 v11, 5, v3
	global_load_dword v14, v[6:7], off
	global_load_dword v15, v[4:5], off offset:6
	v_lshlrev_b32_e32 v5, 2, v3
	v_and_b32_e32 v4, 0x1000, v11
	v_and_b32_e32 v5, 0x100000, v5
	v_lshlrev_b32_e32 v3, 9, v3
	v_and_b32_e32 v3, 0x10000000, v3
	v_or3_b32 v4, v4, v10, v5
	v_or3_b32 v3, v4, v3, v9
	v_lshlrev_b16_e32 v5, 8, v3
	v_and_b32_e32 v4, 0x1f00, v3
	v_add_i16 v5, v5, s22 clamp
	v_or_b32_sdwa v4, v4, v5 dst_sel:DWORD dst_unused:UNUSED_PAD src0_sel:DWORD src1_sel:BYTE_1
	v_and_b32_sdwa v5, v3, s23 dst_sel:DWORD dst_unused:UNUSED_PAD src0_sel:WORD_1 src1_sel:DWORD
	v_add_i16 v5, v5, s22 clamp
	v_lshlrev_b16_sdwa v3, v140, v3 dst_sel:DWORD dst_unused:UNUSED_PAD src0_sel:DWORD src1_sel:WORD_1
	v_and_b32_e32 v5, 0xffffff00, v5
	v_add_i16 v3, v3, s22 clamp
	v_add_u16_e32 v4, 0xf000, v4
	v_or_b32_sdwa v3, v3, v5 dst_sel:WORD_1 dst_unused:UNUSED_PAD src0_sel:BYTE_1 src1_sel:DWORD
	v_or_b32_e32 v3, v4, v3
	ds_write2_b32 v109, v8, v3 offset1:1
	s_waitcnt vmcnt(3)
	v_ashrrev_i32_e32 v3, v105, v12
	v_lshlrev_b32_e32 v5, 4, v3
	v_lshlrev_b32_e32 v6, 11, v3
	s_waitcnt vmcnt(2)
	v_and_b32_e32 v4, 0xf0f0f0f, v13
	v_and_b32_e32 v5, 16, v5
	;; [unrolled: 1-line block ×3, first 2 shown]
	v_or3_b32 v5, v5, v4, v6
	v_lshlrev_b32_e32 v6, 18, v3
	v_lshlrev_b32_e32 v7, 25, v3
	v_and_b32_e32 v6, 0x100000, v6
	v_and_b32_e32 v7, 0x10000000, v7
	v_or3_b32 v4, v4, v6, v7
	v_and_b32_e32 v6, 0x1f00, v5
	v_lshlrev_b16_e32 v5, 8, v5
	v_add_u16_e32 v5, 0xf000, v5
	v_or_b32_sdwa v5, v6, v5 dst_sel:DWORD dst_unused:UNUSED_PAD src0_sel:DWORD src1_sel:BYTE_1
	v_and_b32_sdwa v6, v4, s21 dst_sel:DWORD dst_unused:UNUSED_PAD src0_sel:WORD_1 src1_sel:DWORD
	v_lshlrev_b16_sdwa v4, v140, v4 dst_sel:DWORD dst_unused:UNUSED_PAD src0_sel:DWORD src1_sel:WORD_1
	v_add_u16_e32 v4, 0xf000, v4
	v_or_b32_sdwa v4, v6, v4 dst_sel:DWORD dst_unused:UNUSED_PAD src0_sel:DWORD src1_sel:BYTE_1
	v_add_u16_e32 v5, 0xf000, v5
	v_add_u16_sdwa v4, v4, s22 dst_sel:WORD_1 dst_unused:UNUSED_PAD src0_sel:DWORD src1_sel:DWORD
	v_or_b32_e32 v8, v5, v4
	v_lshrrev_b32_e32 v4, 4, v13
	v_and_b32_e32 v9, 0xf0f0f0f, v4
	v_lshrrev_b32_e32 v4, 12, v3
	v_and_b32_e32 v10, 16, v4
	v_add_co_u32_e32 v4, vcc, s14, v50
	v_addc_co_u32_e32 v5, vcc, v49, v2, vcc
	v_add_co_u32_e32 v6, vcc, s14, v52
	v_addc_co_u32_e32 v7, vcc, v51, v2, vcc
	global_load_dword v12, v[6:7], off
	global_load_dword v13, v[4:5], off offset:6
	v_lshrrev_b32_e32 v11, 5, v3
	v_lshlrev_b32_e32 v5, 2, v3
	v_and_b32_e32 v4, 0x1000, v11
	v_and_b32_e32 v5, 0x100000, v5
	v_lshlrev_b32_e32 v3, 9, v3
	v_and_b32_e32 v3, 0x10000000, v3
	v_or3_b32 v4, v4, v10, v5
	v_or3_b32 v3, v4, v3, v9
	v_lshlrev_b16_e32 v5, 8, v3
	v_and_b32_e32 v4, 0x1f00, v3
	v_add_i16 v5, v5, s22 clamp
	v_or_b32_sdwa v4, v4, v5 dst_sel:DWORD dst_unused:UNUSED_PAD src0_sel:DWORD src1_sel:BYTE_1
	v_and_b32_sdwa v5, v3, s23 dst_sel:DWORD dst_unused:UNUSED_PAD src0_sel:WORD_1 src1_sel:DWORD
	v_add_i16 v5, v5, s22 clamp
	v_lshlrev_b16_sdwa v3, v140, v3 dst_sel:DWORD dst_unused:UNUSED_PAD src0_sel:DWORD src1_sel:WORD_1
	v_and_b32_e32 v5, 0xffffff00, v5
	v_add_i16 v3, v3, s22 clamp
	v_add_u16_e32 v4, 0xf000, v4
	v_or_b32_sdwa v3, v3, v5 dst_sel:WORD_1 dst_unused:UNUSED_PAD src0_sel:BYTE_1 src1_sel:DWORD
	v_or_b32_e32 v3, v4, v3
	ds_write2_b32 v110, v8, v3 offset1:1
	s_waitcnt vmcnt(3)
	v_ashrrev_i32_e32 v3, v105, v14
	v_lshlrev_b32_e32 v5, 4, v3
	v_lshlrev_b32_e32 v6, 11, v3
	s_waitcnt vmcnt(2)
	v_and_b32_e32 v4, 0xf0f0f0f, v15
	v_and_b32_e32 v5, 16, v5
	;; [unrolled: 1-line block ×3, first 2 shown]
	v_or3_b32 v5, v5, v4, v6
	v_lshlrev_b32_e32 v6, 18, v3
	v_lshlrev_b32_e32 v7, 25, v3
	v_and_b32_e32 v6, 0x100000, v6
	v_and_b32_e32 v7, 0x10000000, v7
	v_or3_b32 v4, v4, v6, v7
	v_and_b32_e32 v6, 0x1f00, v5
	v_lshlrev_b16_e32 v5, 8, v5
	v_add_u16_e32 v5, 0xf000, v5
	v_or_b32_sdwa v5, v6, v5 dst_sel:DWORD dst_unused:UNUSED_PAD src0_sel:DWORD src1_sel:BYTE_1
	v_and_b32_sdwa v6, v4, s21 dst_sel:DWORD dst_unused:UNUSED_PAD src0_sel:WORD_1 src1_sel:DWORD
	v_lshlrev_b16_sdwa v4, v140, v4 dst_sel:DWORD dst_unused:UNUSED_PAD src0_sel:DWORD src1_sel:WORD_1
	v_add_u16_e32 v4, 0xf000, v4
	v_or_b32_sdwa v4, v6, v4 dst_sel:DWORD dst_unused:UNUSED_PAD src0_sel:DWORD src1_sel:BYTE_1
	v_add_u16_e32 v5, 0xf000, v5
	v_add_u16_sdwa v4, v4, s22 dst_sel:WORD_1 dst_unused:UNUSED_PAD src0_sel:DWORD src1_sel:DWORD
	v_or_b32_e32 v8, v5, v4
	v_lshrrev_b32_e32 v4, 4, v15
	v_and_b32_e32 v9, 0xf0f0f0f, v4
	v_lshrrev_b32_e32 v4, 12, v3
	v_and_b32_e32 v10, 16, v4
	v_add_co_u32_e32 v4, vcc, s14, v54
	v_addc_co_u32_e32 v5, vcc, v53, v2, vcc
	v_add_co_u32_e32 v6, vcc, s14, v56
	v_addc_co_u32_e32 v7, vcc, v55, v2, vcc
	v_lshrrev_b32_e32 v11, 5, v3
	global_load_dword v14, v[6:7], off
	global_load_dword v15, v[4:5], off offset:6
	v_lshlrev_b32_e32 v5, 2, v3
	v_and_b32_e32 v4, 0x1000, v11
	v_and_b32_e32 v5, 0x100000, v5
	v_lshlrev_b32_e32 v3, 9, v3
	v_and_b32_e32 v3, 0x10000000, v3
	v_or3_b32 v4, v4, v10, v5
	v_or3_b32 v3, v4, v3, v9
	v_lshlrev_b16_e32 v5, 8, v3
	v_and_b32_e32 v4, 0x1f00, v3
	v_add_i16 v5, v5, s22 clamp
	v_or_b32_sdwa v4, v4, v5 dst_sel:DWORD dst_unused:UNUSED_PAD src0_sel:DWORD src1_sel:BYTE_1
	v_and_b32_sdwa v5, v3, s23 dst_sel:DWORD dst_unused:UNUSED_PAD src0_sel:WORD_1 src1_sel:DWORD
	v_add_i16 v5, v5, s22 clamp
	v_lshlrev_b16_sdwa v3, v140, v3 dst_sel:DWORD dst_unused:UNUSED_PAD src0_sel:DWORD src1_sel:WORD_1
	v_and_b32_e32 v5, 0xffffff00, v5
	v_add_i16 v3, v3, s22 clamp
	v_add_u16_e32 v4, 0xf000, v4
	v_or_b32_sdwa v3, v3, v5 dst_sel:WORD_1 dst_unused:UNUSED_PAD src0_sel:BYTE_1 src1_sel:DWORD
	v_or_b32_e32 v3, v4, v3
	ds_write2_b32 v111, v8, v3 offset1:1
	s_waitcnt vmcnt(3)
	v_ashrrev_i32_e32 v3, v105, v12
	v_lshlrev_b32_e32 v5, 4, v3
	v_lshlrev_b32_e32 v6, 11, v3
	s_waitcnt vmcnt(2)
	v_and_b32_e32 v4, 0xf0f0f0f, v13
	v_and_b32_e32 v5, 16, v5
	;; [unrolled: 1-line block ×3, first 2 shown]
	v_or3_b32 v5, v5, v4, v6
	v_lshlrev_b32_e32 v6, 18, v3
	v_lshlrev_b32_e32 v7, 25, v3
	v_and_b32_e32 v6, 0x100000, v6
	v_and_b32_e32 v7, 0x10000000, v7
	v_or3_b32 v4, v4, v6, v7
	v_and_b32_e32 v6, 0x1f00, v5
	v_lshlrev_b16_e32 v5, 8, v5
	v_add_u16_e32 v5, 0xf000, v5
	v_or_b32_sdwa v5, v6, v5 dst_sel:DWORD dst_unused:UNUSED_PAD src0_sel:DWORD src1_sel:BYTE_1
	v_and_b32_sdwa v6, v4, s21 dst_sel:DWORD dst_unused:UNUSED_PAD src0_sel:WORD_1 src1_sel:DWORD
	v_lshlrev_b16_sdwa v4, v140, v4 dst_sel:DWORD dst_unused:UNUSED_PAD src0_sel:DWORD src1_sel:WORD_1
	v_add_u16_e32 v4, 0xf000, v4
	v_or_b32_sdwa v4, v6, v4 dst_sel:DWORD dst_unused:UNUSED_PAD src0_sel:DWORD src1_sel:BYTE_1
	v_add_u16_e32 v5, 0xf000, v5
	v_add_u16_sdwa v4, v4, s22 dst_sel:WORD_1 dst_unused:UNUSED_PAD src0_sel:DWORD src1_sel:DWORD
	v_or_b32_e32 v8, v5, v4
	v_lshrrev_b32_e32 v4, 4, v13
	v_and_b32_e32 v9, 0xf0f0f0f, v4
	v_lshrrev_b32_e32 v4, 12, v3
	v_and_b32_e32 v10, 16, v4
	v_add_co_u32_e32 v4, vcc, s14, v58
	v_addc_co_u32_e32 v5, vcc, v57, v2, vcc
	v_add_co_u32_e32 v6, vcc, s14, v60
	v_addc_co_u32_e32 v7, vcc, v59, v2, vcc
	global_load_dword v12, v[6:7], off
	global_load_dword v13, v[4:5], off offset:6
	v_lshrrev_b32_e32 v11, 5, v3
	v_lshlrev_b32_e32 v5, 2, v3
	v_and_b32_e32 v4, 0x1000, v11
	v_and_b32_e32 v5, 0x100000, v5
	v_lshlrev_b32_e32 v3, 9, v3
	v_and_b32_e32 v3, 0x10000000, v3
	v_or3_b32 v4, v4, v10, v5
	v_or3_b32 v3, v4, v3, v9
	v_lshlrev_b16_e32 v5, 8, v3
	v_and_b32_e32 v4, 0x1f00, v3
	v_add_i16 v5, v5, s22 clamp
	v_or_b32_sdwa v4, v4, v5 dst_sel:DWORD dst_unused:UNUSED_PAD src0_sel:DWORD src1_sel:BYTE_1
	v_and_b32_sdwa v5, v3, s23 dst_sel:DWORD dst_unused:UNUSED_PAD src0_sel:WORD_1 src1_sel:DWORD
	v_add_i16 v5, v5, s22 clamp
	v_lshlrev_b16_sdwa v3, v140, v3 dst_sel:DWORD dst_unused:UNUSED_PAD src0_sel:DWORD src1_sel:WORD_1
	v_and_b32_e32 v5, 0xffffff00, v5
	v_add_i16 v3, v3, s22 clamp
	v_add_u16_e32 v4, 0xf000, v4
	v_or_b32_sdwa v3, v3, v5 dst_sel:WORD_1 dst_unused:UNUSED_PAD src0_sel:BYTE_1 src1_sel:DWORD
	v_or_b32_e32 v3, v4, v3
	ds_write2_b32 v112, v8, v3 offset1:1
	s_waitcnt vmcnt(3)
	v_ashrrev_i32_e32 v3, v105, v14
	v_lshlrev_b32_e32 v5, 4, v3
	v_lshlrev_b32_e32 v6, 11, v3
	s_waitcnt vmcnt(2)
	v_and_b32_e32 v4, 0xf0f0f0f, v15
	v_and_b32_e32 v5, 16, v5
	;; [unrolled: 1-line block ×3, first 2 shown]
	v_or3_b32 v5, v5, v4, v6
	v_lshlrev_b32_e32 v6, 18, v3
	v_lshlrev_b32_e32 v7, 25, v3
	v_and_b32_e32 v6, 0x100000, v6
	v_and_b32_e32 v7, 0x10000000, v7
	v_or3_b32 v4, v4, v6, v7
	v_and_b32_e32 v6, 0x1f00, v5
	v_lshlrev_b16_e32 v5, 8, v5
	v_add_u16_e32 v5, 0xf000, v5
	v_or_b32_sdwa v5, v6, v5 dst_sel:DWORD dst_unused:UNUSED_PAD src0_sel:DWORD src1_sel:BYTE_1
	v_and_b32_sdwa v6, v4, s21 dst_sel:DWORD dst_unused:UNUSED_PAD src0_sel:WORD_1 src1_sel:DWORD
	v_lshlrev_b16_sdwa v4, v140, v4 dst_sel:DWORD dst_unused:UNUSED_PAD src0_sel:DWORD src1_sel:WORD_1
	v_add_u16_e32 v4, 0xf000, v4
	v_or_b32_sdwa v4, v6, v4 dst_sel:DWORD dst_unused:UNUSED_PAD src0_sel:DWORD src1_sel:BYTE_1
	v_add_u16_e32 v5, 0xf000, v5
	v_add_u16_sdwa v4, v4, s22 dst_sel:WORD_1 dst_unused:UNUSED_PAD src0_sel:DWORD src1_sel:DWORD
	v_or_b32_e32 v8, v5, v4
	v_lshrrev_b32_e32 v4, 4, v15
	v_and_b32_e32 v9, 0xf0f0f0f, v4
	v_lshrrev_b32_e32 v4, 12, v3
	v_and_b32_e32 v10, 16, v4
	v_add_co_u32_e32 v4, vcc, s14, v62
	v_addc_co_u32_e32 v5, vcc, v61, v2, vcc
	v_add_co_u32_e32 v6, vcc, s14, v64
	v_addc_co_u32_e32 v7, vcc, v63, v2, vcc
	v_lshrrev_b32_e32 v11, 5, v3
	global_load_dword v14, v[6:7], off
	global_load_dword v15, v[4:5], off offset:6
	v_lshlrev_b32_e32 v5, 2, v3
	v_and_b32_e32 v4, 0x1000, v11
	v_and_b32_e32 v5, 0x100000, v5
	v_lshlrev_b32_e32 v3, 9, v3
	v_and_b32_e32 v3, 0x10000000, v3
	v_or3_b32 v4, v4, v10, v5
	v_or3_b32 v3, v4, v3, v9
	v_lshlrev_b16_e32 v5, 8, v3
	v_and_b32_e32 v4, 0x1f00, v3
	v_add_i16 v5, v5, s22 clamp
	v_or_b32_sdwa v4, v4, v5 dst_sel:DWORD dst_unused:UNUSED_PAD src0_sel:DWORD src1_sel:BYTE_1
	v_and_b32_sdwa v5, v3, s23 dst_sel:DWORD dst_unused:UNUSED_PAD src0_sel:WORD_1 src1_sel:DWORD
	v_add_i16 v5, v5, s22 clamp
	v_lshlrev_b16_sdwa v3, v140, v3 dst_sel:DWORD dst_unused:UNUSED_PAD src0_sel:DWORD src1_sel:WORD_1
	v_and_b32_e32 v5, 0xffffff00, v5
	v_add_i16 v3, v3, s22 clamp
	v_add_u16_e32 v4, 0xf000, v4
	v_or_b32_sdwa v3, v3, v5 dst_sel:WORD_1 dst_unused:UNUSED_PAD src0_sel:BYTE_1 src1_sel:DWORD
	v_or_b32_e32 v3, v4, v3
	ds_write2_b32 v113, v8, v3 offset1:1
	s_waitcnt vmcnt(3)
	v_ashrrev_i32_e32 v3, v105, v12
	v_lshlrev_b32_e32 v5, 4, v3
	v_lshlrev_b32_e32 v6, 11, v3
	s_waitcnt vmcnt(2)
	v_and_b32_e32 v4, 0xf0f0f0f, v13
	v_and_b32_e32 v5, 16, v5
	;; [unrolled: 1-line block ×3, first 2 shown]
	v_or3_b32 v5, v5, v4, v6
	v_lshlrev_b32_e32 v6, 18, v3
	v_lshlrev_b32_e32 v7, 25, v3
	v_and_b32_e32 v6, 0x100000, v6
	v_and_b32_e32 v7, 0x10000000, v7
	v_or3_b32 v4, v4, v6, v7
	v_and_b32_e32 v6, 0x1f00, v5
	v_lshlrev_b16_e32 v5, 8, v5
	v_add_u16_e32 v5, 0xf000, v5
	v_or_b32_sdwa v5, v6, v5 dst_sel:DWORD dst_unused:UNUSED_PAD src0_sel:DWORD src1_sel:BYTE_1
	v_and_b32_sdwa v6, v4, s21 dst_sel:DWORD dst_unused:UNUSED_PAD src0_sel:WORD_1 src1_sel:DWORD
	v_lshlrev_b16_sdwa v4, v140, v4 dst_sel:DWORD dst_unused:UNUSED_PAD src0_sel:DWORD src1_sel:WORD_1
	v_add_u16_e32 v4, 0xf000, v4
	v_or_b32_sdwa v4, v6, v4 dst_sel:DWORD dst_unused:UNUSED_PAD src0_sel:DWORD src1_sel:BYTE_1
	v_add_u16_e32 v5, 0xf000, v5
	v_add_u16_sdwa v4, v4, s22 dst_sel:WORD_1 dst_unused:UNUSED_PAD src0_sel:DWORD src1_sel:DWORD
	v_or_b32_e32 v8, v5, v4
	v_lshrrev_b32_e32 v4, 4, v13
	v_and_b32_e32 v9, 0xf0f0f0f, v4
	v_lshrrev_b32_e32 v4, 12, v3
	v_and_b32_e32 v10, 16, v4
	v_add_co_u32_e32 v4, vcc, s14, v66
	v_addc_co_u32_e32 v5, vcc, v65, v2, vcc
	v_add_co_u32_e32 v6, vcc, s14, v68
	v_addc_co_u32_e32 v7, vcc, v67, v2, vcc
	global_load_dword v12, v[6:7], off
	global_load_dword v13, v[4:5], off offset:6
	v_lshrrev_b32_e32 v11, 5, v3
	v_lshlrev_b32_e32 v5, 2, v3
	v_and_b32_e32 v4, 0x1000, v11
	v_and_b32_e32 v5, 0x100000, v5
	v_lshlrev_b32_e32 v3, 9, v3
	v_and_b32_e32 v3, 0x10000000, v3
	v_or3_b32 v4, v4, v10, v5
	v_or3_b32 v3, v4, v3, v9
	v_lshlrev_b16_e32 v5, 8, v3
	v_and_b32_e32 v4, 0x1f00, v3
	v_add_i16 v5, v5, s22 clamp
	v_or_b32_sdwa v4, v4, v5 dst_sel:DWORD dst_unused:UNUSED_PAD src0_sel:DWORD src1_sel:BYTE_1
	v_and_b32_sdwa v5, v3, s23 dst_sel:DWORD dst_unused:UNUSED_PAD src0_sel:WORD_1 src1_sel:DWORD
	v_add_i16 v5, v5, s22 clamp
	v_lshlrev_b16_sdwa v3, v140, v3 dst_sel:DWORD dst_unused:UNUSED_PAD src0_sel:DWORD src1_sel:WORD_1
	v_and_b32_e32 v5, 0xffffff00, v5
	v_add_i16 v3, v3, s22 clamp
	v_add_u16_e32 v4, 0xf000, v4
	v_or_b32_sdwa v3, v3, v5 dst_sel:WORD_1 dst_unused:UNUSED_PAD src0_sel:BYTE_1 src1_sel:DWORD
	v_or_b32_e32 v3, v4, v3
	ds_write2_b32 v114, v8, v3 offset1:1
	s_waitcnt vmcnt(3)
	v_ashrrev_i32_e32 v3, v105, v14
	v_lshlrev_b32_e32 v5, 4, v3
	v_lshlrev_b32_e32 v6, 11, v3
	s_waitcnt vmcnt(2)
	v_and_b32_e32 v4, 0xf0f0f0f, v15
	v_and_b32_e32 v5, 16, v5
	;; [unrolled: 1-line block ×3, first 2 shown]
	v_or3_b32 v5, v5, v4, v6
	v_lshlrev_b32_e32 v6, 18, v3
	v_lshlrev_b32_e32 v7, 25, v3
	v_and_b32_e32 v6, 0x100000, v6
	v_and_b32_e32 v7, 0x10000000, v7
	v_or3_b32 v4, v4, v6, v7
	v_and_b32_e32 v6, 0x1f00, v5
	v_lshlrev_b16_e32 v5, 8, v5
	v_add_u16_e32 v5, 0xf000, v5
	v_or_b32_sdwa v5, v6, v5 dst_sel:DWORD dst_unused:UNUSED_PAD src0_sel:DWORD src1_sel:BYTE_1
	v_and_b32_sdwa v6, v4, s21 dst_sel:DWORD dst_unused:UNUSED_PAD src0_sel:WORD_1 src1_sel:DWORD
	v_lshlrev_b16_sdwa v4, v140, v4 dst_sel:DWORD dst_unused:UNUSED_PAD src0_sel:DWORD src1_sel:WORD_1
	v_add_u16_e32 v4, 0xf000, v4
	v_or_b32_sdwa v4, v6, v4 dst_sel:DWORD dst_unused:UNUSED_PAD src0_sel:DWORD src1_sel:BYTE_1
	v_add_u16_e32 v5, 0xf000, v5
	v_add_u16_sdwa v4, v4, s22 dst_sel:WORD_1 dst_unused:UNUSED_PAD src0_sel:DWORD src1_sel:DWORD
	v_or_b32_e32 v8, v5, v4
	v_lshrrev_b32_e32 v4, 4, v15
	v_and_b32_e32 v9, 0xf0f0f0f, v4
	v_lshrrev_b32_e32 v4, 12, v3
	v_and_b32_e32 v10, 16, v4
	v_add_co_u32_e32 v4, vcc, s14, v70
	v_addc_co_u32_e32 v5, vcc, v69, v2, vcc
	v_add_co_u32_e32 v6, vcc, s14, v72
	v_addc_co_u32_e32 v7, vcc, v71, v2, vcc
	v_lshrrev_b32_e32 v11, 5, v3
	global_load_dword v14, v[6:7], off
	global_load_dword v15, v[4:5], off offset:6
	v_lshlrev_b32_e32 v5, 2, v3
	v_and_b32_e32 v4, 0x1000, v11
	v_and_b32_e32 v5, 0x100000, v5
	v_lshlrev_b32_e32 v3, 9, v3
	v_and_b32_e32 v3, 0x10000000, v3
	v_or3_b32 v4, v4, v10, v5
	v_or3_b32 v3, v4, v3, v9
	v_lshlrev_b16_e32 v5, 8, v3
	v_and_b32_e32 v4, 0x1f00, v3
	v_add_i16 v5, v5, s22 clamp
	v_or_b32_sdwa v4, v4, v5 dst_sel:DWORD dst_unused:UNUSED_PAD src0_sel:DWORD src1_sel:BYTE_1
	v_and_b32_sdwa v5, v3, s23 dst_sel:DWORD dst_unused:UNUSED_PAD src0_sel:WORD_1 src1_sel:DWORD
	v_add_i16 v5, v5, s22 clamp
	v_lshlrev_b16_sdwa v3, v140, v3 dst_sel:DWORD dst_unused:UNUSED_PAD src0_sel:DWORD src1_sel:WORD_1
	v_and_b32_e32 v5, 0xffffff00, v5
	v_add_i16 v3, v3, s22 clamp
	v_add_u16_e32 v4, 0xf000, v4
	v_or_b32_sdwa v3, v3, v5 dst_sel:WORD_1 dst_unused:UNUSED_PAD src0_sel:BYTE_1 src1_sel:DWORD
	v_or_b32_e32 v3, v4, v3
	ds_write2_b32 v115, v8, v3 offset1:1
	s_waitcnt vmcnt(3)
	v_ashrrev_i32_e32 v3, v105, v12
	v_lshlrev_b32_e32 v5, 4, v3
	v_lshlrev_b32_e32 v6, 11, v3
	s_waitcnt vmcnt(2)
	v_and_b32_e32 v4, 0xf0f0f0f, v13
	v_and_b32_e32 v5, 16, v5
	;; [unrolled: 1-line block ×3, first 2 shown]
	v_or3_b32 v5, v5, v4, v6
	v_lshlrev_b32_e32 v6, 18, v3
	v_lshlrev_b32_e32 v7, 25, v3
	v_and_b32_e32 v6, 0x100000, v6
	v_and_b32_e32 v7, 0x10000000, v7
	v_or3_b32 v4, v4, v6, v7
	v_and_b32_e32 v6, 0x1f00, v5
	v_lshlrev_b16_e32 v5, 8, v5
	v_add_u16_e32 v5, 0xf000, v5
	v_or_b32_sdwa v5, v6, v5 dst_sel:DWORD dst_unused:UNUSED_PAD src0_sel:DWORD src1_sel:BYTE_1
	v_and_b32_sdwa v6, v4, s21 dst_sel:DWORD dst_unused:UNUSED_PAD src0_sel:WORD_1 src1_sel:DWORD
	v_lshlrev_b16_sdwa v4, v140, v4 dst_sel:DWORD dst_unused:UNUSED_PAD src0_sel:DWORD src1_sel:WORD_1
	v_add_u16_e32 v4, 0xf000, v4
	v_or_b32_sdwa v4, v6, v4 dst_sel:DWORD dst_unused:UNUSED_PAD src0_sel:DWORD src1_sel:BYTE_1
	v_add_u16_e32 v5, 0xf000, v5
	v_add_u16_sdwa v4, v4, s22 dst_sel:WORD_1 dst_unused:UNUSED_PAD src0_sel:DWORD src1_sel:DWORD
	v_or_b32_e32 v8, v5, v4
	v_lshrrev_b32_e32 v4, 4, v13
	v_and_b32_e32 v9, 0xf0f0f0f, v4
	v_lshrrev_b32_e32 v4, 12, v3
	v_and_b32_e32 v10, 16, v4
	v_add_co_u32_e32 v4, vcc, s14, v74
	v_addc_co_u32_e32 v5, vcc, v73, v2, vcc
	v_add_co_u32_e32 v6, vcc, s14, v76
	v_addc_co_u32_e32 v7, vcc, v75, v2, vcc
	global_load_dword v12, v[6:7], off
	global_load_dword v13, v[4:5], off offset:6
	v_lshrrev_b32_e32 v11, 5, v3
	v_lshlrev_b32_e32 v5, 2, v3
	v_and_b32_e32 v4, 0x1000, v11
	v_and_b32_e32 v5, 0x100000, v5
	v_lshlrev_b32_e32 v3, 9, v3
	v_and_b32_e32 v3, 0x10000000, v3
	v_or3_b32 v4, v4, v10, v5
	v_or3_b32 v3, v4, v3, v9
	v_lshlrev_b16_e32 v5, 8, v3
	v_and_b32_e32 v4, 0x1f00, v3
	v_add_i16 v5, v5, s22 clamp
	v_or_b32_sdwa v4, v4, v5 dst_sel:DWORD dst_unused:UNUSED_PAD src0_sel:DWORD src1_sel:BYTE_1
	v_and_b32_sdwa v5, v3, s23 dst_sel:DWORD dst_unused:UNUSED_PAD src0_sel:WORD_1 src1_sel:DWORD
	v_add_i16 v5, v5, s22 clamp
	v_lshlrev_b16_sdwa v3, v140, v3 dst_sel:DWORD dst_unused:UNUSED_PAD src0_sel:DWORD src1_sel:WORD_1
	v_and_b32_e32 v5, 0xffffff00, v5
	v_add_i16 v3, v3, s22 clamp
	v_add_u16_e32 v4, 0xf000, v4
	v_or_b32_sdwa v3, v3, v5 dst_sel:WORD_1 dst_unused:UNUSED_PAD src0_sel:BYTE_1 src1_sel:DWORD
	v_or_b32_e32 v3, v4, v3
	ds_write2_b32 v116, v8, v3 offset1:1
	s_waitcnt vmcnt(3)
	v_ashrrev_i32_e32 v3, v105, v14
	v_lshlrev_b32_e32 v5, 4, v3
	v_lshlrev_b32_e32 v6, 11, v3
	s_waitcnt vmcnt(2)
	v_and_b32_e32 v4, 0xf0f0f0f, v15
	v_and_b32_e32 v5, 16, v5
	;; [unrolled: 1-line block ×3, first 2 shown]
	v_or3_b32 v5, v5, v4, v6
	v_lshlrev_b32_e32 v6, 18, v3
	v_lshlrev_b32_e32 v7, 25, v3
	v_and_b32_e32 v6, 0x100000, v6
	v_and_b32_e32 v7, 0x10000000, v7
	v_or3_b32 v4, v4, v6, v7
	v_and_b32_e32 v6, 0x1f00, v5
	v_lshlrev_b16_e32 v5, 8, v5
	v_add_u16_e32 v5, 0xf000, v5
	v_or_b32_sdwa v5, v6, v5 dst_sel:DWORD dst_unused:UNUSED_PAD src0_sel:DWORD src1_sel:BYTE_1
	v_and_b32_sdwa v6, v4, s21 dst_sel:DWORD dst_unused:UNUSED_PAD src0_sel:WORD_1 src1_sel:DWORD
	v_lshlrev_b16_sdwa v4, v140, v4 dst_sel:DWORD dst_unused:UNUSED_PAD src0_sel:DWORD src1_sel:WORD_1
	v_add_u16_e32 v4, 0xf000, v4
	v_or_b32_sdwa v4, v6, v4 dst_sel:DWORD dst_unused:UNUSED_PAD src0_sel:DWORD src1_sel:BYTE_1
	v_add_u16_e32 v5, 0xf000, v5
	v_add_u16_sdwa v4, v4, s22 dst_sel:WORD_1 dst_unused:UNUSED_PAD src0_sel:DWORD src1_sel:DWORD
	v_or_b32_e32 v8, v5, v4
	v_lshrrev_b32_e32 v4, 4, v15
	v_and_b32_e32 v9, 0xf0f0f0f, v4
	v_lshrrev_b32_e32 v4, 12, v3
	v_and_b32_e32 v10, 16, v4
	v_add_co_u32_e32 v4, vcc, s14, v78
	v_addc_co_u32_e32 v5, vcc, v77, v2, vcc
	v_add_co_u32_e32 v6, vcc, s14, v80
	v_addc_co_u32_e32 v7, vcc, v79, v2, vcc
	v_lshrrev_b32_e32 v11, 5, v3
	global_load_dword v14, v[6:7], off
	global_load_dword v15, v[4:5], off offset:6
	v_lshlrev_b32_e32 v5, 2, v3
	v_and_b32_e32 v4, 0x1000, v11
	v_and_b32_e32 v5, 0x100000, v5
	v_lshlrev_b32_e32 v3, 9, v3
	v_and_b32_e32 v3, 0x10000000, v3
	v_or3_b32 v4, v4, v10, v5
	v_or3_b32 v3, v4, v3, v9
	v_lshlrev_b16_e32 v5, 8, v3
	v_and_b32_e32 v4, 0x1f00, v3
	v_add_i16 v5, v5, s22 clamp
	v_or_b32_sdwa v4, v4, v5 dst_sel:DWORD dst_unused:UNUSED_PAD src0_sel:DWORD src1_sel:BYTE_1
	v_and_b32_sdwa v5, v3, s23 dst_sel:DWORD dst_unused:UNUSED_PAD src0_sel:WORD_1 src1_sel:DWORD
	v_add_i16 v5, v5, s22 clamp
	v_lshlrev_b16_sdwa v3, v140, v3 dst_sel:DWORD dst_unused:UNUSED_PAD src0_sel:DWORD src1_sel:WORD_1
	v_and_b32_e32 v5, 0xffffff00, v5
	v_add_i16 v3, v3, s22 clamp
	v_add_u16_e32 v4, 0xf000, v4
	v_or_b32_sdwa v3, v3, v5 dst_sel:WORD_1 dst_unused:UNUSED_PAD src0_sel:BYTE_1 src1_sel:DWORD
	v_or_b32_e32 v3, v4, v3
	ds_write2_b32 v117, v8, v3 offset1:1
	s_waitcnt vmcnt(3)
	v_ashrrev_i32_e32 v3, v105, v12
	v_lshlrev_b32_e32 v5, 4, v3
	v_lshlrev_b32_e32 v6, 11, v3
	s_waitcnt vmcnt(2)
	v_and_b32_e32 v4, 0xf0f0f0f, v13
	v_and_b32_e32 v5, 16, v5
	;; [unrolled: 1-line block ×3, first 2 shown]
	v_or3_b32 v5, v5, v4, v6
	v_lshlrev_b32_e32 v6, 18, v3
	v_lshlrev_b32_e32 v7, 25, v3
	v_and_b32_e32 v6, 0x100000, v6
	v_and_b32_e32 v7, 0x10000000, v7
	v_or3_b32 v4, v4, v6, v7
	v_and_b32_e32 v6, 0x1f00, v5
	v_lshlrev_b16_e32 v5, 8, v5
	v_add_u16_e32 v5, 0xf000, v5
	v_or_b32_sdwa v5, v6, v5 dst_sel:DWORD dst_unused:UNUSED_PAD src0_sel:DWORD src1_sel:BYTE_1
	v_and_b32_sdwa v6, v4, s21 dst_sel:DWORD dst_unused:UNUSED_PAD src0_sel:WORD_1 src1_sel:DWORD
	v_lshlrev_b16_sdwa v4, v140, v4 dst_sel:DWORD dst_unused:UNUSED_PAD src0_sel:DWORD src1_sel:WORD_1
	v_add_u16_e32 v4, 0xf000, v4
	v_or_b32_sdwa v4, v6, v4 dst_sel:DWORD dst_unused:UNUSED_PAD src0_sel:DWORD src1_sel:BYTE_1
	v_add_u16_e32 v5, 0xf000, v5
	v_add_u16_sdwa v4, v4, s22 dst_sel:WORD_1 dst_unused:UNUSED_PAD src0_sel:DWORD src1_sel:DWORD
	v_or_b32_e32 v8, v5, v4
	v_lshrrev_b32_e32 v4, 4, v13
	v_and_b32_e32 v9, 0xf0f0f0f, v4
	v_lshrrev_b32_e32 v4, 12, v3
	v_and_b32_e32 v10, 16, v4
	v_add_co_u32_e32 v4, vcc, s14, v82
	v_addc_co_u32_e32 v5, vcc, v81, v2, vcc
	v_add_co_u32_e32 v6, vcc, s14, v84
	v_addc_co_u32_e32 v7, vcc, v83, v2, vcc
	global_load_dword v12, v[6:7], off
	global_load_dword v13, v[4:5], off offset:6
	v_lshrrev_b32_e32 v11, 5, v3
	v_lshlrev_b32_e32 v5, 2, v3
	v_and_b32_e32 v4, 0x1000, v11
	v_and_b32_e32 v5, 0x100000, v5
	v_lshlrev_b32_e32 v3, 9, v3
	v_and_b32_e32 v3, 0x10000000, v3
	v_or3_b32 v4, v4, v10, v5
	v_or3_b32 v3, v4, v3, v9
	v_lshlrev_b16_e32 v5, 8, v3
	v_and_b32_e32 v4, 0x1f00, v3
	v_add_i16 v5, v5, s22 clamp
	v_or_b32_sdwa v4, v4, v5 dst_sel:DWORD dst_unused:UNUSED_PAD src0_sel:DWORD src1_sel:BYTE_1
	v_and_b32_sdwa v5, v3, s23 dst_sel:DWORD dst_unused:UNUSED_PAD src0_sel:WORD_1 src1_sel:DWORD
	v_add_i16 v5, v5, s22 clamp
	v_lshlrev_b16_sdwa v3, v140, v3 dst_sel:DWORD dst_unused:UNUSED_PAD src0_sel:DWORD src1_sel:WORD_1
	v_and_b32_e32 v5, 0xffffff00, v5
	v_add_i16 v3, v3, s22 clamp
	v_add_u16_e32 v4, 0xf000, v4
	v_or_b32_sdwa v3, v3, v5 dst_sel:WORD_1 dst_unused:UNUSED_PAD src0_sel:BYTE_1 src1_sel:DWORD
	v_or_b32_e32 v3, v4, v3
	ds_write2_b32 v118, v8, v3 offset1:1
	s_waitcnt vmcnt(3)
	v_ashrrev_i32_e32 v3, v105, v14
	v_lshlrev_b32_e32 v5, 4, v3
	v_lshlrev_b32_e32 v6, 11, v3
	s_waitcnt vmcnt(2)
	v_and_b32_e32 v4, 0xf0f0f0f, v15
	v_and_b32_e32 v5, 16, v5
	;; [unrolled: 1-line block ×3, first 2 shown]
	v_or3_b32 v5, v5, v4, v6
	v_lshlrev_b32_e32 v6, 18, v3
	v_lshlrev_b32_e32 v7, 25, v3
	v_and_b32_e32 v6, 0x100000, v6
	v_and_b32_e32 v7, 0x10000000, v7
	v_or3_b32 v4, v4, v6, v7
	v_and_b32_e32 v6, 0x1f00, v5
	v_lshlrev_b16_e32 v5, 8, v5
	v_add_u16_e32 v5, 0xf000, v5
	v_or_b32_sdwa v5, v6, v5 dst_sel:DWORD dst_unused:UNUSED_PAD src0_sel:DWORD src1_sel:BYTE_1
	v_and_b32_sdwa v6, v4, s21 dst_sel:DWORD dst_unused:UNUSED_PAD src0_sel:WORD_1 src1_sel:DWORD
	v_lshlrev_b16_sdwa v4, v140, v4 dst_sel:DWORD dst_unused:UNUSED_PAD src0_sel:DWORD src1_sel:WORD_1
	v_add_u16_e32 v4, 0xf000, v4
	v_or_b32_sdwa v4, v6, v4 dst_sel:DWORD dst_unused:UNUSED_PAD src0_sel:DWORD src1_sel:BYTE_1
	v_add_u16_e32 v5, 0xf000, v5
	v_add_u16_sdwa v4, v4, s22 dst_sel:WORD_1 dst_unused:UNUSED_PAD src0_sel:DWORD src1_sel:DWORD
	v_or_b32_e32 v8, v5, v4
	v_lshrrev_b32_e32 v5, 12, v3
	v_lshrrev_b32_e32 v6, 5, v3
	v_lshlrev_b32_e32 v7, 2, v3
	v_lshrrev_b32_e32 v4, 4, v15
	v_and_b32_e32 v5, 16, v5
	v_and_b32_e32 v6, 0x1000, v6
	;; [unrolled: 1-line block ×3, first 2 shown]
	v_lshlrev_b32_e32 v3, 9, v3
	v_and_b32_e32 v4, 0xf0f0f0f, v4
	v_and_b32_e32 v3, 0x10000000, v3
	v_or3_b32 v5, v6, v5, v7
	v_or3_b32 v3, v5, v3, v4
	v_lshlrev_b16_e32 v4, 8, v3
	v_add_i16 v10, v4, s22 clamp
	v_add_co_u32_e32 v4, vcc, s14, v88
	v_addc_co_u32_e32 v5, vcc, v85, v2, vcc
	v_add_co_u32_e32 v6, vcc, s14, v92
	v_addc_co_u32_e32 v7, vcc, v89, v2, vcc
	global_load_dword v6, v[6:7], off
	s_nop 0
	global_load_dword v7, v[4:5], off offset:6
	v_and_b32_sdwa v5, v3, s23 dst_sel:DWORD dst_unused:UNUSED_PAD src0_sel:WORD_1 src1_sel:DWORD
	v_and_b32_e32 v9, 0x1f00, v3
	v_add_i16 v5, v5, s22 clamp
	v_lshlrev_b16_sdwa v3, v140, v3 dst_sel:DWORD dst_unused:UNUSED_PAD src0_sel:DWORD src1_sel:WORD_1
	v_or_b32_sdwa v4, v9, v10 dst_sel:DWORD dst_unused:UNUSED_PAD src0_sel:DWORD src1_sel:BYTE_1
	v_and_b32_e32 v5, 0xffffff00, v5
	v_add_i16 v3, v3, s22 clamp
	v_add_u16_e32 v4, 0xf000, v4
	v_or_b32_sdwa v3, v3, v5 dst_sel:WORD_1 dst_unused:UNUSED_PAD src0_sel:BYTE_1 src1_sel:DWORD
	v_or_b32_e32 v3, v4, v3
	ds_write2_b32 v119, v8, v3 offset1:1
	s_waitcnt vmcnt(3)
	v_ashrrev_i32_e32 v3, v105, v12
	v_lshlrev_b32_e32 v5, 4, v3
	v_lshlrev_b32_e32 v8, 11, v3
	s_waitcnt vmcnt(2)
	v_and_b32_e32 v4, 0xf0f0f0f, v13
	v_and_b32_e32 v5, 16, v5
	;; [unrolled: 1-line block ×3, first 2 shown]
	v_or3_b32 v5, v5, v4, v8
	v_lshlrev_b32_e32 v8, 18, v3
	v_lshlrev_b32_e32 v9, 25, v3
	v_and_b32_e32 v8, 0x100000, v8
	v_and_b32_e32 v9, 0x10000000, v9
	v_or3_b32 v4, v4, v8, v9
	v_and_b32_e32 v8, 0x1f00, v5
	v_lshlrev_b16_e32 v5, 8, v5
	v_add_u16_e32 v5, 0xf000, v5
	v_or_b32_sdwa v5, v8, v5 dst_sel:DWORD dst_unused:UNUSED_PAD src0_sel:DWORD src1_sel:BYTE_1
	v_add_u16_e32 v8, 0xf000, v5
	v_and_b32_sdwa v5, v4, s21 dst_sel:DWORD dst_unused:UNUSED_PAD src0_sel:WORD_1 src1_sel:DWORD
	v_lshlrev_b16_sdwa v4, v140, v4 dst_sel:DWORD dst_unused:UNUSED_PAD src0_sel:DWORD src1_sel:WORD_1
	v_add_u16_e32 v4, 0xf000, v4
	v_or_b32_sdwa v4, v5, v4 dst_sel:DWORD dst_unused:UNUSED_PAD src0_sel:DWORD src1_sel:BYTE_1
	v_add_u16_sdwa v9, v4, s22 dst_sel:WORD_1 dst_unused:UNUSED_PAD src0_sel:DWORD src1_sel:DWORD
	v_add_co_u32_e32 v4, vcc, s14, v94
	v_addc_co_u32_e32 v5, vcc, v93, v2, vcc
	global_load_ushort v10, v[4:5], off
	v_add_co_u32_e32 v4, vcc, s14, v96
	v_addc_co_u32_e32 v5, vcc, v95, v2, vcc
	global_load_ushort v11, v[4:5], off
	;; [unrolled: 3-line block ×4, first 2 shown]
	v_or_b32_e32 v4, v8, v9
	v_lshrrev_b32_e32 v5, 4, v13
	v_lshrrev_b32_e32 v8, 12, v3
	v_lshrrev_b32_e32 v9, 5, v3
	v_lshlrev_b32_e32 v13, 2, v3
	v_and_b32_e32 v8, 16, v8
	v_and_b32_e32 v9, 0x1000, v9
	;; [unrolled: 1-line block ×3, first 2 shown]
	v_lshlrev_b32_e32 v3, 9, v3
	v_and_b32_e32 v5, 0xf0f0f0f, v5
	v_and_b32_e32 v3, 0x10000000, v3
	v_or3_b32 v8, v9, v8, v13
	v_or3_b32 v3, v8, v3, v5
	v_lshlrev_b16_e32 v8, 8, v3
	v_and_b32_e32 v5, 0x1f00, v3
	v_add_i16 v8, v8, s22 clamp
	v_or_b32_sdwa v5, v5, v8 dst_sel:DWORD dst_unused:UNUSED_PAD src0_sel:DWORD src1_sel:BYTE_1
	v_and_b32_sdwa v8, v3, s23 dst_sel:DWORD dst_unused:UNUSED_PAD src0_sel:WORD_1 src1_sel:DWORD
	v_add_i16 v8, v8, s22 clamp
	v_lshlrev_b16_sdwa v3, v140, v3 dst_sel:DWORD dst_unused:UNUSED_PAD src0_sel:DWORD src1_sel:WORD_1
	v_and_b32_e32 v8, 0xffffff00, v8
	v_add_i16 v3, v3, s22 clamp
	v_add_u16_e32 v5, 0xf000, v5
	v_or_b32_sdwa v3, v3, v8 dst_sel:WORD_1 dst_unused:UNUSED_PAD src0_sel:BYTE_1 src1_sel:DWORD
	v_or_b32_e32 v3, v5, v3
	ds_write2_b32 v120, v4, v3 offset1:1
	s_waitcnt vmcnt(5)
	v_ashrrev_i32_e32 v3, v105, v6
	v_lshlrev_b32_e32 v5, 4, v3
	v_lshlrev_b32_e32 v6, 11, v3
	s_waitcnt vmcnt(4)
	v_and_b32_e32 v4, 0xf0f0f0f, v7
	v_and_b32_e32 v5, 16, v5
	;; [unrolled: 1-line block ×3, first 2 shown]
	v_or3_b32 v5, v5, v4, v6
	v_lshlrev_b32_e32 v6, 18, v3
	v_lshlrev_b32_e32 v8, 25, v3
	v_and_b32_e32 v6, 0x100000, v6
	v_and_b32_e32 v8, 0x10000000, v8
	v_or3_b32 v4, v4, v6, v8
	v_and_b32_e32 v6, 0x1f00, v5
	v_lshlrev_b16_e32 v5, 8, v5
	v_add_u16_e32 v5, 0xf000, v5
	v_or_b32_sdwa v5, v6, v5 dst_sel:DWORD dst_unused:UNUSED_PAD src0_sel:DWORD src1_sel:BYTE_1
	v_and_b32_sdwa v6, v4, s21 dst_sel:DWORD dst_unused:UNUSED_PAD src0_sel:WORD_1 src1_sel:DWORD
	v_lshlrev_b16_sdwa v4, v140, v4 dst_sel:DWORD dst_unused:UNUSED_PAD src0_sel:DWORD src1_sel:WORD_1
	v_add_u16_e32 v4, 0xf000, v4
	v_or_b32_sdwa v4, v6, v4 dst_sel:DWORD dst_unused:UNUSED_PAD src0_sel:DWORD src1_sel:BYTE_1
	v_add_u16_e32 v5, 0xf000, v5
	v_add_u16_sdwa v4, v4, s22 dst_sel:WORD_1 dst_unused:UNUSED_PAD src0_sel:DWORD src1_sel:DWORD
	v_or_b32_e32 v4, v5, v4
	v_lshrrev_b32_e32 v5, 4, v7
	v_lshrrev_b32_e32 v6, 12, v3
	;; [unrolled: 1-line block ×3, first 2 shown]
	v_lshlrev_b32_e32 v8, 2, v3
	v_and_b32_e32 v6, 16, v6
	v_and_b32_e32 v7, 0x1000, v7
	;; [unrolled: 1-line block ×3, first 2 shown]
	v_lshlrev_b32_e32 v3, 9, v3
	v_and_b32_e32 v5, 0xf0f0f0f, v5
	v_and_b32_e32 v3, 0x10000000, v3
	v_or3_b32 v6, v7, v6, v8
	v_or3_b32 v3, v6, v3, v5
	v_lshlrev_b16_e32 v6, 8, v3
	v_and_b32_e32 v5, 0x1f00, v3
	v_add_i16 v6, v6, s22 clamp
	v_or_b32_sdwa v5, v5, v6 dst_sel:DWORD dst_unused:UNUSED_PAD src0_sel:DWORD src1_sel:BYTE_1
	v_and_b32_sdwa v6, v3, s23 dst_sel:DWORD dst_unused:UNUSED_PAD src0_sel:WORD_1 src1_sel:DWORD
	v_add_i16 v6, v6, s22 clamp
	v_lshlrev_b16_sdwa v3, v140, v3 dst_sel:DWORD dst_unused:UNUSED_PAD src0_sel:DWORD src1_sel:WORD_1
	v_and_b32_e32 v6, 0xffffff00, v6
	v_add_i16 v3, v3, s22 clamp
	v_add_u16_e32 v5, 0xf000, v5
	v_or_b32_sdwa v3, v3, v6 dst_sel:WORD_1 dst_unused:UNUSED_PAD src0_sel:BYTE_1 src1_sel:DWORD
	v_or_b32_e32 v3, v5, v3
	s_waitcnt vmcnt(3)
	v_cvt_f32_f16_e32 v5, v10
	ds_write2_b32 v121, v4, v3 offset1:1
	s_waitcnt vmcnt(1)
	v_cvt_f32_f16_e32 v3, v12
	v_cvt_f32_f16_e32 v6, v11
	ds_write_b32 v136, v5
	ds_write_b32 v137, v6
	s_waitcnt vmcnt(0)
	v_cvt_f32_f16_e32 v2, v2
	ds_write_b32 v138, v3
	ds_write_b32 v139, v2
	s_cbranch_scc0 .LBB221_5
; %bb.7:                                ;   in Loop: Header=BB221_6 Depth=1
	v_add_u32_e32 v2, s19, v122
	v_cmp_gt_i32_e32 vcc, s9, v2
	s_and_b64 s[24:25], s[2:3], vcc
	s_and_saveexec_b64 s[4:5], s[24:25]
	s_cbranch_execz .LBB221_9
; %bb.8:                                ;   in Loop: Header=BB221_6 Depth=1
	v_add_u32_e32 v2, s19, v135
	v_mad_i64_i32 v[2:3], s[24:25], v2, 36, v[22:23]
	global_load_dword v2, v[2:3], off offset:4
	s_waitcnt vmcnt(0)
	ds_write_b32 v123, v2
.LBB221_9:                              ;   in Loop: Header=BB221_6 Depth=1
	s_or_b64 exec, exec, s[4:5]
	s_and_saveexec_b64 s[4:5], s[0:1]
	s_cbranch_execz .LBB221_12
; %bb.10:                               ;   in Loop: Header=BB221_6 Depth=1
	v_add_u32_e32 v2, s19, v104
	v_cmp_gt_i32_e32 vcc, s9, v2
	s_and_b64 s[24:25], s[2:3], vcc
	s_and_b64 exec, exec, s[24:25]
	s_cbranch_execz .LBB221_12
; %bb.11:                               ;   in Loop: Header=BB221_6 Depth=1
	v_add_u32_e32 v2, s19, v133
	v_mad_i64_i32 v[2:3], s[24:25], v2, 36, s[6:7]
	global_load_dword v2, v[2:3], off
	s_waitcnt vmcnt(0)
	v_cvt_f32_f16_e32 v2, v2
	ds_write_b32 v124, v2
.LBB221_12:                             ;   in Loop: Header=BB221_6 Depth=1
	s_or_b64 exec, exec, s[4:5]
	s_waitcnt lgkmcnt(0)
	s_barrier
	ds_read_b128 v[2:5], v126
	ds_read2_b32 v[102:103], v127 offset1:1
	ds_read_b128 v[14:17], v125
	ds_read_b128 v[18:21], v125 offset:16
	ds_read_b128 v[6:9], v125 offset:32
	;; [unrolled: 1-line block ×3, first 2 shown]
	ds_read2_b32 v[142:143], v127 offset0:2 offset1:3
	v_mov_b32_e32 v141, 0
	s_waitcnt lgkmcnt(4)
	v_dot4c_i32_i8_e32 v141, v102, v14
	s_waitcnt lgkmcnt(3)
	v_dot4c_i32_i8_e32 v141, v103, v18
	ds_read2_b32 v[102:103], v127 offset0:4 offset1:5
	ds_read2_b32 v[144:145], v127 offset0:6 offset1:7
	;; [unrolled: 1-line block ×3, first 2 shown]
	s_waitcnt lgkmcnt(3)
	v_dot4c_i32_i8_e32 v141, v142, v15
	v_dot4c_i32_i8_e32 v141, v143, v19
	s_waitcnt lgkmcnt(2)
	v_dot4c_i32_i8_e32 v141, v102, v16
	v_add_u32_e32 v102, 0x2080, v127
	ds_read2_b32 v[142:143], v102 offset1:1
	v_mov_b32_e32 v156, 0
	v_dot4c_i32_i8_e32 v141, v103, v20
	ds_read2_b32 v[102:103], v131 offset0:2 offset1:3
	s_waitcnt lgkmcnt(3)
	v_dot4c_i32_i8_e32 v141, v144, v17
	s_waitcnt lgkmcnt(1)
	v_dot4c_i32_i8_e32 v156, v142, v14
	v_add_u32_e32 v142, 0x2088, v127
	v_dot4c_i32_i8_e32 v156, v143, v18
	ds_read2_b32 v[142:143], v142 offset1:1
	v_add_u32_e32 v144, 0x2090, v127
	v_add_u32_e32 v148, 0x2098, v127
	;; [unrolled: 1-line block ×3, first 2 shown]
	v_dot4c_i32_i8_e32 v141, v145, v21
	ds_read2_b32 v[144:145], v144 offset1:1
	ds_read2_b32 v[148:149], v148 offset1:1
	;; [unrolled: 1-line block ×3, first 2 shown]
	s_waitcnt lgkmcnt(3)
	v_dot4c_i32_i8_e32 v156, v142, v15
	v_dot4c_i32_i8_e32 v156, v143, v19
	s_waitcnt lgkmcnt(2)
	v_dot4c_i32_i8_e32 v156, v144, v16
	v_dot4c_i32_i8_e32 v156, v145, v20
	v_mov_b32_e32 v157, 0
	s_waitcnt lgkmcnt(1)
	v_dot4c_i32_i8_e32 v156, v148, v17
	s_waitcnt lgkmcnt(0)
	v_dot4c_i32_i8_e32 v157, v150, v14
	v_add_u32_e32 v142, 0x4108, v127
	v_add_u32_e32 v144, 0x4110, v127
	;; [unrolled: 1-line block ×4, first 2 shown]
	v_dot4c_i32_i8_e32 v156, v149, v21
	v_dot4c_i32_i8_e32 v157, v151, v18
	ds_read2_b32 v[142:143], v142 offset1:1
	ds_read2_b32 v[144:145], v144 offset1:1
	;; [unrolled: 1-line block ×4, first 2 shown]
	v_mov_b32_e32 v158, 0
	v_mov_b32_e32 v159, 0
	v_dot4c_i32_i8_e32 v159, v146, v6
	s_waitcnt lgkmcnt(3)
	v_dot4c_i32_i8_e32 v157, v142, v15
	s_waitcnt lgkmcnt(0)
	v_dot4c_i32_i8_e32 v158, v150, v14
	v_add_u32_e32 v14, 0x6188, v127
	v_dot4c_i32_i8_e32 v157, v143, v19
	ds_read2_b32 v[142:143], v14 offset1:1
	v_dot4c_i32_i8_e32 v157, v144, v16
	v_dot4c_i32_i8_e32 v157, v145, v20
	;; [unrolled: 1-line block ×4, first 2 shown]
	v_add_u32_e32 v18, 0x6190, v127
	v_add_u32_e32 v148, 0x6198, v127
	v_dot4c_i32_i8_e32 v157, v149, v21
	v_add_u32_e32 v14, 0x20a0, v127
	ds_read2_b32 v[144:145], v18 offset1:1
	ds_read2_b32 v[148:149], v148 offset1:1
	;; [unrolled: 1-line block ×3, first 2 shown]
	s_waitcnt lgkmcnt(3)
	v_dot4c_i32_i8_e32 v158, v142, v15
	v_dot4c_i32_i8_e32 v158, v143, v19
	ds_read2_b32 v[14:15], v127 offset0:10 offset1:11
	s_waitcnt lgkmcnt(3)
	v_dot4c_i32_i8_e32 v158, v144, v16
	v_dot4c_i32_i8_e32 v158, v145, v20
	s_waitcnt lgkmcnt(2)
	v_dot4c_i32_i8_e32 v158, v148, v17
	v_dot4c_i32_i8_e32 v158, v149, v21
	;; [unrolled: 1-line block ×3, first 2 shown]
	ds_read2_b32 v[16:17], v127 offset0:12 offset1:13
	ds_read2_b32 v[18:19], v127 offset0:14 offset1:15
	;; [unrolled: 1-line block ×3, first 2 shown]
	s_waitcnt lgkmcnt(3)
	v_dot4c_i32_i8_e32 v159, v14, v7
	v_add_u32_e32 v14, 0x20a8, v127
	v_dot4c_i32_i8_e32 v159, v15, v11
	ds_read2_b32 v[14:15], v14 offset1:1
	s_waitcnt lgkmcnt(3)
	v_dot4c_i32_i8_e32 v159, v16, v8
	v_dot4c_i32_i8_e32 v159, v17, v12
	v_mov_b32_e32 v160, 0
	s_waitcnt lgkmcnt(2)
	v_dot4c_i32_i8_e32 v159, v18, v9
	v_dot4c_i32_i8_e32 v160, v150, v6
	v_add_u32_e32 v16, 0x20b0, v127
	v_add_u32_e32 v18, 0x20b8, v127
	;; [unrolled: 1-line block ×3, first 2 shown]
	v_dot4c_i32_i8_e32 v159, v19, v13
	v_dot4c_i32_i8_e32 v160, v151, v10
	ds_read2_b32 v[16:17], v16 offset1:1
	ds_read2_b32 v[18:19], v18 offset1:1
	;; [unrolled: 1-line block ×3, first 2 shown]
	s_waitcnt lgkmcnt(3)
	v_dot4c_i32_i8_e32 v160, v14, v7
	v_dot4c_i32_i8_e32 v160, v15, v11
	s_waitcnt lgkmcnt(2)
	v_dot4c_i32_i8_e32 v160, v16, v8
	v_dot4c_i32_i8_e32 v160, v17, v12
	v_mov_b32_e32 v161, 0
	s_waitcnt lgkmcnt(1)
	v_dot4c_i32_i8_e32 v160, v18, v9
	s_waitcnt lgkmcnt(0)
	v_dot4c_i32_i8_e32 v161, v142, v6
	v_add_u32_e32 v14, 0x4128, v127
	v_add_u32_e32 v16, 0x4130, v127
	;; [unrolled: 1-line block ×4, first 2 shown]
	v_dot4c_i32_i8_e32 v160, v19, v13
	v_dot4c_i32_i8_e32 v161, v143, v10
	ds_read2_b32 v[14:15], v14 offset1:1
	ds_read2_b32 v[16:17], v16 offset1:1
	ds_read2_b32 v[18:19], v18 offset1:1
	ds_read2_b32 v[142:143], v142 offset1:1
	v_mov_b32_e32 v162, 0
	v_mov_b32_e32 v163, 0
	;; [unrolled: 1-line block ×3, first 2 shown]
	s_waitcnt lgkmcnt(3)
	v_dot4c_i32_i8_e32 v161, v14, v7
	s_waitcnt lgkmcnt(0)
	v_dot4c_i32_i8_e32 v162, v142, v6
	v_add_u32_e32 v6, 0x61a8, v127
	v_dot4c_i32_i8_e32 v161, v15, v11
	ds_read2_b32 v[14:15], v6 offset1:1
	v_dot4c_i32_i8_e32 v161, v16, v8
	v_dot4c_i32_i8_e32 v161, v17, v12
	;; [unrolled: 1-line block ×4, first 2 shown]
	v_add_u32_e32 v10, 0x61b0, v127
	v_add_u32_e32 v18, 0x61b8, v127
	v_dot4c_i32_i8_e32 v161, v19, v13
	v_add_u32_e32 v6, 0x20c0, v127
	ds_read2_b32 v[16:17], v10 offset1:1
	ds_read2_b32 v[18:19], v18 offset1:1
	;; [unrolled: 1-line block ×3, first 2 shown]
	s_waitcnt lgkmcnt(3)
	v_dot4c_i32_i8_e32 v162, v14, v7
	v_dot4c_i32_i8_e32 v162, v15, v11
	s_waitcnt lgkmcnt(2)
	v_dot4c_i32_i8_e32 v162, v16, v8
	v_dot4c_i32_i8_e32 v162, v17, v12
	;; [unrolled: 3-line block ×3, first 2 shown]
	ds_read_b128 v[8:11], v125 offset:64
	ds_read_b128 v[12:15], v125 offset:80
	ds_read2_b32 v[6:7], v130 offset1:1
	ds_read2_b32 v[144:145], v129 offset0:2 offset1:3
	ds_read2_b32 v[146:147], v129 offset1:1
	ds_read2_b32 v[148:149], v128 offset0:2 offset1:3
	ds_read2_b32 v[16:17], v127 offset0:18 offset1:19
	s_waitcnt lgkmcnt(6)
	v_dot4c_i32_i8_e32 v163, v20, v8
	s_waitcnt lgkmcnt(5)
	v_dot4c_i32_i8_e32 v163, v21, v12
	ds_read2_b32 v[18:19], v127 offset0:20 offset1:21
	ds_read2_b32 v[20:21], v127 offset0:22 offset1:23
	;; [unrolled: 1-line block ×3, first 2 shown]
	v_dot4c_i32_i8_e32 v164, v142, v8
	s_waitcnt lgkmcnt(3)
	v_dot4c_i32_i8_e32 v163, v16, v9
	v_add_u32_e32 v16, 0x20c8, v127
	v_dot4c_i32_i8_e32 v163, v17, v13
	ds_read2_b32 v[16:17], v16 offset1:1
	s_waitcnt lgkmcnt(3)
	v_dot4c_i32_i8_e32 v163, v18, v10
	v_dot4c_i32_i8_e32 v163, v19, v14
	s_waitcnt lgkmcnt(2)
	v_dot4c_i32_i8_e32 v163, v20, v11
	v_add_u32_e32 v18, 0x20d0, v127
	v_add_u32_e32 v20, 0x20d8, v127
	;; [unrolled: 1-line block ×3, first 2 shown]
	v_dot4c_i32_i8_e32 v163, v21, v15
	v_dot4c_i32_i8_e32 v164, v143, v12
	ds_read2_b32 v[18:19], v18 offset1:1
	ds_read2_b32 v[20:21], v20 offset1:1
	;; [unrolled: 1-line block ×3, first 2 shown]
	s_waitcnt lgkmcnt(3)
	v_dot4c_i32_i8_e32 v164, v16, v9
	v_dot4c_i32_i8_e32 v164, v17, v13
	s_waitcnt lgkmcnt(2)
	v_dot4c_i32_i8_e32 v164, v18, v10
	v_dot4c_i32_i8_e32 v164, v19, v14
	v_mov_b32_e32 v165, 0
	s_waitcnt lgkmcnt(1)
	v_dot4c_i32_i8_e32 v164, v20, v11
	s_waitcnt lgkmcnt(0)
	v_dot4c_i32_i8_e32 v165, v142, v8
	v_add_u32_e32 v16, 0x4148, v127
	v_add_u32_e32 v18, 0x4150, v127
	;; [unrolled: 1-line block ×4, first 2 shown]
	v_dot4c_i32_i8_e32 v164, v21, v15
	ds_read2_b32 v[20:21], v131 offset1:1
	ds_read2_b32 v[152:153], v130 offset0:2 offset1:3
	v_dot4c_i32_i8_e32 v165, v143, v12
	ds_read2_b32 v[16:17], v16 offset1:1
	ds_read2_b32 v[18:19], v18 offset1:1
	;; [unrolled: 1-line block ×4, first 2 shown]
	v_mov_b32_e32 v166, 0
	v_mov_b32_e32 v167, 0
	;; [unrolled: 1-line block ×3, first 2 shown]
	s_waitcnt lgkmcnt(3)
	v_dot4c_i32_i8_e32 v165, v16, v9
	s_waitcnt lgkmcnt(0)
	v_dot4c_i32_i8_e32 v166, v154, v8
	v_add_u32_e32 v8, 0x61c8, v127
	v_dot4c_i32_i8_e32 v165, v17, v13
	ds_read2_b32 v[16:17], v8 offset1:1
	v_dot4c_i32_i8_e32 v165, v18, v10
	v_dot4c_i32_i8_e32 v165, v19, v14
	;; [unrolled: 1-line block ×4, first 2 shown]
	v_add_u32_e32 v12, 0x61d0, v127
	v_add_u32_e32 v142, 0x61d8, v127
	v_dot4c_i32_i8_e32 v165, v143, v15
	v_add_u32_e32 v8, 0x20e0, v127
	ds_read2_b32 v[18:19], v12 offset1:1
	ds_read2_b32 v[142:143], v142 offset1:1
	;; [unrolled: 1-line block ×3, first 2 shown]
	s_waitcnt lgkmcnt(3)
	v_dot4c_i32_i8_e32 v166, v16, v9
	v_dot4c_i32_i8_e32 v166, v17, v13
	s_waitcnt lgkmcnt(2)
	v_dot4c_i32_i8_e32 v166, v18, v10
	v_dot4c_i32_i8_e32 v166, v19, v14
	ds_read_b128 v[16:19], v125 offset:96
	s_waitcnt lgkmcnt(2)
	v_dot4c_i32_i8_e32 v166, v142, v11
	ds_read_b128 v[8:11], v125 offset:112
	ds_read2_b32 v[12:13], v127 offset0:26 offset1:27
	v_dot4c_i32_i8_e32 v166, v143, v15
	s_waitcnt lgkmcnt(2)
	v_dot4c_i32_i8_e32 v167, v150, v16
	v_dot4c_i32_i8_e32 v168, v154, v16
	s_waitcnt lgkmcnt(1)
	v_dot4c_i32_i8_e32 v167, v151, v8
	ds_read2_b32 v[14:15], v127 offset0:28 offset1:29
	ds_read2_b32 v[142:143], v128 offset1:1
	ds_read2_b32 v[150:151], v127 offset0:30 offset1:31
	s_waitcnt lgkmcnt(3)
	v_dot4c_i32_i8_e32 v167, v12, v17
	v_add_u32_e32 v12, 0x20e8, v127
	v_dot4c_i32_i8_e32 v167, v13, v9
	ds_read2_b32 v[12:13], v12 offset1:1
	s_waitcnt lgkmcnt(3)
	v_dot4c_i32_i8_e32 v167, v14, v18
	v_dot4c_i32_i8_e32 v167, v15, v10
	s_waitcnt lgkmcnt(1)
	v_dot4c_i32_i8_e32 v167, v150, v19
	v_add_u32_e32 v14, 0x20f0, v127
	v_add_u32_e32 v150, 0x20f8, v127
	;; [unrolled: 1-line block ×3, first 2 shown]
	v_dot4c_i32_i8_e32 v167, v151, v11
	v_dot4c_i32_i8_e32 v168, v155, v8
	ds_read2_b32 v[14:15], v14 offset1:1
	ds_read2_b32 v[150:151], v150 offset1:1
	;; [unrolled: 1-line block ×3, first 2 shown]
	s_waitcnt lgkmcnt(3)
	v_dot4c_i32_i8_e32 v168, v12, v17
	v_dot4c_i32_i8_e32 v168, v13, v9
	s_waitcnt lgkmcnt(2)
	v_dot4c_i32_i8_e32 v168, v14, v18
	v_dot4c_i32_i8_e32 v168, v15, v10
	s_waitcnt lgkmcnt(1)
	v_dot4c_i32_i8_e32 v168, v150, v19
	v_cvt_f32_i32_e32 v15, v156
	v_cvt_f32_i32_e32 v14, v141
	v_dot4c_i32_i8_e32 v168, v151, v11
	v_cvt_f32_i32_e32 v151, v160
	v_cvt_f32_i32_e32 v150, v159
	v_mov_b32_e32 v12, v142
	v_mov_b32_e32 v13, v146
	v_pk_mul_f32 v[12:13], v[2:3], v[12:13] op_sel_hi:[0,1]
	v_mov_b32_e32 v146, v143
	v_pk_fma_f32 v[12:13], v[12:13], v[14:15], v[90:91]
	v_pk_mul_f32 v[14:15], v[2:3], v[146:147] op_sel:[1,0]
	v_pk_fma_f32 v[12:13], v[14:15], v[150:151], v[12:13]
	v_cvt_f32_i32_e32 v15, v164
	v_cvt_f32_i32_e32 v14, v163
	v_mov_b32_e32 v90, v148
	v_mov_b32_e32 v91, v144
	v_pk_mul_f32 v[90:91], v[4:5], v[90:91] op_sel_hi:[0,1]
	v_pk_fma_f32 v[12:13], v[90:91], v[14:15], v[12:13]
	v_cvt_f32_i32_e32 v15, v168
	v_cvt_f32_i32_e32 v14, v167
	v_mov_b32_e32 v142, v5
	v_mov_b32_e32 v144, v149
	v_pk_mul_f32 v[90:91], v[142:143], v[144:145] op_sel_hi:[0,1]
	v_add_u32_e32 v5, 0x4168, v127
	v_pk_fma_f32 v[90:91], v[90:91], v[14:15], v[12:13]
	ds_read2_b32 v[12:13], v5 offset1:1
	v_mov_b32_e32 v141, 0
	s_waitcnt lgkmcnt(1)
	v_dot4c_i32_i8_e32 v141, v154, v16
	v_add_u32_e32 v14, 0x4170, v127
	v_dot4c_i32_i8_e32 v141, v155, v8
	v_add_u32_e32 v143, 0x4178, v127
	v_add_u32_e32 v5, 0x61e0, v127
	ds_read2_b32 v[14:15], v14 offset1:1
	ds_read2_b32 v[144:145], v143 offset1:1
	;; [unrolled: 1-line block ×3, first 2 shown]
	s_waitcnt lgkmcnt(3)
	v_dot4c_i32_i8_e32 v141, v12, v17
	v_add_u32_e32 v5, 0x61e8, v127
	v_dot4c_i32_i8_e32 v141, v13, v9
	ds_read2_b32 v[12:13], v5 offset1:1
	s_waitcnt lgkmcnt(3)
	v_dot4c_i32_i8_e32 v141, v14, v18
	v_add_u32_e32 v5, 0x61f0, v127
	v_dot4c_i32_i8_e32 v141, v15, v10
	v_mov_b32_e32 v143, 0
	ds_read2_b32 v[14:15], v5 offset1:1
	s_waitcnt lgkmcnt(3)
	v_dot4c_i32_i8_e32 v141, v144, v19
	s_waitcnt lgkmcnt(2)
	v_dot4c_i32_i8_e32 v143, v146, v16
	v_add_u32_e32 v5, 0x61f8, v127
	v_dot4c_i32_i8_e32 v141, v145, v11
	v_dot4c_i32_i8_e32 v143, v147, v8
	ds_read2_b32 v[144:145], v5 offset1:1
	s_waitcnt lgkmcnt(2)
	v_dot4c_i32_i8_e32 v143, v12, v17
	v_dot4c_i32_i8_e32 v143, v13, v9
	s_waitcnt lgkmcnt(1)
	v_dot4c_i32_i8_e32 v143, v14, v18
	v_dot4c_i32_i8_e32 v143, v15, v10
	;; [unrolled: 3-line block ×3, first 2 shown]
	v_cvt_f32_i32_e32 v11, v158
	v_cvt_f32_i32_e32 v10, v157
	v_cvt_f32_i32_e32 v13, v162
	v_cvt_f32_i32_e32 v12, v161
	v_mov_b32_e32 v8, v6
	v_mov_b32_e32 v9, v20
	v_pk_mul_f32 v[8:9], v[2:3], v[8:9] op_sel_hi:[0,1]
	v_mov_b32_e32 v20, v7
	v_pk_fma_f32 v[8:9], v[8:9], v[10:11], v[86:87]
	v_pk_mul_f32 v[2:3], v[2:3], v[20:21] op_sel:[1,0]
	v_pk_fma_f32 v[2:3], v[2:3], v[12:13], v[8:9]
	v_mov_b32_e32 v6, v152
	v_mov_b32_e32 v7, v102
	v_cvt_f32_i32_e32 v9, v166
	v_cvt_f32_i32_e32 v8, v165
	v_pk_mul_f32 v[4:5], v[4:5], v[6:7] op_sel_hi:[0,1]
	v_cvt_f32_i32_e32 v7, v143
	v_cvt_f32_i32_e32 v6, v141
	v_mov_b32_e32 v102, v153
	v_pk_fma_f32 v[2:3], v[4:5], v[8:9], v[2:3]
	v_pk_mul_f32 v[4:5], v[142:143], v[102:103] op_sel_hi:[0,1]
	v_pk_fma_f32 v[86:87], v[4:5], v[6:7], v[2:3]
	s_cmp_ge_i32 s20, s15
	s_barrier
	s_cbranch_scc1 .LBB221_5
; %bb.13:                               ;   in Loop: Header=BB221_6 Depth=1
	v_add_u32_e32 v2, s19, v132
	v_cmp_gt_i32_e32 vcc, s9, v2
	s_and_b64 s[24:25], s[2:3], vcc
	s_and_saveexec_b64 s[4:5], s[24:25]
	s_cbranch_execz .LBB221_15
; %bb.14:                               ;   in Loop: Header=BB221_6 Depth=1
	v_add_u32_e32 v2, s19, v134
	v_mad_i64_i32 v[2:3], s[24:25], v2, 36, v[22:23]
	global_load_dword v2, v[2:3], off offset:4
	s_waitcnt vmcnt(0)
	ds_write_b32 v123, v2
.LBB221_15:                             ;   in Loop: Header=BB221_6 Depth=1
	s_or_b64 exec, exec, s[4:5]
	s_and_saveexec_b64 s[4:5], s[0:1]
	s_cbranch_execz .LBB221_4
; %bb.16:                               ;   in Loop: Header=BB221_6 Depth=1
	v_add3_u32 v2, v104, s19, 4
	v_cmp_gt_i32_e32 vcc, s9, v2
	s_and_b64 s[24:25], s[2:3], vcc
	s_and_b64 exec, exec, s[24:25]
	s_cbranch_execz .LBB221_4
; %bb.17:                               ;   in Loop: Header=BB221_6 Depth=1
	global_load_dword v2, v[24:25], off
	s_waitcnt vmcnt(0)
	v_cvt_f32_f16_e32 v2, v2
	ds_write_b32 v124, v2
	s_branch .LBB221_4
.LBB221_18:
	v_mov_b32_e32 v86, v87
	v_mov_b32_e32 v91, v87
	;; [unrolled: 1-line block ×3, first 2 shown]
.LBB221_19:
	s_mul_i32 s0, s11, s8
	s_waitcnt vmcnt(0)
	v_cmp_gt_i32_e32 vcc, s0, v101
	s_and_saveexec_b64 s[0:1], vcc
	s_cbranch_execz .LBB221_28
; %bb.20:
	v_and_b32_e32 v0, 0x3ff, v0
	v_add_u32_e32 v1, s16, v0
	v_mul_lo_u32 v0, v101, s10
	v_cmp_gt_u32_e32 vcc, s10, v1
	s_and_saveexec_b64 s[0:1], vcc
	s_cbranch_execz .LBB221_22
; %bb.21:
	v_bfe_u32 v2, v90, 16, 1
	s_movk_i32 s2, 0x7fff
	v_add3_u32 v2, v90, v2, s2
	v_lshrrev_b32_e32 v2, 16, v2
	v_mov_b32_e32 v3, 0x7fc0
	v_cmp_o_f32_e32 vcc, v90, v90
	v_cndmask_b32_e32 v4, v3, v2, vcc
	v_add_u32_e32 v2, v0, v1
	v_mov_b32_e32 v3, 0
	v_lshlrev_b64 v[2:3], 1, v[2:3]
	v_mov_b32_e32 v5, s13
	v_add_co_u32_e32 v2, vcc, s12, v2
	v_addc_co_u32_e32 v3, vcc, v5, v3, vcc
	global_store_short v[2:3], v4, off
.LBB221_22:
	s_or_b64 exec, exec, s[0:1]
	v_add_u32_e32 v2, 32, v1
	v_cmp_gt_u32_e32 vcc, s10, v2
	s_and_saveexec_b64 s[0:1], vcc
	s_cbranch_execz .LBB221_24
; %bb.23:
	v_bfe_u32 v3, v91, 16, 1
	s_movk_i32 s2, 0x7fff
	v_add3_u32 v3, v91, v3, s2
	v_lshrrev_b32_e32 v3, 16, v3
	v_mov_b32_e32 v4, 0x7fc0
	v_cmp_o_f32_e32 vcc, v91, v91
	v_cndmask_b32_e32 v4, v4, v3, vcc
	v_add_u32_e32 v2, v0, v2
	v_mov_b32_e32 v3, 0
	v_lshlrev_b64 v[2:3], 1, v[2:3]
	v_mov_b32_e32 v5, s13
	v_add_co_u32_e32 v2, vcc, s12, v2
	v_addc_co_u32_e32 v3, vcc, v5, v3, vcc
	global_store_short v[2:3], v4, off
.LBB221_24:
	s_or_b64 exec, exec, s[0:1]
	v_add_u32_e32 v2, 64, v1
	;; [unrolled: 21-line block ×3, first 2 shown]
	v_cmp_gt_u32_e32 vcc, s10, v1
	s_and_b64 exec, exec, vcc
	s_cbranch_execz .LBB221_28
; %bb.27:
	v_bfe_u32 v2, v87, 16, 1
	s_movk_i32 s0, 0x7fff
	v_add3_u32 v2, v87, v2, s0
	v_add_u32_e32 v0, v0, v1
	v_mov_b32_e32 v1, 0
	v_lshrrev_b32_e32 v2, 16, v2
	v_mov_b32_e32 v3, 0x7fc0
	v_cmp_o_f32_e32 vcc, v87, v87
	v_lshlrev_b64 v[0:1], 1, v[0:1]
	v_cndmask_b32_e32 v2, v3, v2, vcc
	v_mov_b32_e32 v3, s13
	v_add_co_u32_e32 v0, vcc, s12, v0
	v_addc_co_u32_e32 v1, vcc, v3, v1, vcc
	global_store_short v[0:1], v2, off
.LBB221_28:
	s_endpgm
	.section	.rodata,"a",@progbits
	.p2align	6, 0x0
	.amdhsa_kernel _ZL8moe_q5_0IN3c108BFloat16ELb0EEvPKvS3_PT_PKiS7_S7_iiiiiii
		.amdhsa_group_segment_fixed_size 38656
		.amdhsa_private_segment_fixed_size 0
		.amdhsa_kernarg_size 76
		.amdhsa_user_sgpr_count 6
		.amdhsa_user_sgpr_private_segment_buffer 1
		.amdhsa_user_sgpr_dispatch_ptr 0
		.amdhsa_user_sgpr_queue_ptr 0
		.amdhsa_user_sgpr_kernarg_segment_ptr 1
		.amdhsa_user_sgpr_dispatch_id 0
		.amdhsa_user_sgpr_flat_scratch_init 0
		.amdhsa_user_sgpr_kernarg_preload_length 0
		.amdhsa_user_sgpr_kernarg_preload_offset 0
		.amdhsa_user_sgpr_private_segment_size 0
		.amdhsa_uses_dynamic_stack 0
		.amdhsa_system_sgpr_private_segment_wavefront_offset 0
		.amdhsa_system_sgpr_workgroup_id_x 1
		.amdhsa_system_sgpr_workgroup_id_y 1
		.amdhsa_system_sgpr_workgroup_id_z 0
		.amdhsa_system_sgpr_workgroup_info 0
		.amdhsa_system_vgpr_workitem_id 1
		.amdhsa_next_free_vgpr 169
		.amdhsa_next_free_sgpr 26
		.amdhsa_accum_offset 172
		.amdhsa_reserve_vcc 1
		.amdhsa_reserve_flat_scratch 0
		.amdhsa_float_round_mode_32 0
		.amdhsa_float_round_mode_16_64 0
		.amdhsa_float_denorm_mode_32 3
		.amdhsa_float_denorm_mode_16_64 3
		.amdhsa_dx10_clamp 1
		.amdhsa_ieee_mode 1
		.amdhsa_fp16_overflow 0
		.amdhsa_tg_split 0
		.amdhsa_exception_fp_ieee_invalid_op 0
		.amdhsa_exception_fp_denorm_src 0
		.amdhsa_exception_fp_ieee_div_zero 0
		.amdhsa_exception_fp_ieee_overflow 0
		.amdhsa_exception_fp_ieee_underflow 0
		.amdhsa_exception_fp_ieee_inexact 0
		.amdhsa_exception_int_div_zero 0
	.end_amdhsa_kernel
	.section	.text._ZL8moe_q5_0IN3c108BFloat16ELb0EEvPKvS3_PT_PKiS7_S7_iiiiiii,"axG",@progbits,_ZL8moe_q5_0IN3c108BFloat16ELb0EEvPKvS3_PT_PKiS7_S7_iiiiiii,comdat
.Lfunc_end221:
	.size	_ZL8moe_q5_0IN3c108BFloat16ELb0EEvPKvS3_PT_PKiS7_S7_iiiiiii, .Lfunc_end221-_ZL8moe_q5_0IN3c108BFloat16ELb0EEvPKvS3_PT_PKiS7_S7_iiiiiii
                                        ; -- End function
	.section	.AMDGPU.csdata,"",@progbits
; Kernel info:
; codeLenInByte = 12964
; NumSgprs: 30
; NumVgprs: 169
; NumAgprs: 0
; TotalNumVgprs: 169
; ScratchSize: 0
; MemoryBound: 0
; FloatMode: 240
; IeeeMode: 1
; LDSByteSize: 38656 bytes/workgroup (compile time only)
; SGPRBlocks: 3
; VGPRBlocks: 21
; NumSGPRsForWavesPerEU: 30
; NumVGPRsForWavesPerEU: 169
; AccumOffset: 172
; Occupancy: 1
; WaveLimiterHint : 1
; COMPUTE_PGM_RSRC2:SCRATCH_EN: 0
; COMPUTE_PGM_RSRC2:USER_SGPR: 6
; COMPUTE_PGM_RSRC2:TRAP_HANDLER: 0
; COMPUTE_PGM_RSRC2:TGID_X_EN: 1
; COMPUTE_PGM_RSRC2:TGID_Y_EN: 1
; COMPUTE_PGM_RSRC2:TGID_Z_EN: 0
; COMPUTE_PGM_RSRC2:TIDIG_COMP_CNT: 1
; COMPUTE_PGM_RSRC3_GFX90A:ACCUM_OFFSET: 42
; COMPUTE_PGM_RSRC3_GFX90A:TG_SPLIT: 0
	.section	.text._ZL8moe_q5_0IN3c108BFloat16ELb1EEvPKvS3_PT_PKiS7_S7_iiiiiii,"axG",@progbits,_ZL8moe_q5_0IN3c108BFloat16ELb1EEvPKvS3_PT_PKiS7_S7_iiiiiii,comdat
	.globl	_ZL8moe_q5_0IN3c108BFloat16ELb1EEvPKvS3_PT_PKiS7_S7_iiiiiii ; -- Begin function _ZL8moe_q5_0IN3c108BFloat16ELb1EEvPKvS3_PT_PKiS7_S7_iiiiiii
	.p2align	8
	.type	_ZL8moe_q5_0IN3c108BFloat16ELb1EEvPKvS3_PT_PKiS7_S7_iiiiiii,@function
_ZL8moe_q5_0IN3c108BFloat16ELb1EEvPKvS3_PT_PKiS7_S7_iiiiiii: ; @_ZL8moe_q5_0IN3c108BFloat16ELb1EEvPKvS3_PT_PKiS7_S7_iiiiiii
; %bb.0:
	s_load_dwordx4 s[0:3], s[4:5], 0x18
	s_mov_b32 s8, s7
	s_mov_b32 s9, 0
	s_lshl_b64 s[10:11], s[8:9], 2
	s_waitcnt lgkmcnt(0)
	s_add_u32 s2, s2, s10
	s_addc_u32 s3, s3, s11
	s_load_dword s2, s[2:3], 0x0
	s_waitcnt lgkmcnt(0)
	s_cmpk_gt_u32 s2, 0xff
	s_cbranch_scc1 .LBB222_28
; %bb.1:
	s_load_dwordx2 s[10:11], s[4:5], 0x28
	s_lshl_b32 s3, s8, 3
	s_waitcnt lgkmcnt(0)
	s_load_dword s7, s[10:11], 0x0
	s_waitcnt lgkmcnt(0)
	s_cmp_gt_u32 s3, s7
	s_cbranch_scc1 .LBB222_28
; %bb.2:
	v_bfe_u32 v1, v0, 10, 10
	v_add_u32_e32 v116, s3, v1
	v_mov_b32_e32 v117, 0
	v_lshlrev_b64 v[2:3], 2, v[116:117]
	v_mov_b32_e32 v4, s1
	v_add_co_u32_e32 v2, vcc, s0, v2
	v_addc_co_u32_e32 v3, vcc, v4, v3, vcc
	global_load_dword v97, v[2:3], off
	s_load_dwordx8 s[8:15], s[4:5], 0x30
	s_load_dwordx2 s[16:17], s[4:5], 0x10
	s_waitcnt lgkmcnt(0)
	s_lshl_b32 s15, s6, 7
	s_cmp_lt_i32 s9, 32
	s_cbranch_scc1 .LBB222_18
; %bb.3:
	s_ashr_i32 s0, s9, 31
	s_lshr_b32 s0, s0, 27
	s_add_i32 s0, s9, s0
	s_ashr_i32 s18, s0, 5
	s_ashr_i32 s0, s12, 31
	s_lshr_b32 s0, s0, 27
	s_add_i32 s0, s12, s0
	s_ashr_i32 s12, s0, 5
	s_not_b32 s0, s15
	s_mul_i32 s8, s2, s8
	s_add_i32 s2, s0, s10
	v_and_b32_e32 v99, 0x3ff, v0
	v_lshlrev_b32_e32 v3, 2, v99
	v_min_i32_e32 v5, s2, v1
	v_lshlrev_b32_e32 v2, 3, v99
	s_movk_i32 s3, 0x104
	v_mul_lo_u32 v6, v5, s18
	v_mad_u64_u32 v[22:23], s[0:1], v5, s3, v[2:3]
	v_add_u32_e32 v5, 8, v1
	v_min_i32_e32 v5, s2, v5
	v_mul_lo_u32 v7, v5, s18
	v_mad_u64_u32 v[24:25], s[0:1], v5, s3, v[2:3]
	v_add_u32_e32 v5, 16, v1
	v_min_i32_e32 v5, s2, v5
	;; [unrolled: 4-line block ×15, first 2 shown]
	v_mad_u64_u32 v[52:53], s[0:1], v5, s3, v[2:3]
	v_lshlrev_b32_e32 v2, 2, v1
	v_lshrrev_b32_e32 v103, 3, v99
	v_mul_lo_u32 v21, v5, s18
	v_add_u32_e32 v5, v103, v2
	v_min_i32_e32 v23, s2, v5
	v_ashrrev_i32_e32 v25, 31, v23
	v_lshrrev_b32_e32 v25, 30, v25
	v_and_b32_e32 v95, 7, v99
	v_mul_lo_u32 v89, v23, s18
	v_add_u32_e32 v25, v23, v25
	v_lshlrev_b32_e32 v117, 5, v23
	v_add_u32_e32 v23, 32, v5
	v_and_b32_e32 v25, -4, v25
	v_lshlrev_b32_e32 v27, 2, v95
	s_mov_b32 s3, 0x8200
	v_min_i32_e32 v23, s2, v23
	v_add3_u32 v116, v25, v27, s3
	v_ashrrev_i32_e32 v25, 31, v23
	v_lshrrev_b32_e32 v25, 30, v25
	v_mul_lo_u32 v91, v23, s18
	v_add_u32_e32 v25, v23, v25
	v_lshlrev_b32_e32 v134, 5, v23
	v_add_u32_e32 v23, 64, v5
	s_load_dwordx4 s[4:7], s[4:5], 0x0
	v_and_b32_e32 v25, -4, v25
	v_min_i32_e32 v23, s2, v23
	v_add3_u32 v123, v25, v27, s3
	v_ashrrev_i32_e32 v25, 31, v23
	v_add_u32_e32 v5, 0x60, v5
	v_lshrrev_b32_e32 v25, 30, v25
	v_min_i32_e32 v5, s2, v5
	v_mul_lo_u32 v93, v23, s18
	v_add_u32_e32 v25, v23, v25
	v_lshlrev_b32_e32 v138, 5, v23
	v_ashrrev_i32_e32 v23, 31, v5
	v_and_b32_e32 v101, 12, v3
	v_lshrrev_b32_e32 v23, 30, v23
	v_and_b32_e32 v3, 28, v3
	v_mul_lo_u32 v122, v5, s18
	v_add_u32_e32 v23, v5, v23
	v_lshlrev_b32_e32 v140, 5, v5
	v_and_b32_e32 v5, 31, v99
	s_waitcnt lgkmcnt(0)
	v_add_co_u32_e32 v54, vcc, s6, v3
	v_lshlrev_b32_e32 v3, 7, v1
	v_lshl_or_b32 v5, v5, 2, v3
	v_add_u32_e32 v105, 0x9280, v5
	v_or_b32_e32 v2, v2, v99
	v_mov_b32_e32 v5, 0x9680
	v_lshl_add_u32 v107, v2, 2, v5
	v_lshl_add_u32 v111, v1, 4, v5
	v_and_b32_e32 v1, 0xfc, v99
	v_lshlrev_b32_e32 v2, 5, v99
	v_add3_u32 v115, v2, v1, s3
	v_add_u32_e32 v1, 32, v99
	v_add_u32_e32 v109, 0x9280, v3
	v_and_b32_e32 v2, 0x1fc, v1
	v_lshlrev_b32_e32 v3, 5, v1
	v_add3_u32 v119, v3, v2, s3
	v_add_u32_e32 v2, 64, v99
	v_and_b32_e32 v3, 0x1fc, v2
	v_lshlrev_b32_e32 v2, 5, v2
	s_abs_i32 s2, s14
	v_add3_u32 v121, v2, v3, s3
	v_cvt_f32_u32_e32 v3, s2
	v_add_u32_e32 v2, 0x60, v99
	v_and_b32_e32 v5, 0x1fc, v2
	v_lshlrev_b32_e32 v2, 5, v2
	v_add3_u32 v125, v2, v5, s3
	v_rcp_iflag_f32_e32 v2, v3
	v_and_b32_e32 v25, -4, v25
	v_and_b32_e32 v23, -4, v23
	v_add3_u32 v135, v25, v27, s3
	v_mul_f32_e32 v2, 0x4f7ffffe, v2
	v_cvt_u32_f32_e32 v2, v2
	v_add3_u32 v139, v23, v27, s3
	s_sub_i32 s3, 0, s2
	s_waitcnt vmcnt(0)
	v_sub_u32_e32 v3, 0, v97
	v_mul_lo_u32 v5, s3, v2
	v_mul_hi_u32 v5, v2, v5
	v_max_i32_e32 v3, v97, v3
	v_add_u32_e32 v2, v2, v5
	v_mul_hi_u32 v2, v3, v2
	v_mov_b32_e32 v23, s7
	v_mul_lo_u32 v5, v2, s2
	v_addc_co_u32_e32 v55, vcc, 0, v23, vcc
	v_sub_u32_e32 v3, v3, v5
	v_add_u32_e32 v5, 1, v2
	v_cmp_le_u32_e32 vcc, s2, v3
	v_cndmask_b32_e32 v2, v2, v5, vcc
	v_subrev_u32_e32 v5, s2, v3
	v_cndmask_b32_e32 v3, v3, v5, vcc
	v_lshrrev_b32_e32 v127, 3, v1
	v_xor_b32_e32 v1, s14, v97
	v_add_u32_e32 v5, 1, v2
	v_cmp_le_u32_e32 vcc, s2, v3
	v_ashrrev_i32_e32 v1, 31, v1
	v_cndmask_b32_e32 v2, v2, v5, vcc
	v_xor_b32_e32 v2, v2, v1
	v_sub_u32_e32 v1, v2, v1
	v_cmp_gt_i32_e64 s[2:3], s11, v1
	v_mul_lo_u32 v1, v1, s12
	v_ashrrev_i32_e32 v2, 31, v1
	v_add_co_u32_e32 v3, vcc, v1, v99
	s_mul_i32 s20, s18, s15
	v_addc_co_u32_e32 v5, vcc, 0, v2, vcc
	v_mad_u64_u32 v[2:3], s[22:23], v3, 36, s[6:7]
	s_movk_i32 s21, 0x90
	v_mad_i32_i24 v3, v5, 36, v3
	v_add_co_u32_e32 v56, vcc, s21, v2
	s_mul_hi_i32 s21, s20, 22
	s_mul_i32 s22, s20, 22
	v_lshrrev_b32_e32 v4, 2, v99
	v_addc_co_u32_e32 v57, vcc, 0, v3, vcc
	v_mov_b32_e32 v2, s22
	v_mov_b32_e32 v3, s21
	v_mad_u64_u32 v[2:3], s[22:23], v4, 22, v[2:3]
	v_mad_i64_i32 v[4:5], s[22:23], v6, 22, v[2:3]
	v_add_u32_e32 v129, v99, v1
	v_add_u32_e32 v131, v127, v1
	;; [unrolled: 1-line block ×3, first 2 shown]
	v_add_co_u32_e32 v1, vcc, v4, v101
	v_addc_co_u32_e32 v6, vcc, 0, v5, vcc
	v_mov_b32_e32 v136, s5
	v_add_co_u32_e32 v58, vcc, s4, v1
	v_addc_co_u32_e32 v1, vcc, v136, v6, vcc
	v_add_co_u32_e32 v60, vcc, s4, v4
	v_addc_co_u32_e32 v23, vcc, v136, v5, vcc
	v_mad_i64_i32 v[4:5], s[22:23], v7, 22, v[2:3]
	v_mov_b32_e32 v6, s5
	v_add_co_u32_e32 v4, vcc, s4, v4
	v_addc_co_u32_e32 v5, vcc, v5, v6, vcc
	v_add_co_u32_e32 v62, vcc, v4, v101
	v_addc_co_u32_e32 v25, vcc, 0, v5, vcc
	v_add_co_u32_e32 v64, vcc, 2, v4
	v_addc_co_u32_e32 v27, vcc, 0, v5, vcc
	v_mad_i64_i32 v[4:5], s[22:23], v8, 22, v[2:3]
	v_add_co_u32_e32 v4, vcc, s4, v4
	v_addc_co_u32_e32 v5, vcc, v5, v6, vcc
	v_add_co_u32_e32 v66, vcc, v4, v101
	v_addc_co_u32_e32 v29, vcc, 0, v5, vcc
	v_add_co_u32_e32 v68, vcc, 2, v4
	v_addc_co_u32_e32 v31, vcc, 0, v5, vcc
	v_mad_i64_i32 v[4:5], s[22:23], v9, 22, v[2:3]
	;; [unrolled: 7-line block ×14, first 2 shown]
	v_mov_b32_e32 v4, s5
	v_add_co_u32_e32 v2, vcc, s4, v2
	v_addc_co_u32_e32 v3, vcc, v3, v4, vcc
	v_add_co_u32_e32 v120, vcc, v2, v101
	v_addc_co_u32_e32 v85, vcc, 0, v3, vcc
	;; [unrolled: 2-line block ×3, first 2 shown]
	v_mad_i64_i32 v[2:3], s[22:23], v89, 22, 0
	v_mad_i64_i32 v[2:3], s[22:23], s20, 22, v[2:3]
	v_mad_u64_u32 v[2:3], s[22:23], v95, 22, v[2:3]
	v_add_co_u32_e32 v126, vcc, s4, v2
	v_addc_co_u32_e32 v89, vcc, v136, v3, vcc
	v_mad_i64_i32 v[2:3], s[22:23], v91, 22, 0
	v_mad_i64_i32 v[2:3], s[22:23], s20, 22, v[2:3]
	v_mad_u64_u32 v[2:3], s[22:23], v95, 22, v[2:3]
	v_add_co_u32_e32 v128, vcc, s4, v2
	v_addc_co_u32_e32 v91, vcc, v136, v3, vcc
	;; [unrolled: 5-line block ×3, first 2 shown]
	v_mad_i64_i32 v[2:3], s[22:23], v122, 22, 0
	v_mad_i64_i32 v[2:3], s[20:21], s20, 22, v[2:3]
	v_mad_u64_u32 v[2:3], s[20:21], v95, 22, v[2:3]
	v_add_co_u32_e32 v132, vcc, s4, v2
	v_mov_b32_e32 v122, 0
	s_ashr_i32 s19, s8, 31
	s_mov_b32 s10, 0
	v_cmp_gt_u32_e64 s[0:1], 4, v99
	v_mul_u32_u24_e32 v113, 0x104, v99
	v_addc_co_u32_e32 v95, vcc, v136, v3, vcc
	s_movk_i32 s20, 0x80
	s_movk_i32 s21, 0x1f00
	;; [unrolled: 1-line block ×4, first 2 shown]
	v_add_u32_e32 v136, v116, v117
	v_add_u32_e32 v137, v123, v134
	;; [unrolled: 1-line block ×4, first 2 shown]
	v_mov_b32_e32 v140, 8
	v_mov_b32_e32 v123, v122
	;; [unrolled: 1-line block ×4, first 2 shown]
	s_branch .LBB222_6
.LBB222_4:                              ;   in Loop: Header=BB222_6 Depth=1
	s_or_b64 exec, exec, s[4:5]
	s_waitcnt lgkmcnt(0)
	s_barrier
	ds_read_b128 v[2:5], v111
	ds_read2_b32 v[134:135], v113 offset0:32 offset1:33
	ds_read_b128 v[14:17], v109
	ds_read_b128 v[18:21], v109 offset:16
	ds_read_b128 v[6:9], v109 offset:32
	;; [unrolled: 1-line block ×3, first 2 shown]
	ds_read2_b32 v[142:143], v113 offset0:34 offset1:35
	v_mov_b32_e32 v141, 0
	s_waitcnt lgkmcnt(4)
	v_dot4c_i32_i8_e32 v141, v134, v14
	s_waitcnt lgkmcnt(3)
	v_dot4c_i32_i8_e32 v141, v135, v18
	ds_read2_b32 v[134:135], v113 offset0:36 offset1:37
	ds_read2_b32 v[144:145], v113 offset0:38 offset1:39
	;; [unrolled: 1-line block ×3, first 2 shown]
	s_waitcnt lgkmcnt(3)
	v_dot4c_i32_i8_e32 v141, v142, v15
	v_dot4c_i32_i8_e32 v141, v143, v19
	s_waitcnt lgkmcnt(2)
	v_dot4c_i32_i8_e32 v141, v134, v16
	v_add_u32_e32 v134, 0x2100, v113
	ds_read2_b32 v[142:143], v134 offset1:1
	v_mov_b32_e32 v156, 0
	v_dot4c_i32_i8_e32 v141, v135, v20
	ds_read2_b32 v[134:135], v125 offset0:6 offset1:7
	s_waitcnt lgkmcnt(3)
	v_dot4c_i32_i8_e32 v141, v144, v17
	s_waitcnt lgkmcnt(1)
	v_dot4c_i32_i8_e32 v156, v142, v14
	v_add_u32_e32 v142, 0x2108, v113
	v_dot4c_i32_i8_e32 v156, v143, v18
	ds_read2_b32 v[142:143], v142 offset1:1
	v_add_u32_e32 v144, 0x2110, v113
	v_add_u32_e32 v148, 0x2118, v113
	;; [unrolled: 1-line block ×3, first 2 shown]
	v_dot4c_i32_i8_e32 v141, v145, v21
	ds_read2_b32 v[144:145], v144 offset1:1
	ds_read2_b32 v[148:149], v148 offset1:1
	;; [unrolled: 1-line block ×3, first 2 shown]
	s_waitcnt lgkmcnt(3)
	v_dot4c_i32_i8_e32 v156, v142, v15
	v_dot4c_i32_i8_e32 v156, v143, v19
	s_waitcnt lgkmcnt(2)
	v_dot4c_i32_i8_e32 v156, v144, v16
	v_dot4c_i32_i8_e32 v156, v145, v20
	v_mov_b32_e32 v157, 0
	s_waitcnt lgkmcnt(1)
	v_dot4c_i32_i8_e32 v156, v148, v17
	s_waitcnt lgkmcnt(0)
	v_dot4c_i32_i8_e32 v157, v150, v14
	v_add_u32_e32 v142, 0x4188, v113
	v_add_u32_e32 v144, 0x4190, v113
	;; [unrolled: 1-line block ×4, first 2 shown]
	v_dot4c_i32_i8_e32 v156, v149, v21
	v_dot4c_i32_i8_e32 v157, v151, v18
	ds_read2_b32 v[142:143], v142 offset1:1
	ds_read2_b32 v[144:145], v144 offset1:1
	;; [unrolled: 1-line block ×4, first 2 shown]
	v_mov_b32_e32 v158, 0
	v_mov_b32_e32 v159, 0
	v_dot4c_i32_i8_e32 v159, v146, v6
	s_waitcnt lgkmcnt(3)
	v_dot4c_i32_i8_e32 v157, v142, v15
	s_waitcnt lgkmcnt(0)
	v_dot4c_i32_i8_e32 v158, v150, v14
	v_add_u32_e32 v14, 0x6208, v113
	v_dot4c_i32_i8_e32 v157, v143, v19
	ds_read2_b32 v[142:143], v14 offset1:1
	v_dot4c_i32_i8_e32 v157, v144, v16
	v_dot4c_i32_i8_e32 v157, v145, v20
	;; [unrolled: 1-line block ×4, first 2 shown]
	v_add_u32_e32 v18, 0x6210, v113
	v_add_u32_e32 v148, 0x6218, v113
	v_dot4c_i32_i8_e32 v157, v149, v21
	v_add_u32_e32 v14, 0x2120, v113
	ds_read2_b32 v[144:145], v18 offset1:1
	ds_read2_b32 v[148:149], v148 offset1:1
	;; [unrolled: 1-line block ×3, first 2 shown]
	s_waitcnt lgkmcnt(3)
	v_dot4c_i32_i8_e32 v158, v142, v15
	v_dot4c_i32_i8_e32 v158, v143, v19
	ds_read2_b32 v[14:15], v113 offset0:42 offset1:43
	s_waitcnt lgkmcnt(3)
	v_dot4c_i32_i8_e32 v158, v144, v16
	v_dot4c_i32_i8_e32 v158, v145, v20
	s_waitcnt lgkmcnt(2)
	v_dot4c_i32_i8_e32 v158, v148, v17
	v_dot4c_i32_i8_e32 v158, v149, v21
	;; [unrolled: 1-line block ×3, first 2 shown]
	ds_read2_b32 v[16:17], v113 offset0:44 offset1:45
	ds_read2_b32 v[18:19], v113 offset0:46 offset1:47
	;; [unrolled: 1-line block ×3, first 2 shown]
	s_waitcnt lgkmcnt(3)
	v_dot4c_i32_i8_e32 v159, v14, v7
	v_add_u32_e32 v14, 0x2128, v113
	v_dot4c_i32_i8_e32 v159, v15, v11
	ds_read2_b32 v[14:15], v14 offset1:1
	s_waitcnt lgkmcnt(3)
	v_dot4c_i32_i8_e32 v159, v16, v8
	v_dot4c_i32_i8_e32 v159, v17, v12
	v_mov_b32_e32 v160, 0
	s_waitcnt lgkmcnt(2)
	v_dot4c_i32_i8_e32 v159, v18, v9
	v_dot4c_i32_i8_e32 v160, v150, v6
	v_add_u32_e32 v16, 0x2130, v113
	v_add_u32_e32 v18, 0x2138, v113
	v_add_u32_e32 v142, 0x41a0, v113
	v_dot4c_i32_i8_e32 v159, v19, v13
	v_dot4c_i32_i8_e32 v160, v151, v10
	ds_read2_b32 v[16:17], v16 offset1:1
	ds_read2_b32 v[18:19], v18 offset1:1
	;; [unrolled: 1-line block ×3, first 2 shown]
	s_waitcnt lgkmcnt(3)
	v_dot4c_i32_i8_e32 v160, v14, v7
	v_dot4c_i32_i8_e32 v160, v15, v11
	s_waitcnt lgkmcnt(2)
	v_dot4c_i32_i8_e32 v160, v16, v8
	v_dot4c_i32_i8_e32 v160, v17, v12
	v_mov_b32_e32 v161, 0
	s_waitcnt lgkmcnt(1)
	v_dot4c_i32_i8_e32 v160, v18, v9
	s_waitcnt lgkmcnt(0)
	v_dot4c_i32_i8_e32 v161, v142, v6
	v_add_u32_e32 v14, 0x41a8, v113
	v_add_u32_e32 v16, 0x41b0, v113
	;; [unrolled: 1-line block ×4, first 2 shown]
	v_dot4c_i32_i8_e32 v160, v19, v13
	v_dot4c_i32_i8_e32 v161, v143, v10
	ds_read2_b32 v[14:15], v14 offset1:1
	ds_read2_b32 v[16:17], v16 offset1:1
	;; [unrolled: 1-line block ×4, first 2 shown]
	v_mov_b32_e32 v162, 0
	v_mov_b32_e32 v163, 0
	;; [unrolled: 1-line block ×3, first 2 shown]
	s_waitcnt lgkmcnt(3)
	v_dot4c_i32_i8_e32 v161, v14, v7
	s_waitcnt lgkmcnt(0)
	v_dot4c_i32_i8_e32 v162, v142, v6
	v_add_u32_e32 v6, 0x6228, v113
	v_dot4c_i32_i8_e32 v161, v15, v11
	ds_read2_b32 v[14:15], v6 offset1:1
	v_dot4c_i32_i8_e32 v161, v16, v8
	v_dot4c_i32_i8_e32 v161, v17, v12
	;; [unrolled: 1-line block ×4, first 2 shown]
	v_add_u32_e32 v10, 0x6230, v113
	v_add_u32_e32 v18, 0x6238, v113
	v_dot4c_i32_i8_e32 v161, v19, v13
	v_add_u32_e32 v6, 0x2140, v113
	ds_read2_b32 v[16:17], v10 offset1:1
	ds_read2_b32 v[18:19], v18 offset1:1
	;; [unrolled: 1-line block ×3, first 2 shown]
	s_waitcnt lgkmcnt(3)
	v_dot4c_i32_i8_e32 v162, v14, v7
	v_dot4c_i32_i8_e32 v162, v15, v11
	s_waitcnt lgkmcnt(2)
	v_dot4c_i32_i8_e32 v162, v16, v8
	v_dot4c_i32_i8_e32 v162, v17, v12
	;; [unrolled: 3-line block ×3, first 2 shown]
	ds_read_b128 v[8:11], v109 offset:64
	ds_read_b128 v[12:15], v109 offset:80
	ds_read2_b32 v[6:7], v121 offset0:4 offset1:5
	ds_read2_b32 v[144:145], v119 offset0:6 offset1:7
	;; [unrolled: 1-line block ×5, first 2 shown]
	s_waitcnt lgkmcnt(6)
	v_dot4c_i32_i8_e32 v163, v20, v8
	s_waitcnt lgkmcnt(5)
	v_dot4c_i32_i8_e32 v163, v21, v12
	ds_read2_b32 v[18:19], v113 offset0:52 offset1:53
	ds_read2_b32 v[20:21], v113 offset0:54 offset1:55
	;; [unrolled: 1-line block ×3, first 2 shown]
	v_dot4c_i32_i8_e32 v164, v142, v8
	s_waitcnt lgkmcnt(3)
	v_dot4c_i32_i8_e32 v163, v16, v9
	v_add_u32_e32 v16, 0x2148, v113
	v_dot4c_i32_i8_e32 v163, v17, v13
	ds_read2_b32 v[16:17], v16 offset1:1
	s_waitcnt lgkmcnt(3)
	v_dot4c_i32_i8_e32 v163, v18, v10
	v_dot4c_i32_i8_e32 v163, v19, v14
	s_waitcnt lgkmcnt(2)
	v_dot4c_i32_i8_e32 v163, v20, v11
	v_add_u32_e32 v18, 0x2150, v113
	v_add_u32_e32 v20, 0x2158, v113
	;; [unrolled: 1-line block ×3, first 2 shown]
	v_dot4c_i32_i8_e32 v163, v21, v15
	v_dot4c_i32_i8_e32 v164, v143, v12
	ds_read2_b32 v[18:19], v18 offset1:1
	ds_read2_b32 v[20:21], v20 offset1:1
	;; [unrolled: 1-line block ×3, first 2 shown]
	s_waitcnt lgkmcnt(3)
	v_dot4c_i32_i8_e32 v164, v16, v9
	v_dot4c_i32_i8_e32 v164, v17, v13
	s_waitcnt lgkmcnt(2)
	v_dot4c_i32_i8_e32 v164, v18, v10
	v_dot4c_i32_i8_e32 v164, v19, v14
	v_mov_b32_e32 v165, 0
	s_waitcnt lgkmcnt(1)
	v_dot4c_i32_i8_e32 v164, v20, v11
	s_waitcnt lgkmcnt(0)
	v_dot4c_i32_i8_e32 v165, v142, v8
	v_add_u32_e32 v16, 0x41c8, v113
	v_add_u32_e32 v18, 0x41d0, v113
	;; [unrolled: 1-line block ×4, first 2 shown]
	v_dot4c_i32_i8_e32 v164, v21, v15
	ds_read2_b32 v[20:21], v125 offset0:4 offset1:5
	ds_read2_b32 v[152:153], v121 offset0:6 offset1:7
	v_dot4c_i32_i8_e32 v165, v143, v12
	ds_read2_b32 v[16:17], v16 offset1:1
	ds_read2_b32 v[18:19], v18 offset1:1
	;; [unrolled: 1-line block ×4, first 2 shown]
	v_mov_b32_e32 v166, 0
	v_mov_b32_e32 v167, 0
	;; [unrolled: 1-line block ×3, first 2 shown]
	s_waitcnt lgkmcnt(3)
	v_dot4c_i32_i8_e32 v165, v16, v9
	s_waitcnt lgkmcnt(0)
	v_dot4c_i32_i8_e32 v166, v154, v8
	v_add_u32_e32 v8, 0x6248, v113
	v_dot4c_i32_i8_e32 v165, v17, v13
	ds_read2_b32 v[16:17], v8 offset1:1
	v_dot4c_i32_i8_e32 v165, v18, v10
	v_dot4c_i32_i8_e32 v165, v19, v14
	;; [unrolled: 1-line block ×4, first 2 shown]
	v_add_u32_e32 v12, 0x6250, v113
	v_add_u32_e32 v142, 0x6258, v113
	v_dot4c_i32_i8_e32 v165, v143, v15
	v_add_u32_e32 v8, 0x2160, v113
	ds_read2_b32 v[18:19], v12 offset1:1
	ds_read2_b32 v[142:143], v142 offset1:1
	;; [unrolled: 1-line block ×3, first 2 shown]
	s_waitcnt lgkmcnt(3)
	v_dot4c_i32_i8_e32 v166, v16, v9
	v_dot4c_i32_i8_e32 v166, v17, v13
	s_waitcnt lgkmcnt(2)
	v_dot4c_i32_i8_e32 v166, v18, v10
	v_dot4c_i32_i8_e32 v166, v19, v14
	ds_read_b128 v[16:19], v109 offset:96
	s_waitcnt lgkmcnt(2)
	v_dot4c_i32_i8_e32 v166, v142, v11
	ds_read_b128 v[8:11], v109 offset:112
	ds_read2_b32 v[12:13], v113 offset0:58 offset1:59
	v_dot4c_i32_i8_e32 v166, v143, v15
	s_waitcnt lgkmcnt(2)
	v_dot4c_i32_i8_e32 v167, v150, v16
	v_dot4c_i32_i8_e32 v168, v154, v16
	s_waitcnt lgkmcnt(1)
	v_dot4c_i32_i8_e32 v167, v151, v8
	ds_read2_b32 v[14:15], v113 offset0:60 offset1:61
	ds_read2_b32 v[142:143], v115 offset0:4 offset1:5
	;; [unrolled: 1-line block ×3, first 2 shown]
	s_waitcnt lgkmcnt(3)
	v_dot4c_i32_i8_e32 v167, v12, v17
	v_add_u32_e32 v12, 0x2168, v113
	v_dot4c_i32_i8_e32 v167, v13, v9
	ds_read2_b32 v[12:13], v12 offset1:1
	s_waitcnt lgkmcnt(3)
	v_dot4c_i32_i8_e32 v167, v14, v18
	v_dot4c_i32_i8_e32 v167, v15, v10
	s_waitcnt lgkmcnt(1)
	v_dot4c_i32_i8_e32 v167, v150, v19
	v_add_u32_e32 v14, 0x2170, v113
	v_add_u32_e32 v150, 0x2178, v113
	;; [unrolled: 1-line block ×3, first 2 shown]
	v_dot4c_i32_i8_e32 v167, v151, v11
	v_dot4c_i32_i8_e32 v168, v155, v8
	ds_read2_b32 v[14:15], v14 offset1:1
	ds_read2_b32 v[150:151], v150 offset1:1
	;; [unrolled: 1-line block ×3, first 2 shown]
	s_waitcnt lgkmcnt(3)
	v_dot4c_i32_i8_e32 v168, v12, v17
	v_dot4c_i32_i8_e32 v168, v13, v9
	s_waitcnt lgkmcnt(2)
	v_dot4c_i32_i8_e32 v168, v14, v18
	v_dot4c_i32_i8_e32 v168, v15, v10
	s_waitcnt lgkmcnt(1)
	v_dot4c_i32_i8_e32 v168, v150, v19
	v_cvt_f32_i32_e32 v15, v156
	v_cvt_f32_i32_e32 v14, v141
	v_dot4c_i32_i8_e32 v168, v151, v11
	v_cvt_f32_i32_e32 v151, v160
	v_cvt_f32_i32_e32 v150, v159
	v_mov_b32_e32 v12, v142
	v_mov_b32_e32 v13, v146
	v_pk_mul_f32 v[12:13], v[2:3], v[12:13] op_sel_hi:[0,1]
	v_mov_b32_e32 v146, v143
	v_pk_fma_f32 v[12:13], v[12:13], v[14:15], v[122:123]
	v_pk_mul_f32 v[14:15], v[2:3], v[146:147] op_sel:[1,0]
	v_pk_fma_f32 v[12:13], v[14:15], v[150:151], v[12:13]
	v_cvt_f32_i32_e32 v15, v164
	v_cvt_f32_i32_e32 v14, v163
	v_mov_b32_e32 v122, v148
	v_mov_b32_e32 v123, v144
	v_pk_mul_f32 v[122:123], v[4:5], v[122:123] op_sel_hi:[0,1]
	v_pk_fma_f32 v[12:13], v[122:123], v[14:15], v[12:13]
	v_cvt_f32_i32_e32 v15, v168
	v_cvt_f32_i32_e32 v14, v167
	v_mov_b32_e32 v142, v5
	v_mov_b32_e32 v144, v149
	v_pk_mul_f32 v[122:123], v[142:143], v[144:145] op_sel_hi:[0,1]
	v_add_u32_e32 v5, 0x41e8, v113
	v_pk_fma_f32 v[122:123], v[122:123], v[14:15], v[12:13]
	ds_read2_b32 v[12:13], v5 offset1:1
	v_mov_b32_e32 v141, 0
	s_waitcnt lgkmcnt(1)
	v_dot4c_i32_i8_e32 v141, v154, v16
	v_add_u32_e32 v14, 0x41f0, v113
	v_dot4c_i32_i8_e32 v141, v155, v8
	v_add_u32_e32 v143, 0x41f8, v113
	v_add_u32_e32 v5, 0x6260, v113
	ds_read2_b32 v[14:15], v14 offset1:1
	ds_read2_b32 v[144:145], v143 offset1:1
	;; [unrolled: 1-line block ×3, first 2 shown]
	s_waitcnt lgkmcnt(3)
	v_dot4c_i32_i8_e32 v141, v12, v17
	v_add_u32_e32 v5, 0x6268, v113
	v_dot4c_i32_i8_e32 v141, v13, v9
	ds_read2_b32 v[12:13], v5 offset1:1
	s_waitcnt lgkmcnt(3)
	v_dot4c_i32_i8_e32 v141, v14, v18
	v_add_u32_e32 v5, 0x6270, v113
	v_dot4c_i32_i8_e32 v141, v15, v10
	v_mov_b32_e32 v143, 0
	ds_read2_b32 v[14:15], v5 offset1:1
	s_waitcnt lgkmcnt(3)
	v_dot4c_i32_i8_e32 v141, v144, v19
	s_waitcnt lgkmcnt(2)
	v_dot4c_i32_i8_e32 v143, v146, v16
	v_add_u32_e32 v5, 0x6278, v113
	v_dot4c_i32_i8_e32 v141, v145, v11
	v_dot4c_i32_i8_e32 v143, v147, v8
	ds_read2_b32 v[144:145], v5 offset1:1
	s_waitcnt lgkmcnt(2)
	v_dot4c_i32_i8_e32 v143, v12, v17
	v_dot4c_i32_i8_e32 v143, v13, v9
	s_waitcnt lgkmcnt(1)
	v_dot4c_i32_i8_e32 v143, v14, v18
	v_dot4c_i32_i8_e32 v143, v15, v10
	;; [unrolled: 3-line block ×3, first 2 shown]
	v_cvt_f32_i32_e32 v11, v158
	v_cvt_f32_i32_e32 v10, v157
	;; [unrolled: 1-line block ×4, first 2 shown]
	v_mov_b32_e32 v8, v6
	v_mov_b32_e32 v9, v20
	v_pk_mul_f32 v[8:9], v[2:3], v[8:9] op_sel_hi:[0,1]
	v_mov_b32_e32 v20, v7
	v_pk_fma_f32 v[8:9], v[8:9], v[10:11], v[116:117]
	v_pk_mul_f32 v[2:3], v[2:3], v[20:21] op_sel:[1,0]
	v_pk_fma_f32 v[2:3], v[2:3], v[12:13], v[8:9]
	v_mov_b32_e32 v6, v152
	v_mov_b32_e32 v7, v134
	v_cvt_f32_i32_e32 v9, v166
	v_cvt_f32_i32_e32 v8, v165
	v_pk_mul_f32 v[4:5], v[4:5], v[6:7] op_sel_hi:[0,1]
	v_cvt_f32_i32_e32 v7, v143
	v_cvt_f32_i32_e32 v6, v141
	v_mov_b32_e32 v134, v153
	v_pk_fma_f32 v[2:3], v[4:5], v[8:9], v[2:3]
	v_pk_mul_f32 v[4:5], v[142:143], v[134:135] op_sel_hi:[0,1]
	v_pk_fma_f32 v[116:117], v[4:5], v[6:7], v[2:3]
	s_barrier
.LBB222_5:                              ;   in Loop: Header=BB222_6 Depth=1
	v_add_co_u32_e32 v56, vcc, 0x120, v56
	v_addc_co_u32_e32 v57, vcc, 0, v57, vcc
	v_add_co_u32_e32 v58, vcc, 0xb0, v58
	v_addc_co_u32_e32 v1, vcc, 0, v1, vcc
	;; [unrolled: 2-line block ×36, first 2 shown]
	s_add_i32 s10, s10, 8
	s_addk_i32 s20, 0x100
	v_add_co_u32_e32 v132, vcc, 0xb0, v132
	s_cmp_ge_i32 s10, s18
	v_addc_co_u32_e32 v95, vcc, 0, v95, vcc
	s_cbranch_scc1 .LBB222_19
.LBB222_6:                              ; =>This Inner Loop Header: Depth=1
	v_mov_b32_e32 v2, s19
	v_add_co_u32_e32 v4, vcc, s8, v58
	v_addc_co_u32_e32 v5, vcc, v1, v2, vcc
	global_load_dword v3, v[4:5], off offset:6
	v_add_co_u32_e32 v4, vcc, s8, v60
	v_addc_co_u32_e32 v5, vcc, v23, v2, vcc
	global_load_dword v8, v[4:5], off offset:2
	v_add_co_u32_e32 v4, vcc, s8, v62
	v_addc_co_u32_e32 v5, vcc, v25, v2, vcc
	v_add_co_u32_e32 v6, vcc, s8, v64
	v_addc_co_u32_e32 v7, vcc, v27, v2, vcc
	global_load_dword v9, v[6:7], off
	global_load_dword v10, v[4:5], off offset:6
	v_add_co_u32_e32 v4, vcc, s8, v66
	v_addc_co_u32_e32 v5, vcc, v29, v2, vcc
	v_add_co_u32_e32 v6, vcc, s8, v68
	v_addc_co_u32_e32 v7, vcc, v31, v2, vcc
	global_load_dword v11, v[4:5], off offset:6
	global_load_dword v12, v[6:7], off
	s_add_i32 s4, s20, 0xffffff80
	s_cmp_lt_i32 s4, s9
	s_waitcnt vmcnt(5)
	v_and_b32_e32 v5, 0xf0f0f0f, v3
	v_lshrrev_b32_e32 v3, 4, v3
	v_and_b32_e32 v3, 0xf0f0f0f, v3
	s_waitcnt vmcnt(4)
	v_ashrrev_i32_e32 v4, v101, v8
	v_lshlrev_b32_e32 v7, 4, v4
	v_lshlrev_b32_e32 v13, 18, v4
	;; [unrolled: 1-line block ×3, first 2 shown]
	v_lshrrev_b32_e32 v15, 12, v4
	v_lshrrev_b32_e32 v16, 5, v4
	v_lshlrev_b32_e32 v17, 2, v4
	v_and_b32_e32 v7, 16, v7
	s_waitcnt vmcnt(3)
	v_ashrrev_i32_e32 v8, v101, v9
	v_lshlrev_b32_e32 v9, 11, v4
	v_lshlrev_b32_e32 v4, 9, v4
	v_and_b32_e32 v9, 0x1000, v9
	v_and_b32_e32 v13, 0x100000, v13
	;; [unrolled: 1-line block ×6, first 2 shown]
	v_lshlrev_b32_e32 v18, 4, v8
	v_lshlrev_b32_e32 v19, 11, v8
	v_and_b32_e32 v4, 0x10000000, v4
	v_or3_b32 v7, v7, v5, v9
	v_or3_b32 v5, v5, v13, v14
	;; [unrolled: 1-line block ×3, first 2 shown]
	s_waitcnt vmcnt(2)
	v_and_b32_e32 v6, 0xf0f0f0f, v10
	v_and_b32_e32 v18, 16, v18
	;; [unrolled: 1-line block ×4, first 2 shown]
	v_lshlrev_b16_e32 v7, 8, v7
	v_and_b32_sdwa v15, v5, s21 dst_sel:DWORD dst_unused:UNUSED_PAD src0_sel:WORD_1 src1_sel:DWORD
	v_lshlrev_b16_sdwa v5, v140, v5 dst_sel:DWORD dst_unused:UNUSED_PAD src0_sel:DWORD src1_sel:WORD_1
	v_or3_b32 v3, v9, v4, v3
	v_or3_b32 v13, v18, v6, v19
	v_add_u16_e32 v7, 0xf000, v7
	v_add_u16_e32 v5, 0xf000, v5
	v_lshlrev_b16_e32 v16, 8, v3
	v_and_b32_sdwa v17, v3, s23 dst_sel:DWORD dst_unused:UNUSED_PAD src0_sel:WORD_1 src1_sel:DWORD
	v_and_b32_e32 v4, 0x1f00, v13
	v_lshlrev_b16_e32 v9, 8, v13
	v_and_b32_e32 v13, 0x1f00, v3
	v_lshlrev_b16_sdwa v3, v140, v3 dst_sel:DWORD dst_unused:UNUSED_PAD src0_sel:DWORD src1_sel:WORD_1
	v_or_b32_sdwa v7, v14, v7 dst_sel:DWORD dst_unused:UNUSED_PAD src0_sel:DWORD src1_sel:BYTE_1
	v_or_b32_sdwa v5, v15, v5 dst_sel:DWORD dst_unused:UNUSED_PAD src0_sel:DWORD src1_sel:BYTE_1
	v_add_i16 v14, v16, s22 clamp
	v_add_i16 v15, v17, s22 clamp
	v_lshlrev_b32_e32 v20, 18, v8
	v_lshlrev_b32_e32 v21, 25, v8
	v_add_i16 v3, v3, s22 clamp
	v_add_u16_e32 v7, 0xf000, v7
	v_add_u16_sdwa v5, v5, s22 dst_sel:WORD_1 dst_unused:UNUSED_PAD src0_sel:DWORD src1_sel:DWORD
	v_or_b32_sdwa v13, v13, v14 dst_sel:DWORD dst_unused:UNUSED_PAD src0_sel:DWORD src1_sel:BYTE_1
	v_and_b32_e32 v14, 0xffffff00, v15
	v_and_b32_e32 v20, 0x100000, v20
	;; [unrolled: 1-line block ×3, first 2 shown]
	v_or_b32_e32 v5, v7, v5
	v_add_u16_e32 v7, 0xf000, v13
	v_or_b32_sdwa v3, v3, v14 dst_sel:WORD_1 dst_unused:UNUSED_PAD src0_sel:BYTE_1 src1_sel:DWORD
	v_or3_b32 v6, v6, v20, v21
	v_or_b32_e32 v3, v7, v3
	ds_write2_b32 v22, v5, v3 offset1:1
	v_add_u16_e32 v3, 0xf000, v9
	v_lshlrev_b16_sdwa v5, v140, v6 dst_sel:DWORD dst_unused:UNUSED_PAD src0_sel:DWORD src1_sel:WORD_1
	v_or_b32_sdwa v3, v4, v3 dst_sel:DWORD dst_unused:UNUSED_PAD src0_sel:DWORD src1_sel:BYTE_1
	v_and_b32_sdwa v4, v6, s21 dst_sel:DWORD dst_unused:UNUSED_PAD src0_sel:WORD_1 src1_sel:DWORD
	v_add_u16_e32 v5, 0xf000, v5
	v_or_b32_sdwa v4, v4, v5 dst_sel:DWORD dst_unused:UNUSED_PAD src0_sel:DWORD src1_sel:BYTE_1
	v_add_u16_e32 v3, 0xf000, v3
	v_add_u16_sdwa v4, v4, s22 dst_sel:WORD_1 dst_unused:UNUSED_PAD src0_sel:DWORD src1_sel:DWORD
	v_or_b32_e32 v3, v3, v4
	v_lshrrev_b32_e32 v4, 4, v10
	v_and_b32_e32 v9, 0xf0f0f0f, v4
	v_lshrrev_b32_e32 v4, 12, v8
	v_and_b32_e32 v10, 16, v4
	v_add_co_u32_e32 v4, vcc, s8, v70
	v_addc_co_u32_e32 v5, vcc, v33, v2, vcc
	v_add_co_u32_e32 v6, vcc, s8, v72
	v_addc_co_u32_e32 v7, vcc, v35, v2, vcc
	v_lshrrev_b32_e32 v13, 5, v8
	global_load_dword v14, v[6:7], off
	global_load_dword v15, v[4:5], off offset:6
	v_lshlrev_b32_e32 v5, 2, v8
	v_and_b32_e32 v4, 0x1000, v13
	v_and_b32_e32 v5, 0x100000, v5
	v_lshlrev_b32_e32 v6, 9, v8
	v_and_b32_e32 v6, 0x10000000, v6
	v_or3_b32 v4, v4, v10, v5
	v_or3_b32 v4, v4, v6, v9
	v_lshlrev_b16_e32 v6, 8, v4
	v_and_b32_e32 v5, 0x1f00, v4
	v_add_i16 v6, v6, s22 clamp
	v_or_b32_sdwa v5, v5, v6 dst_sel:DWORD dst_unused:UNUSED_PAD src0_sel:DWORD src1_sel:BYTE_1
	v_and_b32_sdwa v6, v4, s23 dst_sel:DWORD dst_unused:UNUSED_PAD src0_sel:WORD_1 src1_sel:DWORD
	v_add_i16 v6, v6, s22 clamp
	v_lshlrev_b16_sdwa v4, v140, v4 dst_sel:DWORD dst_unused:UNUSED_PAD src0_sel:DWORD src1_sel:WORD_1
	v_and_b32_e32 v6, 0xffffff00, v6
	v_add_i16 v4, v4, s22 clamp
	v_add_u16_e32 v5, 0xf000, v5
	v_or_b32_sdwa v4, v4, v6 dst_sel:WORD_1 dst_unused:UNUSED_PAD src0_sel:BYTE_1 src1_sel:DWORD
	v_or_b32_e32 v4, v5, v4
	ds_write2_b32 v24, v3, v4 offset1:1
	s_waitcnt vmcnt(2)
	v_ashrrev_i32_e32 v3, v101, v12
	v_lshlrev_b32_e32 v5, 4, v3
	v_lshlrev_b32_e32 v6, 11, v3
	v_and_b32_e32 v4, 0xf0f0f0f, v11
	v_and_b32_e32 v5, 16, v5
	;; [unrolled: 1-line block ×3, first 2 shown]
	v_or3_b32 v5, v5, v4, v6
	v_lshlrev_b32_e32 v6, 18, v3
	v_lshlrev_b32_e32 v7, 25, v3
	v_and_b32_e32 v6, 0x100000, v6
	v_and_b32_e32 v7, 0x10000000, v7
	v_or3_b32 v4, v4, v6, v7
	v_and_b32_e32 v6, 0x1f00, v5
	v_lshlrev_b16_e32 v5, 8, v5
	v_add_u16_e32 v5, 0xf000, v5
	v_or_b32_sdwa v5, v6, v5 dst_sel:DWORD dst_unused:UNUSED_PAD src0_sel:DWORD src1_sel:BYTE_1
	v_and_b32_sdwa v6, v4, s21 dst_sel:DWORD dst_unused:UNUSED_PAD src0_sel:WORD_1 src1_sel:DWORD
	v_lshlrev_b16_sdwa v4, v140, v4 dst_sel:DWORD dst_unused:UNUSED_PAD src0_sel:DWORD src1_sel:WORD_1
	v_add_u16_e32 v4, 0xf000, v4
	v_or_b32_sdwa v4, v6, v4 dst_sel:DWORD dst_unused:UNUSED_PAD src0_sel:DWORD src1_sel:BYTE_1
	v_add_u16_e32 v5, 0xf000, v5
	v_add_u16_sdwa v4, v4, s22 dst_sel:WORD_1 dst_unused:UNUSED_PAD src0_sel:DWORD src1_sel:DWORD
	v_or_b32_e32 v8, v5, v4
	v_lshrrev_b32_e32 v4, 4, v11
	v_and_b32_e32 v9, 0xf0f0f0f, v4
	v_lshrrev_b32_e32 v4, 12, v3
	v_and_b32_e32 v10, 16, v4
	v_add_co_u32_e32 v4, vcc, s8, v74
	v_addc_co_u32_e32 v5, vcc, v37, v2, vcc
	v_add_co_u32_e32 v6, vcc, s8, v76
	v_addc_co_u32_e32 v7, vcc, v39, v2, vcc
	global_load_dword v12, v[6:7], off
	global_load_dword v13, v[4:5], off offset:6
	v_lshrrev_b32_e32 v11, 5, v3
	v_lshlrev_b32_e32 v5, 2, v3
	v_and_b32_e32 v4, 0x1000, v11
	v_and_b32_e32 v5, 0x100000, v5
	v_lshlrev_b32_e32 v3, 9, v3
	v_and_b32_e32 v3, 0x10000000, v3
	v_or3_b32 v4, v4, v10, v5
	v_or3_b32 v3, v4, v3, v9
	v_lshlrev_b16_e32 v5, 8, v3
	v_and_b32_e32 v4, 0x1f00, v3
	v_add_i16 v5, v5, s22 clamp
	v_or_b32_sdwa v4, v4, v5 dst_sel:DWORD dst_unused:UNUSED_PAD src0_sel:DWORD src1_sel:BYTE_1
	v_and_b32_sdwa v5, v3, s23 dst_sel:DWORD dst_unused:UNUSED_PAD src0_sel:WORD_1 src1_sel:DWORD
	v_add_i16 v5, v5, s22 clamp
	v_lshlrev_b16_sdwa v3, v140, v3 dst_sel:DWORD dst_unused:UNUSED_PAD src0_sel:DWORD src1_sel:WORD_1
	v_and_b32_e32 v5, 0xffffff00, v5
	v_add_i16 v3, v3, s22 clamp
	v_add_u16_e32 v4, 0xf000, v4
	v_or_b32_sdwa v3, v3, v5 dst_sel:WORD_1 dst_unused:UNUSED_PAD src0_sel:BYTE_1 src1_sel:DWORD
	v_or_b32_e32 v3, v4, v3
	ds_write2_b32 v26, v8, v3 offset1:1
	s_waitcnt vmcnt(3)
	v_ashrrev_i32_e32 v3, v101, v14
	v_lshlrev_b32_e32 v5, 4, v3
	v_lshlrev_b32_e32 v6, 11, v3
	s_waitcnt vmcnt(2)
	v_and_b32_e32 v4, 0xf0f0f0f, v15
	v_and_b32_e32 v5, 16, v5
	;; [unrolled: 1-line block ×3, first 2 shown]
	v_or3_b32 v5, v5, v4, v6
	v_lshlrev_b32_e32 v6, 18, v3
	v_lshlrev_b32_e32 v7, 25, v3
	v_and_b32_e32 v6, 0x100000, v6
	v_and_b32_e32 v7, 0x10000000, v7
	v_or3_b32 v4, v4, v6, v7
	v_and_b32_e32 v6, 0x1f00, v5
	v_lshlrev_b16_e32 v5, 8, v5
	v_add_u16_e32 v5, 0xf000, v5
	v_or_b32_sdwa v5, v6, v5 dst_sel:DWORD dst_unused:UNUSED_PAD src0_sel:DWORD src1_sel:BYTE_1
	v_and_b32_sdwa v6, v4, s21 dst_sel:DWORD dst_unused:UNUSED_PAD src0_sel:WORD_1 src1_sel:DWORD
	v_lshlrev_b16_sdwa v4, v140, v4 dst_sel:DWORD dst_unused:UNUSED_PAD src0_sel:DWORD src1_sel:WORD_1
	v_add_u16_e32 v4, 0xf000, v4
	v_or_b32_sdwa v4, v6, v4 dst_sel:DWORD dst_unused:UNUSED_PAD src0_sel:DWORD src1_sel:BYTE_1
	v_add_u16_e32 v5, 0xf000, v5
	v_add_u16_sdwa v4, v4, s22 dst_sel:WORD_1 dst_unused:UNUSED_PAD src0_sel:DWORD src1_sel:DWORD
	v_or_b32_e32 v8, v5, v4
	v_lshrrev_b32_e32 v4, 4, v15
	v_and_b32_e32 v9, 0xf0f0f0f, v4
	v_lshrrev_b32_e32 v4, 12, v3
	v_and_b32_e32 v10, 16, v4
	v_add_co_u32_e32 v4, vcc, s8, v78
	v_addc_co_u32_e32 v5, vcc, v41, v2, vcc
	v_add_co_u32_e32 v6, vcc, s8, v80
	v_addc_co_u32_e32 v7, vcc, v43, v2, vcc
	v_lshrrev_b32_e32 v11, 5, v3
	global_load_dword v14, v[6:7], off
	global_load_dword v15, v[4:5], off offset:6
	v_lshlrev_b32_e32 v5, 2, v3
	v_and_b32_e32 v4, 0x1000, v11
	v_and_b32_e32 v5, 0x100000, v5
	v_lshlrev_b32_e32 v3, 9, v3
	v_and_b32_e32 v3, 0x10000000, v3
	v_or3_b32 v4, v4, v10, v5
	v_or3_b32 v3, v4, v3, v9
	v_lshlrev_b16_e32 v5, 8, v3
	v_and_b32_e32 v4, 0x1f00, v3
	v_add_i16 v5, v5, s22 clamp
	v_or_b32_sdwa v4, v4, v5 dst_sel:DWORD dst_unused:UNUSED_PAD src0_sel:DWORD src1_sel:BYTE_1
	v_and_b32_sdwa v5, v3, s23 dst_sel:DWORD dst_unused:UNUSED_PAD src0_sel:WORD_1 src1_sel:DWORD
	v_add_i16 v5, v5, s22 clamp
	v_lshlrev_b16_sdwa v3, v140, v3 dst_sel:DWORD dst_unused:UNUSED_PAD src0_sel:DWORD src1_sel:WORD_1
	v_and_b32_e32 v5, 0xffffff00, v5
	v_add_i16 v3, v3, s22 clamp
	v_add_u16_e32 v4, 0xf000, v4
	v_or_b32_sdwa v3, v3, v5 dst_sel:WORD_1 dst_unused:UNUSED_PAD src0_sel:BYTE_1 src1_sel:DWORD
	v_or_b32_e32 v3, v4, v3
	ds_write2_b32 v28, v8, v3 offset1:1
	s_waitcnt vmcnt(3)
	v_ashrrev_i32_e32 v3, v101, v12
	v_lshlrev_b32_e32 v5, 4, v3
	v_lshlrev_b32_e32 v6, 11, v3
	s_waitcnt vmcnt(2)
	v_and_b32_e32 v4, 0xf0f0f0f, v13
	v_and_b32_e32 v5, 16, v5
	;; [unrolled: 1-line block ×3, first 2 shown]
	v_or3_b32 v5, v5, v4, v6
	v_lshlrev_b32_e32 v6, 18, v3
	v_lshlrev_b32_e32 v7, 25, v3
	v_and_b32_e32 v6, 0x100000, v6
	v_and_b32_e32 v7, 0x10000000, v7
	v_or3_b32 v4, v4, v6, v7
	v_and_b32_e32 v6, 0x1f00, v5
	v_lshlrev_b16_e32 v5, 8, v5
	v_add_u16_e32 v5, 0xf000, v5
	v_or_b32_sdwa v5, v6, v5 dst_sel:DWORD dst_unused:UNUSED_PAD src0_sel:DWORD src1_sel:BYTE_1
	v_and_b32_sdwa v6, v4, s21 dst_sel:DWORD dst_unused:UNUSED_PAD src0_sel:WORD_1 src1_sel:DWORD
	v_lshlrev_b16_sdwa v4, v140, v4 dst_sel:DWORD dst_unused:UNUSED_PAD src0_sel:DWORD src1_sel:WORD_1
	v_add_u16_e32 v4, 0xf000, v4
	v_or_b32_sdwa v4, v6, v4 dst_sel:DWORD dst_unused:UNUSED_PAD src0_sel:DWORD src1_sel:BYTE_1
	v_add_u16_e32 v5, 0xf000, v5
	v_add_u16_sdwa v4, v4, s22 dst_sel:WORD_1 dst_unused:UNUSED_PAD src0_sel:DWORD src1_sel:DWORD
	v_or_b32_e32 v8, v5, v4
	v_lshrrev_b32_e32 v4, 4, v13
	v_and_b32_e32 v9, 0xf0f0f0f, v4
	v_lshrrev_b32_e32 v4, 12, v3
	v_and_b32_e32 v10, 16, v4
	v_add_co_u32_e32 v4, vcc, s8, v82
	v_addc_co_u32_e32 v5, vcc, v45, v2, vcc
	v_add_co_u32_e32 v6, vcc, s8, v84
	v_addc_co_u32_e32 v7, vcc, v47, v2, vcc
	global_load_dword v12, v[6:7], off
	global_load_dword v13, v[4:5], off offset:6
	v_lshrrev_b32_e32 v11, 5, v3
	v_lshlrev_b32_e32 v5, 2, v3
	v_and_b32_e32 v4, 0x1000, v11
	v_and_b32_e32 v5, 0x100000, v5
	v_lshlrev_b32_e32 v3, 9, v3
	v_and_b32_e32 v3, 0x10000000, v3
	v_or3_b32 v4, v4, v10, v5
	v_or3_b32 v3, v4, v3, v9
	v_lshlrev_b16_e32 v5, 8, v3
	v_and_b32_e32 v4, 0x1f00, v3
	v_add_i16 v5, v5, s22 clamp
	v_or_b32_sdwa v4, v4, v5 dst_sel:DWORD dst_unused:UNUSED_PAD src0_sel:DWORD src1_sel:BYTE_1
	v_and_b32_sdwa v5, v3, s23 dst_sel:DWORD dst_unused:UNUSED_PAD src0_sel:WORD_1 src1_sel:DWORD
	v_add_i16 v5, v5, s22 clamp
	v_lshlrev_b16_sdwa v3, v140, v3 dst_sel:DWORD dst_unused:UNUSED_PAD src0_sel:DWORD src1_sel:WORD_1
	v_and_b32_e32 v5, 0xffffff00, v5
	v_add_i16 v3, v3, s22 clamp
	v_add_u16_e32 v4, 0xf000, v4
	v_or_b32_sdwa v3, v3, v5 dst_sel:WORD_1 dst_unused:UNUSED_PAD src0_sel:BYTE_1 src1_sel:DWORD
	v_or_b32_e32 v3, v4, v3
	ds_write2_b32 v30, v8, v3 offset1:1
	s_waitcnt vmcnt(3)
	v_ashrrev_i32_e32 v3, v101, v14
	v_lshlrev_b32_e32 v5, 4, v3
	v_lshlrev_b32_e32 v6, 11, v3
	s_waitcnt vmcnt(2)
	v_and_b32_e32 v4, 0xf0f0f0f, v15
	v_and_b32_e32 v5, 16, v5
	;; [unrolled: 1-line block ×3, first 2 shown]
	v_or3_b32 v5, v5, v4, v6
	v_lshlrev_b32_e32 v6, 18, v3
	v_lshlrev_b32_e32 v7, 25, v3
	v_and_b32_e32 v6, 0x100000, v6
	v_and_b32_e32 v7, 0x10000000, v7
	v_or3_b32 v4, v4, v6, v7
	v_and_b32_e32 v6, 0x1f00, v5
	v_lshlrev_b16_e32 v5, 8, v5
	v_add_u16_e32 v5, 0xf000, v5
	v_or_b32_sdwa v5, v6, v5 dst_sel:DWORD dst_unused:UNUSED_PAD src0_sel:DWORD src1_sel:BYTE_1
	v_and_b32_sdwa v6, v4, s21 dst_sel:DWORD dst_unused:UNUSED_PAD src0_sel:WORD_1 src1_sel:DWORD
	v_lshlrev_b16_sdwa v4, v140, v4 dst_sel:DWORD dst_unused:UNUSED_PAD src0_sel:DWORD src1_sel:WORD_1
	v_add_u16_e32 v4, 0xf000, v4
	v_or_b32_sdwa v4, v6, v4 dst_sel:DWORD dst_unused:UNUSED_PAD src0_sel:DWORD src1_sel:BYTE_1
	v_add_u16_e32 v5, 0xf000, v5
	v_add_u16_sdwa v4, v4, s22 dst_sel:WORD_1 dst_unused:UNUSED_PAD src0_sel:DWORD src1_sel:DWORD
	v_or_b32_e32 v8, v5, v4
	v_lshrrev_b32_e32 v4, 4, v15
	v_and_b32_e32 v9, 0xf0f0f0f, v4
	v_lshrrev_b32_e32 v4, 12, v3
	v_and_b32_e32 v10, 16, v4
	v_add_co_u32_e32 v4, vcc, s8, v86
	v_addc_co_u32_e32 v5, vcc, v49, v2, vcc
	v_add_co_u32_e32 v6, vcc, s8, v88
	v_addc_co_u32_e32 v7, vcc, v51, v2, vcc
	v_lshrrev_b32_e32 v11, 5, v3
	global_load_dword v14, v[6:7], off
	global_load_dword v15, v[4:5], off offset:6
	v_lshlrev_b32_e32 v5, 2, v3
	v_and_b32_e32 v4, 0x1000, v11
	v_and_b32_e32 v5, 0x100000, v5
	v_lshlrev_b32_e32 v3, 9, v3
	v_and_b32_e32 v3, 0x10000000, v3
	v_or3_b32 v4, v4, v10, v5
	v_or3_b32 v3, v4, v3, v9
	v_lshlrev_b16_e32 v5, 8, v3
	v_and_b32_e32 v4, 0x1f00, v3
	v_add_i16 v5, v5, s22 clamp
	v_or_b32_sdwa v4, v4, v5 dst_sel:DWORD dst_unused:UNUSED_PAD src0_sel:DWORD src1_sel:BYTE_1
	v_and_b32_sdwa v5, v3, s23 dst_sel:DWORD dst_unused:UNUSED_PAD src0_sel:WORD_1 src1_sel:DWORD
	v_add_i16 v5, v5, s22 clamp
	v_lshlrev_b16_sdwa v3, v140, v3 dst_sel:DWORD dst_unused:UNUSED_PAD src0_sel:DWORD src1_sel:WORD_1
	v_and_b32_e32 v5, 0xffffff00, v5
	v_add_i16 v3, v3, s22 clamp
	v_add_u16_e32 v4, 0xf000, v4
	v_or_b32_sdwa v3, v3, v5 dst_sel:WORD_1 dst_unused:UNUSED_PAD src0_sel:BYTE_1 src1_sel:DWORD
	v_or_b32_e32 v3, v4, v3
	ds_write2_b32 v32, v8, v3 offset1:1
	s_waitcnt vmcnt(3)
	v_ashrrev_i32_e32 v3, v101, v12
	v_lshlrev_b32_e32 v5, 4, v3
	v_lshlrev_b32_e32 v6, 11, v3
	s_waitcnt vmcnt(2)
	v_and_b32_e32 v4, 0xf0f0f0f, v13
	v_and_b32_e32 v5, 16, v5
	;; [unrolled: 1-line block ×3, first 2 shown]
	v_or3_b32 v5, v5, v4, v6
	v_lshlrev_b32_e32 v6, 18, v3
	v_lshlrev_b32_e32 v7, 25, v3
	v_and_b32_e32 v6, 0x100000, v6
	v_and_b32_e32 v7, 0x10000000, v7
	v_or3_b32 v4, v4, v6, v7
	v_and_b32_e32 v6, 0x1f00, v5
	v_lshlrev_b16_e32 v5, 8, v5
	v_add_u16_e32 v5, 0xf000, v5
	v_or_b32_sdwa v5, v6, v5 dst_sel:DWORD dst_unused:UNUSED_PAD src0_sel:DWORD src1_sel:BYTE_1
	v_and_b32_sdwa v6, v4, s21 dst_sel:DWORD dst_unused:UNUSED_PAD src0_sel:WORD_1 src1_sel:DWORD
	v_lshlrev_b16_sdwa v4, v140, v4 dst_sel:DWORD dst_unused:UNUSED_PAD src0_sel:DWORD src1_sel:WORD_1
	v_add_u16_e32 v4, 0xf000, v4
	v_or_b32_sdwa v4, v6, v4 dst_sel:DWORD dst_unused:UNUSED_PAD src0_sel:DWORD src1_sel:BYTE_1
	v_add_u16_e32 v5, 0xf000, v5
	v_add_u16_sdwa v4, v4, s22 dst_sel:WORD_1 dst_unused:UNUSED_PAD src0_sel:DWORD src1_sel:DWORD
	v_or_b32_e32 v8, v5, v4
	v_lshrrev_b32_e32 v4, 4, v13
	v_and_b32_e32 v9, 0xf0f0f0f, v4
	v_lshrrev_b32_e32 v4, 12, v3
	v_and_b32_e32 v10, 16, v4
	v_add_co_u32_e32 v4, vcc, s8, v90
	v_addc_co_u32_e32 v5, vcc, v53, v2, vcc
	v_add_co_u32_e32 v6, vcc, s8, v92
	v_addc_co_u32_e32 v7, vcc, v59, v2, vcc
	global_load_dword v12, v[6:7], off
	global_load_dword v13, v[4:5], off offset:6
	v_lshrrev_b32_e32 v11, 5, v3
	v_lshlrev_b32_e32 v5, 2, v3
	v_and_b32_e32 v4, 0x1000, v11
	v_and_b32_e32 v5, 0x100000, v5
	v_lshlrev_b32_e32 v3, 9, v3
	v_and_b32_e32 v3, 0x10000000, v3
	v_or3_b32 v4, v4, v10, v5
	v_or3_b32 v3, v4, v3, v9
	v_lshlrev_b16_e32 v5, 8, v3
	v_and_b32_e32 v4, 0x1f00, v3
	v_add_i16 v5, v5, s22 clamp
	v_or_b32_sdwa v4, v4, v5 dst_sel:DWORD dst_unused:UNUSED_PAD src0_sel:DWORD src1_sel:BYTE_1
	v_and_b32_sdwa v5, v3, s23 dst_sel:DWORD dst_unused:UNUSED_PAD src0_sel:WORD_1 src1_sel:DWORD
	v_add_i16 v5, v5, s22 clamp
	v_lshlrev_b16_sdwa v3, v140, v3 dst_sel:DWORD dst_unused:UNUSED_PAD src0_sel:DWORD src1_sel:WORD_1
	v_and_b32_e32 v5, 0xffffff00, v5
	v_add_i16 v3, v3, s22 clamp
	v_add_u16_e32 v4, 0xf000, v4
	v_or_b32_sdwa v3, v3, v5 dst_sel:WORD_1 dst_unused:UNUSED_PAD src0_sel:BYTE_1 src1_sel:DWORD
	v_or_b32_e32 v3, v4, v3
	ds_write2_b32 v34, v8, v3 offset1:1
	s_waitcnt vmcnt(3)
	v_ashrrev_i32_e32 v3, v101, v14
	v_lshlrev_b32_e32 v5, 4, v3
	v_lshlrev_b32_e32 v6, 11, v3
	s_waitcnt vmcnt(2)
	v_and_b32_e32 v4, 0xf0f0f0f, v15
	v_and_b32_e32 v5, 16, v5
	v_and_b32_e32 v6, 0x1000, v6
	v_or3_b32 v5, v5, v4, v6
	v_lshlrev_b32_e32 v6, 18, v3
	v_lshlrev_b32_e32 v7, 25, v3
	v_and_b32_e32 v6, 0x100000, v6
	v_and_b32_e32 v7, 0x10000000, v7
	v_or3_b32 v4, v4, v6, v7
	v_and_b32_e32 v6, 0x1f00, v5
	v_lshlrev_b16_e32 v5, 8, v5
	v_add_u16_e32 v5, 0xf000, v5
	v_or_b32_sdwa v5, v6, v5 dst_sel:DWORD dst_unused:UNUSED_PAD src0_sel:DWORD src1_sel:BYTE_1
	v_and_b32_sdwa v6, v4, s21 dst_sel:DWORD dst_unused:UNUSED_PAD src0_sel:WORD_1 src1_sel:DWORD
	v_lshlrev_b16_sdwa v4, v140, v4 dst_sel:DWORD dst_unused:UNUSED_PAD src0_sel:DWORD src1_sel:WORD_1
	v_add_u16_e32 v4, 0xf000, v4
	v_or_b32_sdwa v4, v6, v4 dst_sel:DWORD dst_unused:UNUSED_PAD src0_sel:DWORD src1_sel:BYTE_1
	v_add_u16_e32 v5, 0xf000, v5
	v_add_u16_sdwa v4, v4, s22 dst_sel:WORD_1 dst_unused:UNUSED_PAD src0_sel:DWORD src1_sel:DWORD
	v_or_b32_e32 v8, v5, v4
	v_lshrrev_b32_e32 v4, 4, v15
	v_and_b32_e32 v9, 0xf0f0f0f, v4
	v_lshrrev_b32_e32 v4, 12, v3
	v_and_b32_e32 v10, 16, v4
	v_add_co_u32_e32 v4, vcc, s8, v94
	v_addc_co_u32_e32 v5, vcc, v61, v2, vcc
	v_add_co_u32_e32 v6, vcc, s8, v96
	v_addc_co_u32_e32 v7, vcc, v63, v2, vcc
	v_lshrrev_b32_e32 v11, 5, v3
	global_load_dword v14, v[6:7], off
	global_load_dword v15, v[4:5], off offset:6
	v_lshlrev_b32_e32 v5, 2, v3
	v_and_b32_e32 v4, 0x1000, v11
	v_and_b32_e32 v5, 0x100000, v5
	v_lshlrev_b32_e32 v3, 9, v3
	v_and_b32_e32 v3, 0x10000000, v3
	v_or3_b32 v4, v4, v10, v5
	v_or3_b32 v3, v4, v3, v9
	v_lshlrev_b16_e32 v5, 8, v3
	v_and_b32_e32 v4, 0x1f00, v3
	v_add_i16 v5, v5, s22 clamp
	v_or_b32_sdwa v4, v4, v5 dst_sel:DWORD dst_unused:UNUSED_PAD src0_sel:DWORD src1_sel:BYTE_1
	v_and_b32_sdwa v5, v3, s23 dst_sel:DWORD dst_unused:UNUSED_PAD src0_sel:WORD_1 src1_sel:DWORD
	v_add_i16 v5, v5, s22 clamp
	v_lshlrev_b16_sdwa v3, v140, v3 dst_sel:DWORD dst_unused:UNUSED_PAD src0_sel:DWORD src1_sel:WORD_1
	v_and_b32_e32 v5, 0xffffff00, v5
	v_add_i16 v3, v3, s22 clamp
	v_add_u16_e32 v4, 0xf000, v4
	v_or_b32_sdwa v3, v3, v5 dst_sel:WORD_1 dst_unused:UNUSED_PAD src0_sel:BYTE_1 src1_sel:DWORD
	v_or_b32_e32 v3, v4, v3
	ds_write2_b32 v36, v8, v3 offset1:1
	s_waitcnt vmcnt(3)
	v_ashrrev_i32_e32 v3, v101, v12
	v_lshlrev_b32_e32 v5, 4, v3
	v_lshlrev_b32_e32 v6, 11, v3
	s_waitcnt vmcnt(2)
	v_and_b32_e32 v4, 0xf0f0f0f, v13
	v_and_b32_e32 v5, 16, v5
	;; [unrolled: 1-line block ×3, first 2 shown]
	v_or3_b32 v5, v5, v4, v6
	v_lshlrev_b32_e32 v6, 18, v3
	v_lshlrev_b32_e32 v7, 25, v3
	v_and_b32_e32 v6, 0x100000, v6
	v_and_b32_e32 v7, 0x10000000, v7
	v_or3_b32 v4, v4, v6, v7
	v_and_b32_e32 v6, 0x1f00, v5
	v_lshlrev_b16_e32 v5, 8, v5
	v_add_u16_e32 v5, 0xf000, v5
	v_or_b32_sdwa v5, v6, v5 dst_sel:DWORD dst_unused:UNUSED_PAD src0_sel:DWORD src1_sel:BYTE_1
	v_and_b32_sdwa v6, v4, s21 dst_sel:DWORD dst_unused:UNUSED_PAD src0_sel:WORD_1 src1_sel:DWORD
	v_lshlrev_b16_sdwa v4, v140, v4 dst_sel:DWORD dst_unused:UNUSED_PAD src0_sel:DWORD src1_sel:WORD_1
	v_add_u16_e32 v4, 0xf000, v4
	v_or_b32_sdwa v4, v6, v4 dst_sel:DWORD dst_unused:UNUSED_PAD src0_sel:DWORD src1_sel:BYTE_1
	v_add_u16_e32 v5, 0xf000, v5
	v_add_u16_sdwa v4, v4, s22 dst_sel:WORD_1 dst_unused:UNUSED_PAD src0_sel:DWORD src1_sel:DWORD
	v_or_b32_e32 v8, v5, v4
	v_lshrrev_b32_e32 v4, 4, v13
	v_and_b32_e32 v9, 0xf0f0f0f, v4
	v_lshrrev_b32_e32 v4, 12, v3
	v_and_b32_e32 v10, 16, v4
	v_add_co_u32_e32 v4, vcc, s8, v98
	v_addc_co_u32_e32 v5, vcc, v65, v2, vcc
	v_add_co_u32_e32 v6, vcc, s8, v100
	v_addc_co_u32_e32 v7, vcc, v67, v2, vcc
	global_load_dword v12, v[6:7], off
	global_load_dword v13, v[4:5], off offset:6
	v_lshrrev_b32_e32 v11, 5, v3
	v_lshlrev_b32_e32 v5, 2, v3
	v_and_b32_e32 v4, 0x1000, v11
	v_and_b32_e32 v5, 0x100000, v5
	v_lshlrev_b32_e32 v3, 9, v3
	v_and_b32_e32 v3, 0x10000000, v3
	v_or3_b32 v4, v4, v10, v5
	v_or3_b32 v3, v4, v3, v9
	v_lshlrev_b16_e32 v5, 8, v3
	v_and_b32_e32 v4, 0x1f00, v3
	v_add_i16 v5, v5, s22 clamp
	v_or_b32_sdwa v4, v4, v5 dst_sel:DWORD dst_unused:UNUSED_PAD src0_sel:DWORD src1_sel:BYTE_1
	v_and_b32_sdwa v5, v3, s23 dst_sel:DWORD dst_unused:UNUSED_PAD src0_sel:WORD_1 src1_sel:DWORD
	v_add_i16 v5, v5, s22 clamp
	v_lshlrev_b16_sdwa v3, v140, v3 dst_sel:DWORD dst_unused:UNUSED_PAD src0_sel:DWORD src1_sel:WORD_1
	v_and_b32_e32 v5, 0xffffff00, v5
	v_add_i16 v3, v3, s22 clamp
	v_add_u16_e32 v4, 0xf000, v4
	v_or_b32_sdwa v3, v3, v5 dst_sel:WORD_1 dst_unused:UNUSED_PAD src0_sel:BYTE_1 src1_sel:DWORD
	v_or_b32_e32 v3, v4, v3
	ds_write2_b32 v38, v8, v3 offset1:1
	s_waitcnt vmcnt(3)
	v_ashrrev_i32_e32 v3, v101, v14
	v_lshlrev_b32_e32 v5, 4, v3
	v_lshlrev_b32_e32 v6, 11, v3
	s_waitcnt vmcnt(2)
	v_and_b32_e32 v4, 0xf0f0f0f, v15
	v_and_b32_e32 v5, 16, v5
	;; [unrolled: 1-line block ×3, first 2 shown]
	v_or3_b32 v5, v5, v4, v6
	v_lshlrev_b32_e32 v6, 18, v3
	v_lshlrev_b32_e32 v7, 25, v3
	v_and_b32_e32 v6, 0x100000, v6
	v_and_b32_e32 v7, 0x10000000, v7
	v_or3_b32 v4, v4, v6, v7
	v_and_b32_e32 v6, 0x1f00, v5
	v_lshlrev_b16_e32 v5, 8, v5
	v_add_u16_e32 v5, 0xf000, v5
	v_or_b32_sdwa v5, v6, v5 dst_sel:DWORD dst_unused:UNUSED_PAD src0_sel:DWORD src1_sel:BYTE_1
	v_and_b32_sdwa v6, v4, s21 dst_sel:DWORD dst_unused:UNUSED_PAD src0_sel:WORD_1 src1_sel:DWORD
	v_lshlrev_b16_sdwa v4, v140, v4 dst_sel:DWORD dst_unused:UNUSED_PAD src0_sel:DWORD src1_sel:WORD_1
	v_add_u16_e32 v4, 0xf000, v4
	v_or_b32_sdwa v4, v6, v4 dst_sel:DWORD dst_unused:UNUSED_PAD src0_sel:DWORD src1_sel:BYTE_1
	v_add_u16_e32 v5, 0xf000, v5
	v_add_u16_sdwa v4, v4, s22 dst_sel:WORD_1 dst_unused:UNUSED_PAD src0_sel:DWORD src1_sel:DWORD
	v_or_b32_e32 v8, v5, v4
	v_lshrrev_b32_e32 v4, 4, v15
	v_and_b32_e32 v9, 0xf0f0f0f, v4
	v_lshrrev_b32_e32 v4, 12, v3
	v_and_b32_e32 v10, 16, v4
	v_add_co_u32_e32 v4, vcc, s8, v102
	v_addc_co_u32_e32 v5, vcc, v69, v2, vcc
	v_add_co_u32_e32 v6, vcc, s8, v104
	v_addc_co_u32_e32 v7, vcc, v71, v2, vcc
	v_lshrrev_b32_e32 v11, 5, v3
	global_load_dword v14, v[6:7], off
	global_load_dword v15, v[4:5], off offset:6
	v_lshlrev_b32_e32 v5, 2, v3
	v_and_b32_e32 v4, 0x1000, v11
	v_and_b32_e32 v5, 0x100000, v5
	v_lshlrev_b32_e32 v3, 9, v3
	v_and_b32_e32 v3, 0x10000000, v3
	v_or3_b32 v4, v4, v10, v5
	v_or3_b32 v3, v4, v3, v9
	v_lshlrev_b16_e32 v5, 8, v3
	v_and_b32_e32 v4, 0x1f00, v3
	v_add_i16 v5, v5, s22 clamp
	v_or_b32_sdwa v4, v4, v5 dst_sel:DWORD dst_unused:UNUSED_PAD src0_sel:DWORD src1_sel:BYTE_1
	v_and_b32_sdwa v5, v3, s23 dst_sel:DWORD dst_unused:UNUSED_PAD src0_sel:WORD_1 src1_sel:DWORD
	v_add_i16 v5, v5, s22 clamp
	v_lshlrev_b16_sdwa v3, v140, v3 dst_sel:DWORD dst_unused:UNUSED_PAD src0_sel:DWORD src1_sel:WORD_1
	v_and_b32_e32 v5, 0xffffff00, v5
	v_add_i16 v3, v3, s22 clamp
	v_add_u16_e32 v4, 0xf000, v4
	v_or_b32_sdwa v3, v3, v5 dst_sel:WORD_1 dst_unused:UNUSED_PAD src0_sel:BYTE_1 src1_sel:DWORD
	v_or_b32_e32 v3, v4, v3
	ds_write2_b32 v40, v8, v3 offset1:1
	s_waitcnt vmcnt(3)
	v_ashrrev_i32_e32 v3, v101, v12
	v_lshlrev_b32_e32 v5, 4, v3
	v_lshlrev_b32_e32 v6, 11, v3
	s_waitcnt vmcnt(2)
	v_and_b32_e32 v4, 0xf0f0f0f, v13
	v_and_b32_e32 v5, 16, v5
	;; [unrolled: 1-line block ×3, first 2 shown]
	v_or3_b32 v5, v5, v4, v6
	v_lshlrev_b32_e32 v6, 18, v3
	v_lshlrev_b32_e32 v7, 25, v3
	v_and_b32_e32 v6, 0x100000, v6
	v_and_b32_e32 v7, 0x10000000, v7
	v_or3_b32 v4, v4, v6, v7
	v_and_b32_e32 v6, 0x1f00, v5
	v_lshlrev_b16_e32 v5, 8, v5
	v_add_u16_e32 v5, 0xf000, v5
	v_or_b32_sdwa v5, v6, v5 dst_sel:DWORD dst_unused:UNUSED_PAD src0_sel:DWORD src1_sel:BYTE_1
	v_and_b32_sdwa v6, v4, s21 dst_sel:DWORD dst_unused:UNUSED_PAD src0_sel:WORD_1 src1_sel:DWORD
	v_lshlrev_b16_sdwa v4, v140, v4 dst_sel:DWORD dst_unused:UNUSED_PAD src0_sel:DWORD src1_sel:WORD_1
	v_add_u16_e32 v4, 0xf000, v4
	v_or_b32_sdwa v4, v6, v4 dst_sel:DWORD dst_unused:UNUSED_PAD src0_sel:DWORD src1_sel:BYTE_1
	v_add_u16_e32 v5, 0xf000, v5
	v_add_u16_sdwa v4, v4, s22 dst_sel:WORD_1 dst_unused:UNUSED_PAD src0_sel:DWORD src1_sel:DWORD
	v_or_b32_e32 v8, v5, v4
	v_lshrrev_b32_e32 v4, 4, v13
	v_and_b32_e32 v9, 0xf0f0f0f, v4
	v_lshrrev_b32_e32 v4, 12, v3
	v_and_b32_e32 v10, 16, v4
	v_add_co_u32_e32 v4, vcc, s8, v106
	v_addc_co_u32_e32 v5, vcc, v73, v2, vcc
	v_add_co_u32_e32 v6, vcc, s8, v108
	v_addc_co_u32_e32 v7, vcc, v75, v2, vcc
	global_load_dword v12, v[6:7], off
	global_load_dword v13, v[4:5], off offset:6
	v_lshrrev_b32_e32 v11, 5, v3
	v_lshlrev_b32_e32 v5, 2, v3
	v_and_b32_e32 v4, 0x1000, v11
	v_and_b32_e32 v5, 0x100000, v5
	v_lshlrev_b32_e32 v3, 9, v3
	v_and_b32_e32 v3, 0x10000000, v3
	v_or3_b32 v4, v4, v10, v5
	v_or3_b32 v3, v4, v3, v9
	v_lshlrev_b16_e32 v5, 8, v3
	v_and_b32_e32 v4, 0x1f00, v3
	v_add_i16 v5, v5, s22 clamp
	v_or_b32_sdwa v4, v4, v5 dst_sel:DWORD dst_unused:UNUSED_PAD src0_sel:DWORD src1_sel:BYTE_1
	v_and_b32_sdwa v5, v3, s23 dst_sel:DWORD dst_unused:UNUSED_PAD src0_sel:WORD_1 src1_sel:DWORD
	v_add_i16 v5, v5, s22 clamp
	v_lshlrev_b16_sdwa v3, v140, v3 dst_sel:DWORD dst_unused:UNUSED_PAD src0_sel:DWORD src1_sel:WORD_1
	v_and_b32_e32 v5, 0xffffff00, v5
	v_add_i16 v3, v3, s22 clamp
	v_add_u16_e32 v4, 0xf000, v4
	v_or_b32_sdwa v3, v3, v5 dst_sel:WORD_1 dst_unused:UNUSED_PAD src0_sel:BYTE_1 src1_sel:DWORD
	v_or_b32_e32 v3, v4, v3
	ds_write2_b32 v42, v8, v3 offset1:1
	s_waitcnt vmcnt(3)
	v_ashrrev_i32_e32 v3, v101, v14
	v_lshlrev_b32_e32 v5, 4, v3
	v_lshlrev_b32_e32 v6, 11, v3
	s_waitcnt vmcnt(2)
	v_and_b32_e32 v4, 0xf0f0f0f, v15
	v_and_b32_e32 v5, 16, v5
	;; [unrolled: 1-line block ×3, first 2 shown]
	v_or3_b32 v5, v5, v4, v6
	v_lshlrev_b32_e32 v6, 18, v3
	v_lshlrev_b32_e32 v7, 25, v3
	v_and_b32_e32 v6, 0x100000, v6
	v_and_b32_e32 v7, 0x10000000, v7
	v_or3_b32 v4, v4, v6, v7
	v_and_b32_e32 v6, 0x1f00, v5
	v_lshlrev_b16_e32 v5, 8, v5
	v_add_u16_e32 v5, 0xf000, v5
	v_or_b32_sdwa v5, v6, v5 dst_sel:DWORD dst_unused:UNUSED_PAD src0_sel:DWORD src1_sel:BYTE_1
	v_and_b32_sdwa v6, v4, s21 dst_sel:DWORD dst_unused:UNUSED_PAD src0_sel:WORD_1 src1_sel:DWORD
	v_lshlrev_b16_sdwa v4, v140, v4 dst_sel:DWORD dst_unused:UNUSED_PAD src0_sel:DWORD src1_sel:WORD_1
	v_add_u16_e32 v4, 0xf000, v4
	v_or_b32_sdwa v4, v6, v4 dst_sel:DWORD dst_unused:UNUSED_PAD src0_sel:DWORD src1_sel:BYTE_1
	v_add_u16_e32 v5, 0xf000, v5
	v_add_u16_sdwa v4, v4, s22 dst_sel:WORD_1 dst_unused:UNUSED_PAD src0_sel:DWORD src1_sel:DWORD
	v_or_b32_e32 v8, v5, v4
	v_lshrrev_b32_e32 v4, 4, v15
	v_and_b32_e32 v9, 0xf0f0f0f, v4
	v_lshrrev_b32_e32 v4, 12, v3
	v_and_b32_e32 v10, 16, v4
	v_add_co_u32_e32 v4, vcc, s8, v110
	v_addc_co_u32_e32 v5, vcc, v77, v2, vcc
	v_add_co_u32_e32 v6, vcc, s8, v112
	v_addc_co_u32_e32 v7, vcc, v79, v2, vcc
	v_lshrrev_b32_e32 v11, 5, v3
	global_load_dword v14, v[6:7], off
	global_load_dword v15, v[4:5], off offset:6
	v_lshlrev_b32_e32 v5, 2, v3
	v_and_b32_e32 v4, 0x1000, v11
	v_and_b32_e32 v5, 0x100000, v5
	v_lshlrev_b32_e32 v3, 9, v3
	v_and_b32_e32 v3, 0x10000000, v3
	v_or3_b32 v4, v4, v10, v5
	v_or3_b32 v3, v4, v3, v9
	v_lshlrev_b16_e32 v5, 8, v3
	v_and_b32_e32 v4, 0x1f00, v3
	v_add_i16 v5, v5, s22 clamp
	v_or_b32_sdwa v4, v4, v5 dst_sel:DWORD dst_unused:UNUSED_PAD src0_sel:DWORD src1_sel:BYTE_1
	v_and_b32_sdwa v5, v3, s23 dst_sel:DWORD dst_unused:UNUSED_PAD src0_sel:WORD_1 src1_sel:DWORD
	v_add_i16 v5, v5, s22 clamp
	v_lshlrev_b16_sdwa v3, v140, v3 dst_sel:DWORD dst_unused:UNUSED_PAD src0_sel:DWORD src1_sel:WORD_1
	v_and_b32_e32 v5, 0xffffff00, v5
	v_add_i16 v3, v3, s22 clamp
	v_add_u16_e32 v4, 0xf000, v4
	v_or_b32_sdwa v3, v3, v5 dst_sel:WORD_1 dst_unused:UNUSED_PAD src0_sel:BYTE_1 src1_sel:DWORD
	v_or_b32_e32 v3, v4, v3
	ds_write2_b32 v44, v8, v3 offset1:1
	s_waitcnt vmcnt(3)
	v_ashrrev_i32_e32 v3, v101, v12
	v_lshlrev_b32_e32 v5, 4, v3
	v_lshlrev_b32_e32 v6, 11, v3
	s_waitcnt vmcnt(2)
	v_and_b32_e32 v4, 0xf0f0f0f, v13
	v_and_b32_e32 v5, 16, v5
	;; [unrolled: 1-line block ×3, first 2 shown]
	v_or3_b32 v5, v5, v4, v6
	v_lshlrev_b32_e32 v6, 18, v3
	v_lshlrev_b32_e32 v7, 25, v3
	v_and_b32_e32 v6, 0x100000, v6
	v_and_b32_e32 v7, 0x10000000, v7
	v_or3_b32 v4, v4, v6, v7
	v_and_b32_e32 v6, 0x1f00, v5
	v_lshlrev_b16_e32 v5, 8, v5
	v_add_u16_e32 v5, 0xf000, v5
	v_or_b32_sdwa v5, v6, v5 dst_sel:DWORD dst_unused:UNUSED_PAD src0_sel:DWORD src1_sel:BYTE_1
	v_and_b32_sdwa v6, v4, s21 dst_sel:DWORD dst_unused:UNUSED_PAD src0_sel:WORD_1 src1_sel:DWORD
	v_lshlrev_b16_sdwa v4, v140, v4 dst_sel:DWORD dst_unused:UNUSED_PAD src0_sel:DWORD src1_sel:WORD_1
	v_add_u16_e32 v4, 0xf000, v4
	v_or_b32_sdwa v4, v6, v4 dst_sel:DWORD dst_unused:UNUSED_PAD src0_sel:DWORD src1_sel:BYTE_1
	v_add_u16_e32 v5, 0xf000, v5
	v_add_u16_sdwa v4, v4, s22 dst_sel:WORD_1 dst_unused:UNUSED_PAD src0_sel:DWORD src1_sel:DWORD
	v_or_b32_e32 v8, v5, v4
	v_lshrrev_b32_e32 v4, 4, v13
	v_and_b32_e32 v9, 0xf0f0f0f, v4
	v_lshrrev_b32_e32 v4, 12, v3
	v_and_b32_e32 v10, 16, v4
	v_add_co_u32_e32 v4, vcc, s8, v114
	v_addc_co_u32_e32 v5, vcc, v81, v2, vcc
	v_add_co_u32_e32 v6, vcc, s8, v118
	v_addc_co_u32_e32 v7, vcc, v83, v2, vcc
	global_load_dword v12, v[6:7], off
	global_load_dword v13, v[4:5], off offset:6
	v_lshrrev_b32_e32 v11, 5, v3
	v_lshlrev_b32_e32 v5, 2, v3
	v_and_b32_e32 v4, 0x1000, v11
	v_and_b32_e32 v5, 0x100000, v5
	v_lshlrev_b32_e32 v3, 9, v3
	v_and_b32_e32 v3, 0x10000000, v3
	v_or3_b32 v4, v4, v10, v5
	v_or3_b32 v3, v4, v3, v9
	v_lshlrev_b16_e32 v5, 8, v3
	v_and_b32_e32 v4, 0x1f00, v3
	v_add_i16 v5, v5, s22 clamp
	v_or_b32_sdwa v4, v4, v5 dst_sel:DWORD dst_unused:UNUSED_PAD src0_sel:DWORD src1_sel:BYTE_1
	v_and_b32_sdwa v5, v3, s23 dst_sel:DWORD dst_unused:UNUSED_PAD src0_sel:WORD_1 src1_sel:DWORD
	v_add_i16 v5, v5, s22 clamp
	v_lshlrev_b16_sdwa v3, v140, v3 dst_sel:DWORD dst_unused:UNUSED_PAD src0_sel:DWORD src1_sel:WORD_1
	v_and_b32_e32 v5, 0xffffff00, v5
	v_add_i16 v3, v3, s22 clamp
	v_add_u16_e32 v4, 0xf000, v4
	v_or_b32_sdwa v3, v3, v5 dst_sel:WORD_1 dst_unused:UNUSED_PAD src0_sel:BYTE_1 src1_sel:DWORD
	v_or_b32_e32 v3, v4, v3
	ds_write2_b32 v46, v8, v3 offset1:1
	s_waitcnt vmcnt(3)
	v_ashrrev_i32_e32 v3, v101, v14
	v_lshlrev_b32_e32 v5, 4, v3
	v_lshlrev_b32_e32 v6, 11, v3
	s_waitcnt vmcnt(2)
	v_and_b32_e32 v4, 0xf0f0f0f, v15
	v_and_b32_e32 v5, 16, v5
	;; [unrolled: 1-line block ×3, first 2 shown]
	v_or3_b32 v5, v5, v4, v6
	v_lshlrev_b32_e32 v6, 18, v3
	v_lshlrev_b32_e32 v7, 25, v3
	v_and_b32_e32 v6, 0x100000, v6
	v_and_b32_e32 v7, 0x10000000, v7
	v_or3_b32 v4, v4, v6, v7
	v_and_b32_e32 v6, 0x1f00, v5
	v_lshlrev_b16_e32 v5, 8, v5
	v_add_u16_e32 v5, 0xf000, v5
	v_or_b32_sdwa v5, v6, v5 dst_sel:DWORD dst_unused:UNUSED_PAD src0_sel:DWORD src1_sel:BYTE_1
	v_and_b32_sdwa v6, v4, s21 dst_sel:DWORD dst_unused:UNUSED_PAD src0_sel:WORD_1 src1_sel:DWORD
	v_lshlrev_b16_sdwa v4, v140, v4 dst_sel:DWORD dst_unused:UNUSED_PAD src0_sel:DWORD src1_sel:WORD_1
	v_add_u16_e32 v4, 0xf000, v4
	v_or_b32_sdwa v4, v6, v4 dst_sel:DWORD dst_unused:UNUSED_PAD src0_sel:DWORD src1_sel:BYTE_1
	v_add_u16_e32 v5, 0xf000, v5
	v_add_u16_sdwa v4, v4, s22 dst_sel:WORD_1 dst_unused:UNUSED_PAD src0_sel:DWORD src1_sel:DWORD
	v_or_b32_e32 v8, v5, v4
	v_lshrrev_b32_e32 v5, 12, v3
	v_lshrrev_b32_e32 v6, 5, v3
	v_lshlrev_b32_e32 v7, 2, v3
	v_lshrrev_b32_e32 v4, 4, v15
	v_and_b32_e32 v5, 16, v5
	v_and_b32_e32 v6, 0x1000, v6
	;; [unrolled: 1-line block ×3, first 2 shown]
	v_lshlrev_b32_e32 v3, 9, v3
	v_and_b32_e32 v4, 0xf0f0f0f, v4
	v_and_b32_e32 v3, 0x10000000, v3
	v_or3_b32 v5, v6, v5, v7
	v_or3_b32 v3, v5, v3, v4
	v_lshlrev_b16_e32 v4, 8, v3
	v_add_i16 v10, v4, s22 clamp
	v_add_co_u32_e32 v4, vcc, s8, v120
	v_addc_co_u32_e32 v5, vcc, v85, v2, vcc
	v_add_co_u32_e32 v6, vcc, s8, v124
	v_addc_co_u32_e32 v7, vcc, v87, v2, vcc
	global_load_dword v6, v[6:7], off
	s_nop 0
	global_load_dword v7, v[4:5], off offset:6
	v_and_b32_sdwa v5, v3, s23 dst_sel:DWORD dst_unused:UNUSED_PAD src0_sel:WORD_1 src1_sel:DWORD
	v_and_b32_e32 v9, 0x1f00, v3
	v_add_i16 v5, v5, s22 clamp
	v_lshlrev_b16_sdwa v3, v140, v3 dst_sel:DWORD dst_unused:UNUSED_PAD src0_sel:DWORD src1_sel:WORD_1
	v_or_b32_sdwa v4, v9, v10 dst_sel:DWORD dst_unused:UNUSED_PAD src0_sel:DWORD src1_sel:BYTE_1
	v_and_b32_e32 v5, 0xffffff00, v5
	v_add_i16 v3, v3, s22 clamp
	v_add_u16_e32 v4, 0xf000, v4
	v_or_b32_sdwa v3, v3, v5 dst_sel:WORD_1 dst_unused:UNUSED_PAD src0_sel:BYTE_1 src1_sel:DWORD
	v_or_b32_e32 v3, v4, v3
	ds_write2_b32 v48, v8, v3 offset1:1
	s_waitcnt vmcnt(3)
	v_ashrrev_i32_e32 v3, v101, v12
	v_lshlrev_b32_e32 v5, 4, v3
	v_lshlrev_b32_e32 v8, 11, v3
	s_waitcnt vmcnt(2)
	v_and_b32_e32 v4, 0xf0f0f0f, v13
	v_and_b32_e32 v5, 16, v5
	;; [unrolled: 1-line block ×3, first 2 shown]
	v_or3_b32 v5, v5, v4, v8
	v_lshlrev_b32_e32 v8, 18, v3
	v_lshlrev_b32_e32 v9, 25, v3
	v_and_b32_e32 v8, 0x100000, v8
	v_and_b32_e32 v9, 0x10000000, v9
	v_or3_b32 v4, v4, v8, v9
	v_and_b32_e32 v8, 0x1f00, v5
	v_lshlrev_b16_e32 v5, 8, v5
	v_add_u16_e32 v5, 0xf000, v5
	v_or_b32_sdwa v5, v8, v5 dst_sel:DWORD dst_unused:UNUSED_PAD src0_sel:DWORD src1_sel:BYTE_1
	v_add_u16_e32 v8, 0xf000, v5
	v_and_b32_sdwa v5, v4, s21 dst_sel:DWORD dst_unused:UNUSED_PAD src0_sel:WORD_1 src1_sel:DWORD
	v_lshlrev_b16_sdwa v4, v140, v4 dst_sel:DWORD dst_unused:UNUSED_PAD src0_sel:DWORD src1_sel:WORD_1
	v_add_u16_e32 v4, 0xf000, v4
	v_or_b32_sdwa v4, v5, v4 dst_sel:DWORD dst_unused:UNUSED_PAD src0_sel:DWORD src1_sel:BYTE_1
	v_add_u16_sdwa v9, v4, s22 dst_sel:WORD_1 dst_unused:UNUSED_PAD src0_sel:DWORD src1_sel:DWORD
	v_add_co_u32_e32 v4, vcc, s8, v126
	v_addc_co_u32_e32 v5, vcc, v89, v2, vcc
	global_load_ushort v10, v[4:5], off
	v_add_co_u32_e32 v4, vcc, s8, v128
	v_addc_co_u32_e32 v5, vcc, v91, v2, vcc
	global_load_ushort v11, v[4:5], off
	;; [unrolled: 3-line block ×4, first 2 shown]
	v_or_b32_e32 v4, v8, v9
	v_lshrrev_b32_e32 v5, 4, v13
	v_lshrrev_b32_e32 v8, 12, v3
	;; [unrolled: 1-line block ×3, first 2 shown]
	v_lshlrev_b32_e32 v13, 2, v3
	v_and_b32_e32 v8, 16, v8
	v_and_b32_e32 v9, 0x1000, v9
	v_and_b32_e32 v13, 0x100000, v13
	v_lshlrev_b32_e32 v3, 9, v3
	v_and_b32_e32 v5, 0xf0f0f0f, v5
	v_and_b32_e32 v3, 0x10000000, v3
	v_or3_b32 v8, v9, v8, v13
	v_or3_b32 v3, v8, v3, v5
	v_lshlrev_b16_e32 v8, 8, v3
	v_and_b32_e32 v5, 0x1f00, v3
	v_add_i16 v8, v8, s22 clamp
	v_or_b32_sdwa v5, v5, v8 dst_sel:DWORD dst_unused:UNUSED_PAD src0_sel:DWORD src1_sel:BYTE_1
	v_and_b32_sdwa v8, v3, s23 dst_sel:DWORD dst_unused:UNUSED_PAD src0_sel:WORD_1 src1_sel:DWORD
	v_add_i16 v8, v8, s22 clamp
	v_lshlrev_b16_sdwa v3, v140, v3 dst_sel:DWORD dst_unused:UNUSED_PAD src0_sel:DWORD src1_sel:WORD_1
	v_and_b32_e32 v8, 0xffffff00, v8
	v_add_i16 v3, v3, s22 clamp
	v_add_u16_e32 v5, 0xf000, v5
	v_or_b32_sdwa v3, v3, v8 dst_sel:WORD_1 dst_unused:UNUSED_PAD src0_sel:BYTE_1 src1_sel:DWORD
	v_or_b32_e32 v3, v5, v3
	ds_write2_b32 v50, v4, v3 offset1:1
	s_waitcnt vmcnt(5)
	v_ashrrev_i32_e32 v3, v101, v6
	v_lshlrev_b32_e32 v5, 4, v3
	v_lshlrev_b32_e32 v6, 11, v3
	s_waitcnt vmcnt(4)
	v_and_b32_e32 v4, 0xf0f0f0f, v7
	v_and_b32_e32 v5, 16, v5
	;; [unrolled: 1-line block ×3, first 2 shown]
	v_or3_b32 v5, v5, v4, v6
	v_lshlrev_b32_e32 v6, 18, v3
	v_lshlrev_b32_e32 v8, 25, v3
	v_and_b32_e32 v6, 0x100000, v6
	v_and_b32_e32 v8, 0x10000000, v8
	v_or3_b32 v4, v4, v6, v8
	v_and_b32_e32 v6, 0x1f00, v5
	v_lshlrev_b16_e32 v5, 8, v5
	v_add_u16_e32 v5, 0xf000, v5
	v_or_b32_sdwa v5, v6, v5 dst_sel:DWORD dst_unused:UNUSED_PAD src0_sel:DWORD src1_sel:BYTE_1
	v_and_b32_sdwa v6, v4, s21 dst_sel:DWORD dst_unused:UNUSED_PAD src0_sel:WORD_1 src1_sel:DWORD
	v_lshlrev_b16_sdwa v4, v140, v4 dst_sel:DWORD dst_unused:UNUSED_PAD src0_sel:DWORD src1_sel:WORD_1
	v_add_u16_e32 v4, 0xf000, v4
	v_or_b32_sdwa v4, v6, v4 dst_sel:DWORD dst_unused:UNUSED_PAD src0_sel:DWORD src1_sel:BYTE_1
	v_add_u16_e32 v5, 0xf000, v5
	v_add_u16_sdwa v4, v4, s22 dst_sel:WORD_1 dst_unused:UNUSED_PAD src0_sel:DWORD src1_sel:DWORD
	v_or_b32_e32 v4, v5, v4
	v_lshrrev_b32_e32 v5, 4, v7
	v_lshrrev_b32_e32 v6, 12, v3
	;; [unrolled: 1-line block ×3, first 2 shown]
	v_lshlrev_b32_e32 v8, 2, v3
	v_and_b32_e32 v6, 16, v6
	v_and_b32_e32 v7, 0x1000, v7
	;; [unrolled: 1-line block ×3, first 2 shown]
	v_lshlrev_b32_e32 v3, 9, v3
	v_and_b32_e32 v5, 0xf0f0f0f, v5
	v_and_b32_e32 v3, 0x10000000, v3
	v_or3_b32 v6, v7, v6, v8
	v_or3_b32 v3, v6, v3, v5
	v_lshlrev_b16_e32 v6, 8, v3
	v_and_b32_e32 v5, 0x1f00, v3
	v_add_i16 v6, v6, s22 clamp
	v_or_b32_sdwa v5, v5, v6 dst_sel:DWORD dst_unused:UNUSED_PAD src0_sel:DWORD src1_sel:BYTE_1
	v_and_b32_sdwa v6, v3, s23 dst_sel:DWORD dst_unused:UNUSED_PAD src0_sel:WORD_1 src1_sel:DWORD
	v_add_i16 v6, v6, s22 clamp
	v_lshlrev_b16_sdwa v3, v140, v3 dst_sel:DWORD dst_unused:UNUSED_PAD src0_sel:DWORD src1_sel:WORD_1
	v_and_b32_e32 v6, 0xffffff00, v6
	v_add_i16 v3, v3, s22 clamp
	v_add_u16_e32 v5, 0xf000, v5
	v_or_b32_sdwa v3, v3, v6 dst_sel:WORD_1 dst_unused:UNUSED_PAD src0_sel:BYTE_1 src1_sel:DWORD
	v_or_b32_e32 v3, v5, v3
	s_waitcnt vmcnt(3)
	v_cvt_f32_f16_e32 v5, v10
	ds_write2_b32 v52, v4, v3 offset1:1
	s_waitcnt vmcnt(1)
	v_cvt_f32_f16_e32 v3, v12
	v_cvt_f32_f16_e32 v6, v11
	ds_write_b32 v136, v5
	ds_write_b32 v137, v6
	s_waitcnt vmcnt(0)
	v_cvt_f32_f16_e32 v2, v2
	ds_write_b32 v138, v3
	ds_write_b32 v139, v2
	s_cbranch_scc0 .LBB222_5
; %bb.7:                                ;   in Loop: Header=BB222_6 Depth=1
	v_add_u32_e32 v2, s10, v103
	v_cmp_gt_i32_e32 vcc, s12, v2
	s_and_b64 s[24:25], s[2:3], vcc
	s_and_saveexec_b64 s[4:5], s[24:25]
	s_cbranch_execz .LBB222_9
; %bb.8:                                ;   in Loop: Header=BB222_6 Depth=1
	v_add_u32_e32 v2, s10, v133
	v_mad_i64_i32 v[2:3], s[24:25], v2, 36, v[54:55]
	global_load_dword v2, v[2:3], off offset:4
	s_waitcnt vmcnt(0)
	ds_write_b32 v105, v2
.LBB222_9:                              ;   in Loop: Header=BB222_6 Depth=1
	s_or_b64 exec, exec, s[4:5]
	s_and_saveexec_b64 s[4:5], s[0:1]
	s_cbranch_execz .LBB222_12
; %bb.10:                               ;   in Loop: Header=BB222_6 Depth=1
	v_add_u32_e32 v2, s10, v99
	v_cmp_gt_i32_e32 vcc, s12, v2
	s_and_b64 s[24:25], s[2:3], vcc
	s_and_b64 exec, exec, s[24:25]
	s_cbranch_execz .LBB222_12
; %bb.11:                               ;   in Loop: Header=BB222_6 Depth=1
	v_add_u32_e32 v2, s10, v129
	v_mad_i64_i32 v[2:3], s[24:25], v2, 36, s[6:7]
	global_load_dword v2, v[2:3], off
	s_waitcnt vmcnt(0)
	v_cvt_f32_f16_e32 v2, v2
	ds_write_b32 v107, v2
.LBB222_12:                             ;   in Loop: Header=BB222_6 Depth=1
	s_or_b64 exec, exec, s[4:5]
	s_waitcnt lgkmcnt(0)
	s_barrier
	ds_read_b128 v[2:5], v111
	ds_read2_b32 v[134:135], v113 offset1:1
	ds_read_b128 v[14:17], v109
	ds_read_b128 v[18:21], v109 offset:16
	ds_read_b128 v[6:9], v109 offset:32
	;; [unrolled: 1-line block ×3, first 2 shown]
	ds_read2_b32 v[142:143], v113 offset0:2 offset1:3
	v_mov_b32_e32 v141, 0
	s_waitcnt lgkmcnt(4)
	v_dot4c_i32_i8_e32 v141, v134, v14
	s_waitcnt lgkmcnt(3)
	v_dot4c_i32_i8_e32 v141, v135, v18
	ds_read2_b32 v[134:135], v113 offset0:4 offset1:5
	ds_read2_b32 v[144:145], v113 offset0:6 offset1:7
	;; [unrolled: 1-line block ×3, first 2 shown]
	s_waitcnt lgkmcnt(3)
	v_dot4c_i32_i8_e32 v141, v142, v15
	v_dot4c_i32_i8_e32 v141, v143, v19
	s_waitcnt lgkmcnt(2)
	v_dot4c_i32_i8_e32 v141, v134, v16
	v_add_u32_e32 v134, 0x2080, v113
	ds_read2_b32 v[142:143], v134 offset1:1
	v_mov_b32_e32 v156, 0
	v_dot4c_i32_i8_e32 v141, v135, v20
	ds_read2_b32 v[134:135], v125 offset0:2 offset1:3
	s_waitcnt lgkmcnt(3)
	v_dot4c_i32_i8_e32 v141, v144, v17
	s_waitcnt lgkmcnt(1)
	v_dot4c_i32_i8_e32 v156, v142, v14
	v_add_u32_e32 v142, 0x2088, v113
	v_dot4c_i32_i8_e32 v156, v143, v18
	ds_read2_b32 v[142:143], v142 offset1:1
	v_add_u32_e32 v144, 0x2090, v113
	v_add_u32_e32 v148, 0x2098, v113
	;; [unrolled: 1-line block ×3, first 2 shown]
	v_dot4c_i32_i8_e32 v141, v145, v21
	ds_read2_b32 v[144:145], v144 offset1:1
	ds_read2_b32 v[148:149], v148 offset1:1
	;; [unrolled: 1-line block ×3, first 2 shown]
	s_waitcnt lgkmcnt(3)
	v_dot4c_i32_i8_e32 v156, v142, v15
	v_dot4c_i32_i8_e32 v156, v143, v19
	s_waitcnt lgkmcnt(2)
	v_dot4c_i32_i8_e32 v156, v144, v16
	v_dot4c_i32_i8_e32 v156, v145, v20
	v_mov_b32_e32 v157, 0
	s_waitcnt lgkmcnt(1)
	v_dot4c_i32_i8_e32 v156, v148, v17
	s_waitcnt lgkmcnt(0)
	v_dot4c_i32_i8_e32 v157, v150, v14
	v_add_u32_e32 v142, 0x4108, v113
	v_add_u32_e32 v144, 0x4110, v113
	;; [unrolled: 1-line block ×4, first 2 shown]
	v_dot4c_i32_i8_e32 v156, v149, v21
	v_dot4c_i32_i8_e32 v157, v151, v18
	ds_read2_b32 v[142:143], v142 offset1:1
	ds_read2_b32 v[144:145], v144 offset1:1
	;; [unrolled: 1-line block ×4, first 2 shown]
	v_mov_b32_e32 v158, 0
	v_mov_b32_e32 v159, 0
	v_dot4c_i32_i8_e32 v159, v146, v6
	s_waitcnt lgkmcnt(3)
	v_dot4c_i32_i8_e32 v157, v142, v15
	s_waitcnt lgkmcnt(0)
	v_dot4c_i32_i8_e32 v158, v150, v14
	v_add_u32_e32 v14, 0x6188, v113
	v_dot4c_i32_i8_e32 v157, v143, v19
	ds_read2_b32 v[142:143], v14 offset1:1
	v_dot4c_i32_i8_e32 v157, v144, v16
	v_dot4c_i32_i8_e32 v157, v145, v20
	;; [unrolled: 1-line block ×4, first 2 shown]
	v_add_u32_e32 v18, 0x6190, v113
	v_add_u32_e32 v148, 0x6198, v113
	v_dot4c_i32_i8_e32 v157, v149, v21
	v_add_u32_e32 v14, 0x20a0, v113
	ds_read2_b32 v[144:145], v18 offset1:1
	ds_read2_b32 v[148:149], v148 offset1:1
	;; [unrolled: 1-line block ×3, first 2 shown]
	s_waitcnt lgkmcnt(3)
	v_dot4c_i32_i8_e32 v158, v142, v15
	v_dot4c_i32_i8_e32 v158, v143, v19
	ds_read2_b32 v[14:15], v113 offset0:10 offset1:11
	s_waitcnt lgkmcnt(3)
	v_dot4c_i32_i8_e32 v158, v144, v16
	v_dot4c_i32_i8_e32 v158, v145, v20
	s_waitcnt lgkmcnt(2)
	v_dot4c_i32_i8_e32 v158, v148, v17
	v_dot4c_i32_i8_e32 v158, v149, v21
	;; [unrolled: 1-line block ×3, first 2 shown]
	ds_read2_b32 v[16:17], v113 offset0:12 offset1:13
	ds_read2_b32 v[18:19], v113 offset0:14 offset1:15
	;; [unrolled: 1-line block ×3, first 2 shown]
	s_waitcnt lgkmcnt(3)
	v_dot4c_i32_i8_e32 v159, v14, v7
	v_add_u32_e32 v14, 0x20a8, v113
	v_dot4c_i32_i8_e32 v159, v15, v11
	ds_read2_b32 v[14:15], v14 offset1:1
	s_waitcnt lgkmcnt(3)
	v_dot4c_i32_i8_e32 v159, v16, v8
	v_dot4c_i32_i8_e32 v159, v17, v12
	v_mov_b32_e32 v160, 0
	s_waitcnt lgkmcnt(2)
	v_dot4c_i32_i8_e32 v159, v18, v9
	v_dot4c_i32_i8_e32 v160, v150, v6
	v_add_u32_e32 v16, 0x20b0, v113
	v_add_u32_e32 v18, 0x20b8, v113
	;; [unrolled: 1-line block ×3, first 2 shown]
	v_dot4c_i32_i8_e32 v159, v19, v13
	v_dot4c_i32_i8_e32 v160, v151, v10
	ds_read2_b32 v[16:17], v16 offset1:1
	ds_read2_b32 v[18:19], v18 offset1:1
	;; [unrolled: 1-line block ×3, first 2 shown]
	s_waitcnt lgkmcnt(3)
	v_dot4c_i32_i8_e32 v160, v14, v7
	v_dot4c_i32_i8_e32 v160, v15, v11
	s_waitcnt lgkmcnt(2)
	v_dot4c_i32_i8_e32 v160, v16, v8
	v_dot4c_i32_i8_e32 v160, v17, v12
	v_mov_b32_e32 v161, 0
	s_waitcnt lgkmcnt(1)
	v_dot4c_i32_i8_e32 v160, v18, v9
	s_waitcnt lgkmcnt(0)
	v_dot4c_i32_i8_e32 v161, v142, v6
	v_add_u32_e32 v14, 0x4128, v113
	v_add_u32_e32 v16, 0x4130, v113
	;; [unrolled: 1-line block ×4, first 2 shown]
	v_dot4c_i32_i8_e32 v160, v19, v13
	v_dot4c_i32_i8_e32 v161, v143, v10
	ds_read2_b32 v[14:15], v14 offset1:1
	ds_read2_b32 v[16:17], v16 offset1:1
	;; [unrolled: 1-line block ×4, first 2 shown]
	v_mov_b32_e32 v162, 0
	v_mov_b32_e32 v163, 0
	;; [unrolled: 1-line block ×3, first 2 shown]
	s_waitcnt lgkmcnt(3)
	v_dot4c_i32_i8_e32 v161, v14, v7
	s_waitcnt lgkmcnt(0)
	v_dot4c_i32_i8_e32 v162, v142, v6
	v_add_u32_e32 v6, 0x61a8, v113
	v_dot4c_i32_i8_e32 v161, v15, v11
	ds_read2_b32 v[14:15], v6 offset1:1
	v_dot4c_i32_i8_e32 v161, v16, v8
	v_dot4c_i32_i8_e32 v161, v17, v12
	;; [unrolled: 1-line block ×4, first 2 shown]
	v_add_u32_e32 v10, 0x61b0, v113
	v_add_u32_e32 v18, 0x61b8, v113
	v_dot4c_i32_i8_e32 v161, v19, v13
	v_add_u32_e32 v6, 0x20c0, v113
	ds_read2_b32 v[16:17], v10 offset1:1
	ds_read2_b32 v[18:19], v18 offset1:1
	;; [unrolled: 1-line block ×3, first 2 shown]
	s_waitcnt lgkmcnt(3)
	v_dot4c_i32_i8_e32 v162, v14, v7
	v_dot4c_i32_i8_e32 v162, v15, v11
	s_waitcnt lgkmcnt(2)
	v_dot4c_i32_i8_e32 v162, v16, v8
	v_dot4c_i32_i8_e32 v162, v17, v12
	;; [unrolled: 3-line block ×3, first 2 shown]
	ds_read_b128 v[8:11], v109 offset:64
	ds_read_b128 v[12:15], v109 offset:80
	ds_read2_b32 v[6:7], v121 offset1:1
	ds_read2_b32 v[144:145], v119 offset0:2 offset1:3
	ds_read2_b32 v[146:147], v119 offset1:1
	ds_read2_b32 v[148:149], v115 offset0:2 offset1:3
	ds_read2_b32 v[16:17], v113 offset0:18 offset1:19
	s_waitcnt lgkmcnt(6)
	v_dot4c_i32_i8_e32 v163, v20, v8
	s_waitcnt lgkmcnt(5)
	v_dot4c_i32_i8_e32 v163, v21, v12
	ds_read2_b32 v[18:19], v113 offset0:20 offset1:21
	ds_read2_b32 v[20:21], v113 offset0:22 offset1:23
	;; [unrolled: 1-line block ×3, first 2 shown]
	v_dot4c_i32_i8_e32 v164, v142, v8
	s_waitcnt lgkmcnt(3)
	v_dot4c_i32_i8_e32 v163, v16, v9
	v_add_u32_e32 v16, 0x20c8, v113
	v_dot4c_i32_i8_e32 v163, v17, v13
	ds_read2_b32 v[16:17], v16 offset1:1
	s_waitcnt lgkmcnt(3)
	v_dot4c_i32_i8_e32 v163, v18, v10
	v_dot4c_i32_i8_e32 v163, v19, v14
	s_waitcnt lgkmcnt(2)
	v_dot4c_i32_i8_e32 v163, v20, v11
	v_add_u32_e32 v18, 0x20d0, v113
	v_add_u32_e32 v20, 0x20d8, v113
	v_add_u32_e32 v142, 0x4140, v113
	v_dot4c_i32_i8_e32 v163, v21, v15
	v_dot4c_i32_i8_e32 v164, v143, v12
	ds_read2_b32 v[18:19], v18 offset1:1
	ds_read2_b32 v[20:21], v20 offset1:1
	;; [unrolled: 1-line block ×3, first 2 shown]
	s_waitcnt lgkmcnt(3)
	v_dot4c_i32_i8_e32 v164, v16, v9
	v_dot4c_i32_i8_e32 v164, v17, v13
	s_waitcnt lgkmcnt(2)
	v_dot4c_i32_i8_e32 v164, v18, v10
	v_dot4c_i32_i8_e32 v164, v19, v14
	v_mov_b32_e32 v165, 0
	s_waitcnt lgkmcnt(1)
	v_dot4c_i32_i8_e32 v164, v20, v11
	s_waitcnt lgkmcnt(0)
	v_dot4c_i32_i8_e32 v165, v142, v8
	v_add_u32_e32 v16, 0x4148, v113
	v_add_u32_e32 v18, 0x4150, v113
	;; [unrolled: 1-line block ×4, first 2 shown]
	v_dot4c_i32_i8_e32 v164, v21, v15
	ds_read2_b32 v[20:21], v125 offset1:1
	ds_read2_b32 v[152:153], v121 offset0:2 offset1:3
	v_dot4c_i32_i8_e32 v165, v143, v12
	ds_read2_b32 v[16:17], v16 offset1:1
	ds_read2_b32 v[18:19], v18 offset1:1
	;; [unrolled: 1-line block ×4, first 2 shown]
	v_mov_b32_e32 v166, 0
	v_mov_b32_e32 v167, 0
	v_mov_b32_e32 v168, 0
	s_waitcnt lgkmcnt(3)
	v_dot4c_i32_i8_e32 v165, v16, v9
	s_waitcnt lgkmcnt(0)
	v_dot4c_i32_i8_e32 v166, v154, v8
	v_add_u32_e32 v8, 0x61c8, v113
	v_dot4c_i32_i8_e32 v165, v17, v13
	ds_read2_b32 v[16:17], v8 offset1:1
	v_dot4c_i32_i8_e32 v165, v18, v10
	v_dot4c_i32_i8_e32 v165, v19, v14
	v_dot4c_i32_i8_e32 v165, v142, v11
	v_dot4c_i32_i8_e32 v166, v155, v12
	v_add_u32_e32 v12, 0x61d0, v113
	v_add_u32_e32 v142, 0x61d8, v113
	v_dot4c_i32_i8_e32 v165, v143, v15
	v_add_u32_e32 v8, 0x20e0, v113
	ds_read2_b32 v[18:19], v12 offset1:1
	ds_read2_b32 v[142:143], v142 offset1:1
	ds_read2_b32 v[154:155], v8 offset1:1
	s_waitcnt lgkmcnt(3)
	v_dot4c_i32_i8_e32 v166, v16, v9
	v_dot4c_i32_i8_e32 v166, v17, v13
	s_waitcnt lgkmcnt(2)
	v_dot4c_i32_i8_e32 v166, v18, v10
	v_dot4c_i32_i8_e32 v166, v19, v14
	ds_read_b128 v[16:19], v109 offset:96
	s_waitcnt lgkmcnt(2)
	v_dot4c_i32_i8_e32 v166, v142, v11
	ds_read_b128 v[8:11], v109 offset:112
	ds_read2_b32 v[12:13], v113 offset0:26 offset1:27
	v_dot4c_i32_i8_e32 v166, v143, v15
	s_waitcnt lgkmcnt(2)
	v_dot4c_i32_i8_e32 v167, v150, v16
	v_dot4c_i32_i8_e32 v168, v154, v16
	s_waitcnt lgkmcnt(1)
	v_dot4c_i32_i8_e32 v167, v151, v8
	ds_read2_b32 v[14:15], v113 offset0:28 offset1:29
	ds_read2_b32 v[142:143], v115 offset1:1
	ds_read2_b32 v[150:151], v113 offset0:30 offset1:31
	s_waitcnt lgkmcnt(3)
	v_dot4c_i32_i8_e32 v167, v12, v17
	v_add_u32_e32 v12, 0x20e8, v113
	v_dot4c_i32_i8_e32 v167, v13, v9
	ds_read2_b32 v[12:13], v12 offset1:1
	s_waitcnt lgkmcnt(3)
	v_dot4c_i32_i8_e32 v167, v14, v18
	v_dot4c_i32_i8_e32 v167, v15, v10
	s_waitcnt lgkmcnt(1)
	v_dot4c_i32_i8_e32 v167, v150, v19
	v_add_u32_e32 v14, 0x20f0, v113
	v_add_u32_e32 v150, 0x20f8, v113
	;; [unrolled: 1-line block ×3, first 2 shown]
	v_dot4c_i32_i8_e32 v167, v151, v11
	v_dot4c_i32_i8_e32 v168, v155, v8
	ds_read2_b32 v[14:15], v14 offset1:1
	ds_read2_b32 v[150:151], v150 offset1:1
	;; [unrolled: 1-line block ×3, first 2 shown]
	s_waitcnt lgkmcnt(3)
	v_dot4c_i32_i8_e32 v168, v12, v17
	v_dot4c_i32_i8_e32 v168, v13, v9
	s_waitcnt lgkmcnt(2)
	v_dot4c_i32_i8_e32 v168, v14, v18
	v_dot4c_i32_i8_e32 v168, v15, v10
	s_waitcnt lgkmcnt(1)
	v_dot4c_i32_i8_e32 v168, v150, v19
	v_cvt_f32_i32_e32 v15, v156
	v_cvt_f32_i32_e32 v14, v141
	v_dot4c_i32_i8_e32 v168, v151, v11
	v_cvt_f32_i32_e32 v151, v160
	v_cvt_f32_i32_e32 v150, v159
	v_mov_b32_e32 v12, v142
	v_mov_b32_e32 v13, v146
	v_pk_mul_f32 v[12:13], v[2:3], v[12:13] op_sel_hi:[0,1]
	v_mov_b32_e32 v146, v143
	v_pk_fma_f32 v[12:13], v[12:13], v[14:15], v[122:123]
	v_pk_mul_f32 v[14:15], v[2:3], v[146:147] op_sel:[1,0]
	v_pk_fma_f32 v[12:13], v[14:15], v[150:151], v[12:13]
	v_cvt_f32_i32_e32 v15, v164
	v_cvt_f32_i32_e32 v14, v163
	v_mov_b32_e32 v122, v148
	v_mov_b32_e32 v123, v144
	v_pk_mul_f32 v[122:123], v[4:5], v[122:123] op_sel_hi:[0,1]
	v_pk_fma_f32 v[12:13], v[122:123], v[14:15], v[12:13]
	v_cvt_f32_i32_e32 v15, v168
	v_cvt_f32_i32_e32 v14, v167
	v_mov_b32_e32 v142, v5
	v_mov_b32_e32 v144, v149
	v_pk_mul_f32 v[122:123], v[142:143], v[144:145] op_sel_hi:[0,1]
	v_add_u32_e32 v5, 0x4168, v113
	v_pk_fma_f32 v[122:123], v[122:123], v[14:15], v[12:13]
	ds_read2_b32 v[12:13], v5 offset1:1
	v_mov_b32_e32 v141, 0
	s_waitcnt lgkmcnt(1)
	v_dot4c_i32_i8_e32 v141, v154, v16
	v_add_u32_e32 v14, 0x4170, v113
	v_dot4c_i32_i8_e32 v141, v155, v8
	v_add_u32_e32 v143, 0x4178, v113
	v_add_u32_e32 v5, 0x61e0, v113
	ds_read2_b32 v[14:15], v14 offset1:1
	ds_read2_b32 v[144:145], v143 offset1:1
	;; [unrolled: 1-line block ×3, first 2 shown]
	s_waitcnt lgkmcnt(3)
	v_dot4c_i32_i8_e32 v141, v12, v17
	v_add_u32_e32 v5, 0x61e8, v113
	v_dot4c_i32_i8_e32 v141, v13, v9
	ds_read2_b32 v[12:13], v5 offset1:1
	s_waitcnt lgkmcnt(3)
	v_dot4c_i32_i8_e32 v141, v14, v18
	v_add_u32_e32 v5, 0x61f0, v113
	v_dot4c_i32_i8_e32 v141, v15, v10
	v_mov_b32_e32 v143, 0
	ds_read2_b32 v[14:15], v5 offset1:1
	s_waitcnt lgkmcnt(3)
	v_dot4c_i32_i8_e32 v141, v144, v19
	s_waitcnt lgkmcnt(2)
	v_dot4c_i32_i8_e32 v143, v146, v16
	v_add_u32_e32 v5, 0x61f8, v113
	v_dot4c_i32_i8_e32 v141, v145, v11
	v_dot4c_i32_i8_e32 v143, v147, v8
	ds_read2_b32 v[144:145], v5 offset1:1
	s_waitcnt lgkmcnt(2)
	v_dot4c_i32_i8_e32 v143, v12, v17
	v_dot4c_i32_i8_e32 v143, v13, v9
	s_waitcnt lgkmcnt(1)
	v_dot4c_i32_i8_e32 v143, v14, v18
	v_dot4c_i32_i8_e32 v143, v15, v10
	;; [unrolled: 3-line block ×3, first 2 shown]
	v_cvt_f32_i32_e32 v11, v158
	v_cvt_f32_i32_e32 v10, v157
	;; [unrolled: 1-line block ×4, first 2 shown]
	v_mov_b32_e32 v8, v6
	v_mov_b32_e32 v9, v20
	v_pk_mul_f32 v[8:9], v[2:3], v[8:9] op_sel_hi:[0,1]
	v_mov_b32_e32 v20, v7
	v_pk_fma_f32 v[8:9], v[8:9], v[10:11], v[116:117]
	v_pk_mul_f32 v[2:3], v[2:3], v[20:21] op_sel:[1,0]
	v_pk_fma_f32 v[2:3], v[2:3], v[12:13], v[8:9]
	v_mov_b32_e32 v6, v152
	v_mov_b32_e32 v7, v134
	v_cvt_f32_i32_e32 v9, v166
	v_cvt_f32_i32_e32 v8, v165
	v_pk_mul_f32 v[4:5], v[4:5], v[6:7] op_sel_hi:[0,1]
	v_cvt_f32_i32_e32 v7, v143
	v_cvt_f32_i32_e32 v6, v141
	v_mov_b32_e32 v134, v153
	v_pk_fma_f32 v[2:3], v[4:5], v[8:9], v[2:3]
	v_pk_mul_f32 v[4:5], v[142:143], v[134:135] op_sel_hi:[0,1]
	v_pk_fma_f32 v[116:117], v[4:5], v[6:7], v[2:3]
	s_cmp_ge_i32 s20, s9
	s_barrier
	s_cbranch_scc1 .LBB222_5
; %bb.13:                               ;   in Loop: Header=BB222_6 Depth=1
	v_add_u32_e32 v2, s10, v127
	v_cmp_gt_i32_e32 vcc, s12, v2
	s_and_b64 s[24:25], s[2:3], vcc
	s_and_saveexec_b64 s[4:5], s[24:25]
	s_cbranch_execz .LBB222_15
; %bb.14:                               ;   in Loop: Header=BB222_6 Depth=1
	v_add_u32_e32 v2, s10, v131
	v_mad_i64_i32 v[2:3], s[24:25], v2, 36, v[54:55]
	global_load_dword v2, v[2:3], off offset:4
	s_waitcnt vmcnt(0)
	ds_write_b32 v105, v2
.LBB222_15:                             ;   in Loop: Header=BB222_6 Depth=1
	s_or_b64 exec, exec, s[4:5]
	s_and_saveexec_b64 s[4:5], s[0:1]
	s_cbranch_execz .LBB222_4
; %bb.16:                               ;   in Loop: Header=BB222_6 Depth=1
	v_add3_u32 v2, v99, s10, 4
	v_cmp_gt_i32_e32 vcc, s12, v2
	s_and_b64 s[24:25], s[2:3], vcc
	s_and_b64 exec, exec, s[24:25]
	s_cbranch_execz .LBB222_4
; %bb.17:                               ;   in Loop: Header=BB222_6 Depth=1
	global_load_dword v2, v[56:57], off
	s_waitcnt vmcnt(0)
	v_cvt_f32_f16_e32 v2, v2
	ds_write_b32 v107, v2
	s_branch .LBB222_4
.LBB222_18:
	v_mov_b32_e32 v116, v117
	v_mov_b32_e32 v123, v117
	;; [unrolled: 1-line block ×3, first 2 shown]
.LBB222_19:
	s_mul_i32 s0, s14, s11
	s_waitcnt vmcnt(0)
	v_cmp_gt_i32_e32 vcc, s0, v97
	s_and_saveexec_b64 s[0:1], vcc
	s_cbranch_execz .LBB222_28
; %bb.20:
	v_and_b32_e32 v0, 0x3ff, v0
	v_add_u32_e32 v1, s15, v0
	v_mul_lo_u32 v0, v97, s13
	v_cmp_gt_u32_e32 vcc, s13, v1
	s_and_saveexec_b64 s[0:1], vcc
	s_cbranch_execz .LBB222_22
; %bb.21:
	v_bfe_u32 v2, v122, 16, 1
	s_movk_i32 s2, 0x7fff
	v_add3_u32 v2, v122, v2, s2
	v_lshrrev_b32_e32 v2, 16, v2
	v_mov_b32_e32 v3, 0x7fc0
	v_cmp_o_f32_e32 vcc, v122, v122
	v_cndmask_b32_e32 v4, v3, v2, vcc
	v_add_u32_e32 v2, v0, v1
	v_mov_b32_e32 v3, 0
	v_lshlrev_b64 v[2:3], 1, v[2:3]
	v_mov_b32_e32 v5, s17
	v_add_co_u32_e32 v2, vcc, s16, v2
	v_addc_co_u32_e32 v3, vcc, v5, v3, vcc
	global_store_short v[2:3], v4, off
.LBB222_22:
	s_or_b64 exec, exec, s[0:1]
	v_add_u32_e32 v2, 32, v1
	v_cmp_gt_u32_e32 vcc, s13, v2
	s_and_saveexec_b64 s[0:1], vcc
	s_cbranch_execz .LBB222_24
; %bb.23:
	v_bfe_u32 v3, v123, 16, 1
	s_movk_i32 s2, 0x7fff
	v_add3_u32 v3, v123, v3, s2
	v_lshrrev_b32_e32 v3, 16, v3
	v_mov_b32_e32 v4, 0x7fc0
	v_cmp_o_f32_e32 vcc, v123, v123
	v_cndmask_b32_e32 v4, v4, v3, vcc
	v_add_u32_e32 v2, v0, v2
	v_mov_b32_e32 v3, 0
	v_lshlrev_b64 v[2:3], 1, v[2:3]
	v_mov_b32_e32 v5, s17
	v_add_co_u32_e32 v2, vcc, s16, v2
	v_addc_co_u32_e32 v3, vcc, v5, v3, vcc
	global_store_short v[2:3], v4, off
.LBB222_24:
	s_or_b64 exec, exec, s[0:1]
	v_add_u32_e32 v2, 64, v1
	;; [unrolled: 21-line block ×3, first 2 shown]
	v_cmp_gt_u32_e32 vcc, s13, v1
	s_and_b64 exec, exec, vcc
	s_cbranch_execz .LBB222_28
; %bb.27:
	v_bfe_u32 v2, v117, 16, 1
	s_movk_i32 s0, 0x7fff
	v_add3_u32 v2, v117, v2, s0
	v_add_u32_e32 v0, v0, v1
	v_mov_b32_e32 v1, 0
	v_lshrrev_b32_e32 v2, 16, v2
	v_mov_b32_e32 v3, 0x7fc0
	v_cmp_o_f32_e32 vcc, v117, v117
	v_lshlrev_b64 v[0:1], 1, v[0:1]
	v_cndmask_b32_e32 v2, v3, v2, vcc
	v_mov_b32_e32 v3, s17
	v_add_co_u32_e32 v0, vcc, s16, v0
	v_addc_co_u32_e32 v1, vcc, v3, v1, vcc
	global_store_short v[0:1], v2, off
.LBB222_28:
	s_endpgm
	.section	.rodata,"a",@progbits
	.p2align	6, 0x0
	.amdhsa_kernel _ZL8moe_q5_0IN3c108BFloat16ELb1EEvPKvS3_PT_PKiS7_S7_iiiiiii
		.amdhsa_group_segment_fixed_size 38656
		.amdhsa_private_segment_fixed_size 0
		.amdhsa_kernarg_size 76
		.amdhsa_user_sgpr_count 6
		.amdhsa_user_sgpr_private_segment_buffer 1
		.amdhsa_user_sgpr_dispatch_ptr 0
		.amdhsa_user_sgpr_queue_ptr 0
		.amdhsa_user_sgpr_kernarg_segment_ptr 1
		.amdhsa_user_sgpr_dispatch_id 0
		.amdhsa_user_sgpr_flat_scratch_init 0
		.amdhsa_user_sgpr_kernarg_preload_length 0
		.amdhsa_user_sgpr_kernarg_preload_offset 0
		.amdhsa_user_sgpr_private_segment_size 0
		.amdhsa_uses_dynamic_stack 0
		.amdhsa_system_sgpr_private_segment_wavefront_offset 0
		.amdhsa_system_sgpr_workgroup_id_x 1
		.amdhsa_system_sgpr_workgroup_id_y 1
		.amdhsa_system_sgpr_workgroup_id_z 0
		.amdhsa_system_sgpr_workgroup_info 0
		.amdhsa_system_vgpr_workitem_id 1
		.amdhsa_next_free_vgpr 169
		.amdhsa_next_free_sgpr 26
		.amdhsa_accum_offset 172
		.amdhsa_reserve_vcc 1
		.amdhsa_reserve_flat_scratch 0
		.amdhsa_float_round_mode_32 0
		.amdhsa_float_round_mode_16_64 0
		.amdhsa_float_denorm_mode_32 3
		.amdhsa_float_denorm_mode_16_64 3
		.amdhsa_dx10_clamp 1
		.amdhsa_ieee_mode 1
		.amdhsa_fp16_overflow 0
		.amdhsa_tg_split 0
		.amdhsa_exception_fp_ieee_invalid_op 0
		.amdhsa_exception_fp_denorm_src 0
		.amdhsa_exception_fp_ieee_div_zero 0
		.amdhsa_exception_fp_ieee_overflow 0
		.amdhsa_exception_fp_ieee_underflow 0
		.amdhsa_exception_fp_ieee_inexact 0
		.amdhsa_exception_int_div_zero 0
	.end_amdhsa_kernel
	.section	.text._ZL8moe_q5_0IN3c108BFloat16ELb1EEvPKvS3_PT_PKiS7_S7_iiiiiii,"axG",@progbits,_ZL8moe_q5_0IN3c108BFloat16ELb1EEvPKvS3_PT_PKiS7_S7_iiiiiii,comdat
.Lfunc_end222:
	.size	_ZL8moe_q5_0IN3c108BFloat16ELb1EEvPKvS3_PT_PKiS7_S7_iiiiiii, .Lfunc_end222-_ZL8moe_q5_0IN3c108BFloat16ELb1EEvPKvS3_PT_PKiS7_S7_iiiiiii
                                        ; -- End function
	.section	.AMDGPU.csdata,"",@progbits
; Kernel info:
; codeLenInByte = 13228
; NumSgprs: 30
; NumVgprs: 169
; NumAgprs: 0
; TotalNumVgprs: 169
; ScratchSize: 0
; MemoryBound: 0
; FloatMode: 240
; IeeeMode: 1
; LDSByteSize: 38656 bytes/workgroup (compile time only)
; SGPRBlocks: 3
; VGPRBlocks: 21
; NumSGPRsForWavesPerEU: 30
; NumVGPRsForWavesPerEU: 169
; AccumOffset: 172
; Occupancy: 1
; WaveLimiterHint : 1
; COMPUTE_PGM_RSRC2:SCRATCH_EN: 0
; COMPUTE_PGM_RSRC2:USER_SGPR: 6
; COMPUTE_PGM_RSRC2:TRAP_HANDLER: 0
; COMPUTE_PGM_RSRC2:TGID_X_EN: 1
; COMPUTE_PGM_RSRC2:TGID_Y_EN: 1
; COMPUTE_PGM_RSRC2:TGID_Z_EN: 0
; COMPUTE_PGM_RSRC2:TIDIG_COMP_CNT: 1
; COMPUTE_PGM_RSRC3_GFX90A:ACCUM_OFFSET: 42
; COMPUTE_PGM_RSRC3_GFX90A:TG_SPLIT: 0
	.section	.text._ZL8moe_q5_1IN3c108BFloat16ELb0EEvPKvS3_PT_PKiS7_S7_iiiiiii,"axG",@progbits,_ZL8moe_q5_1IN3c108BFloat16ELb0EEvPKvS3_PT_PKiS7_S7_iiiiiii,comdat
	.globl	_ZL8moe_q5_1IN3c108BFloat16ELb0EEvPKvS3_PT_PKiS7_S7_iiiiiii ; -- Begin function _ZL8moe_q5_1IN3c108BFloat16ELb0EEvPKvS3_PT_PKiS7_S7_iiiiiii
	.p2align	8
	.type	_ZL8moe_q5_1IN3c108BFloat16ELb0EEvPKvS3_PT_PKiS7_S7_iiiiiii,@function
_ZL8moe_q5_1IN3c108BFloat16ELb0EEvPKvS3_PT_PKiS7_S7_iiiiiii: ; @_ZL8moe_q5_1IN3c108BFloat16ELb0EEvPKvS3_PT_PKiS7_S7_iiiiiii
; %bb.0:
	s_load_dwordx4 s[0:3], s[4:5], 0x18
	s_mov_b32 s8, s7
	s_mov_b32 s9, 0
	s_lshl_b64 s[10:11], s[8:9], 2
	s_waitcnt lgkmcnt(0)
	s_add_u32 s2, s2, s10
	s_addc_u32 s3, s3, s11
	s_load_dword s2, s[2:3], 0x0
	s_waitcnt lgkmcnt(0)
	s_cmpk_gt_u32 s2, 0xff
	s_cbranch_scc1 .LBB223_28
; %bb.1:
	s_load_dwordx2 s[10:11], s[4:5], 0x28
	s_lshl_b32 s3, s8, 3
	s_waitcnt lgkmcnt(0)
	s_load_dword s7, s[10:11], 0x0
	s_waitcnt lgkmcnt(0)
	s_cmp_gt_u32 s3, s7
	s_cbranch_scc1 .LBB223_28
; %bb.2:
	v_bfe_u32 v1, v0, 10, 10
	v_add_u32_e32 v92, s3, v1
	v_mov_b32_e32 v93, 0
	v_lshlrev_b64 v[2:3], 2, v[92:93]
	v_mov_b32_e32 v4, s1
	v_add_co_u32_e32 v2, vcc, s0, v2
	v_addc_co_u32_e32 v3, vcc, v4, v3, vcc
	global_load_dword v101, v[2:3], off
	s_load_dwordx2 s[14:15], s[4:5], 0x30
	s_load_dwordx2 s[12:13], s[4:5], 0x10
	s_load_dwordx4 s[8:11], s[4:5], 0x3c
	s_lshl_b32 s16, s6, 7
	s_waitcnt lgkmcnt(0)
	s_cmp_lt_i32 s15, 32
	s_cbranch_scc1 .LBB223_18
; %bb.3:
	s_ashr_i32 s1, s9, 31
	s_lshr_b32 s1, s1, 27
	s_add_i32 s1, s9, s1
	v_and_b32_e32 v116, 0x3ff, v0
	s_ashr_i32 s9, s1, 5
	v_lshlrev_b32_e32 v3, 3, v116
	s_movk_i32 s1, 0x104
	s_ashr_i32 s0, s15, 31
	v_mad_u32_u24 v118, v1, s1, v3
	v_lshlrev_b32_e32 v3, 2, v1
	v_lshrrev_b32_e32 v134, 3, v116
	s_load_dwordx4 s[4:7], s[4:5], 0x0
	s_lshr_b32 s0, s0, 27
	v_and_b32_e32 v21, 7, v116
	v_add_u32_e32 v22, v134, v3
	s_add_i32 s0, s15, s0
	s_mul_i32 s14, s2, s14
	v_and_b32_e32 v23, 0x1ffc, v22
	v_lshlrev_b32_e32 v24, 2, v21
	s_mov_b32 s2, 0x8200
	s_ashr_i32 s17, s0, 5
	v_add3_u32 v92, v23, v24, s2
	v_add_u32_e32 v23, 32, v22
	v_lshlrev_b32_e32 v2, 2, v116
	v_mul_lo_u32 v89, s17, v22
	v_lshlrev_b32_e32 v93, 5, v22
	v_and_b32_e32 v25, 0x3ffc, v23
	v_lshlrev_b32_e32 v102, 5, v23
	v_add_u32_e32 v23, 64, v22
	v_add_u32_e32 v22, 0x60, v22
	v_and_b32_e32 v117, 12, v2
	v_add3_u32 v95, v25, v24, s2
	v_and_b32_e32 v25, 0x3ffc, v23
	v_lshlrev_b32_e32 v104, 5, v23
	v_and_b32_e32 v23, 0x3ffc, v22
	v_and_b32_e32 v2, 28, v2
	v_add3_u32 v103, v25, v24, s2
	v_add3_u32 v105, v23, v24, s2
	v_lshlrev_b32_e32 v106, 5, v22
	v_and_b32_e32 v24, 31, v116
	s_waitcnt lgkmcnt(0)
	v_add_co_u32_e32 v22, vcc, s6, v2
	v_lshlrev_b32_e32 v2, 7, v1
	v_lshl_or_b32 v24, v24, 2, v2
	v_add_u32_e32 v135, 0x9280, v24
	v_mov_b32_e32 v24, 0x9680
	v_mul_lo_u32 v5, s17, v1
	v_add_u32_e32 v137, 0x9280, v2
	v_lshl_add_u32 v138, v1, 4, v24
	v_and_b32_e32 v1, 0xfc, v116
	v_lshlrev_b32_e32 v2, 5, v116
	v_or_b32_e32 v3, v3, v116
	v_add3_u32 v140, v2, v1, s2
	v_add_u32_e32 v1, 32, v116
	v_lshl_add_u32 v136, v3, 2, v24
	v_and_b32_e32 v2, 0x1fc, v1
	v_lshlrev_b32_e32 v3, 5, v1
	v_add3_u32 v141, v3, v2, s2
	v_add_u32_e32 v2, 64, v116
	v_and_b32_e32 v3, 0x1fc, v2
	v_lshlrev_b32_e32 v2, 5, v2
	s_abs_i32 s3, s11
	v_add3_u32 v142, v2, v3, s2
	v_cvt_f32_u32_e32 v3, s3
	v_add_u32_e32 v2, 0x60, v116
	v_and_b32_e32 v24, 0x1fc, v2
	v_lshlrev_b32_e32 v2, 5, v2
	v_add3_u32 v143, v2, v24, s2
	v_rcp_iflag_f32_e32 v2, v3
	s_sub_i32 s2, 0, s3
	s_waitcnt vmcnt(0)
	v_sub_u32_e32 v3, 0, v101
	v_max_i32_e32 v3, v101, v3
	v_mul_f32_e32 v2, 0x4f7ffffe, v2
	v_cvt_u32_f32_e32 v2, v2
	v_mov_b32_e32 v23, s7
	v_addc_co_u32_e32 v23, vcc, 0, v23, vcc
	v_mul_lo_u32 v24, s2, v2
	v_mul_hi_u32 v24, v2, v24
	v_add_u32_e32 v2, v2, v24
	v_mul_hi_u32 v2, v3, v2
	v_mul_lo_u32 v24, v2, s3
	v_sub_u32_e32 v3, v3, v24
	v_add_u32_e32 v24, 1, v2
	v_cmp_le_u32_e32 vcc, s3, v3
	v_cndmask_b32_e32 v2, v2, v24, vcc
	v_subrev_u32_e32 v24, s3, v3
	v_cndmask_b32_e32 v3, v3, v24, vcc
	v_lshrrev_b32_e32 v144, 3, v1
	v_xor_b32_e32 v1, s11, v101
	v_add_u32_e32 v24, 1, v2
	v_cmp_le_u32_e32 vcc, s3, v3
	v_ashrrev_i32_e32 v1, 31, v1
	v_cndmask_b32_e32 v2, v2, v24, vcc
	v_xor_b32_e32 v2, v2, v1
	v_sub_u32_e32 v1, v2, v1
	v_cmp_gt_i32_e64 s[2:3], s8, v1
	v_mul_lo_u32 v1, v1, s9
	v_ashrrev_i32_e32 v2, 31, v1
	v_add_co_u32_e32 v3, vcc, v1, v116
	s_mul_i32 s20, s17, s16
	v_addc_co_u32_e32 v24, vcc, 0, v2, vcc
	v_mad_u64_u32 v[2:3], s[22:23], v3, 36, s[6:7]
	s_movk_i32 s21, 0x90
	v_mad_i32_i24 v3, v24, 36, v3
	v_add_co_u32_e32 v24, vcc, s21, v2
	s_mul_hi_i32 s21, s20, 24
	s_mul_i32 s22, s20, 24
	v_lshrrev_b32_e32 v4, 2, v116
	v_addc_co_u32_e32 v25, vcc, 0, v3, vcc
	v_mov_b32_e32 v2, s22
	v_mov_b32_e32 v3, s21
	s_lshl_b32 s1, s17, 3
	v_mad_u64_u32 v[2:3], s[22:23], v4, 24, v[2:3]
	v_add_u32_e32 v6, s1, v5
	v_mad_u64_u32 v[4:5], s[22:23], v5, 24, v[2:3]
	v_add_u32_e32 v145, v116, v1
	v_add_u32_e32 v146, v144, v1
	;; [unrolled: 1-line block ×3, first 2 shown]
	v_add_co_u32_e32 v1, vcc, v4, v117
	v_addc_co_u32_e32 v26, vcc, 0, v5, vcc
	v_mov_b32_e32 v85, s5
	v_add_co_u32_e32 v1, vcc, s4, v1
	v_addc_co_u32_e32 v27, vcc, v26, v85, vcc
	v_add_co_u32_e32 v26, vcc, 8, v1
	v_addc_co_u32_e32 v1, vcc, 0, v27, vcc
	v_mov_b32_e32 v27, s5
	v_add_co_u32_e32 v28, vcc, s4, v4
	v_addc_co_u32_e32 v27, vcc, v27, v5, vcc
	v_mad_u64_u32 v[4:5], s[22:23], v6, 24, v[2:3]
	v_add_co_u32_e32 v4, vcc, s4, v4
	v_addc_co_u32_e32 v5, vcc, v5, v85, vcc
	v_add_u32_e32 v7, s1, v6
	v_add_co_u32_e32 v6, vcc, v4, v117
	v_addc_co_u32_e32 v29, vcc, 0, v5, vcc
	v_add_co_u32_e32 v30, vcc, 8, v6
	v_addc_co_u32_e32 v29, vcc, 0, v29, vcc
	;; [unrolled: 2-line block ×3, first 2 shown]
	v_mad_u64_u32 v[4:5], s[22:23], v7, 24, v[2:3]
	v_add_co_u32_e32 v4, vcc, s4, v4
	v_addc_co_u32_e32 v5, vcc, v5, v85, vcc
	v_add_co_u32_e32 v6, vcc, v4, v117
	v_add_u32_e32 v8, s1, v7
	v_addc_co_u32_e32 v7, vcc, 0, v5, vcc
	v_add_co_u32_e32 v34, vcc, 8, v6
	v_addc_co_u32_e32 v33, vcc, 0, v7, vcc
	v_add_co_u32_e32 v36, vcc, 4, v4
	v_addc_co_u32_e32 v35, vcc, 0, v5, vcc
	v_mad_u64_u32 v[4:5], s[22:23], v8, 24, v[2:3]
	v_add_co_u32_e32 v4, vcc, s4, v4
	v_addc_co_u32_e32 v5, vcc, v5, v85, vcc
	v_add_co_u32_e32 v6, vcc, v4, v117
	v_addc_co_u32_e32 v7, vcc, 0, v5, vcc
	v_add_co_u32_e32 v38, vcc, 8, v6
	v_addc_co_u32_e32 v37, vcc, 0, v7, vcc
	v_add_u32_e32 v9, s1, v8
	v_add_co_u32_e32 v40, vcc, 4, v4
	v_addc_co_u32_e32 v39, vcc, 0, v5, vcc
	v_mad_u64_u32 v[4:5], s[22:23], v9, 24, v[2:3]
	v_add_co_u32_e32 v4, vcc, s4, v4
	v_addc_co_u32_e32 v5, vcc, v5, v85, vcc
	v_add_co_u32_e32 v6, vcc, v4, v117
	v_addc_co_u32_e32 v7, vcc, 0, v5, vcc
	v_add_co_u32_e32 v42, vcc, 8, v6
	v_addc_co_u32_e32 v41, vcc, 0, v7, vcc
	v_add_u32_e32 v10, s1, v9
	;; [unrolled: 10-line block ×12, first 2 shown]
	v_add_co_u32_e32 v84, vcc, 4, v4
	v_addc_co_u32_e32 v83, vcc, 0, v5, vcc
	v_mad_u64_u32 v[2:3], s[22:23], v20, 24, v[2:3]
	v_add_co_u32_e32 v2, vcc, s4, v2
	v_addc_co_u32_e32 v3, vcc, v3, v85, vcc
	v_add_co_u32_e32 v4, vcc, v2, v117
	v_addc_co_u32_e32 v5, vcc, 0, v3, vcc
	;; [unrolled: 2-line block ×4, first 2 shown]
	v_mad_u64_u32 v[2:3], s[22:23], v89, 24, 0
	v_mad_i64_i32 v[2:3], s[22:23], s20, 24, v[2:3]
	s_andn2_b32 s0, s0, 31
	v_mad_u64_u32 v[2:3], s[22:23], v21, 24, v[2:3]
	v_add_u32_e32 v91, s0, v89
	v_mov_b32_e32 v4, s5
	v_add_co_u32_e32 v90, vcc, s4, v2
	v_addc_co_u32_e32 v89, vcc, v4, v3, vcc
	v_mad_u64_u32 v[2:3], s[22:23], v91, 24, 0
	v_mad_i64_i32 v[2:3], s[22:23], s20, 24, v[2:3]
	v_mad_u64_u32 v[2:3], s[22:23], v21, 24, v[2:3]
	v_add_u32_e32 v94, s0, v91
	v_add_co_u32_e32 v96, vcc, s4, v2
	v_addc_co_u32_e32 v91, vcc, v4, v3, vcc
	v_mad_u64_u32 v[2:3], s[22:23], v94, 24, 0
	v_mad_i64_i32 v[2:3], s[22:23], s20, 24, v[2:3]
	v_mad_u64_u32 v[2:3], s[22:23], v21, 24, v[2:3]
	v_add_u32_e32 v99, s0, v94
	v_add_co_u32_e32 v98, vcc, s4, v2
	v_addc_co_u32_e32 v97, vcc, v4, v3, vcc
	v_mad_u64_u32 v[2:3], s[22:23], v99, 24, 0
	v_mad_i64_i32 v[2:3], s[20:21], s20, 24, v[2:3]
	v_mad_u64_u32 v[2:3], s[20:21], v21, 24, v[2:3]
	v_add_co_u32_e32 v100, vcc, s4, v2
	v_mov_b32_e32 v94, 0
	s_ashr_i32 s18, s14, 31
	s_mov_b32 s19, 0
	v_add_u32_e32 v119, 0x820, v118
	v_add_u32_e32 v120, 0x1040, v118
	;; [unrolled: 1-line block ×15, first 2 shown]
	v_cmp_gt_u32_e64 s[0:1], 4, v116
	v_mul_u32_u24_e32 v139, 0x104, v116
	v_addc_co_u32_e32 v99, vcc, v4, v3, vcc
	s_movk_i32 s20, 0x80
	v_add_u32_e32 v148, v92, v93
	v_add_u32_e32 v149, v95, v102
	;; [unrolled: 1-line block ×4, first 2 shown]
	v_mov_b32_e32 v95, v94
	v_mov_b32_e32 v92, v94
	v_mov_b32_e32 v93, v94
	s_branch .LBB223_6
.LBB223_4:                              ;   in Loop: Header=BB223_6 Depth=1
	s_or_b64 exec, exec, s[4:5]
	s_waitcnt lgkmcnt(0)
	s_barrier
	ds_read_b128 v[14:17], v137
	ds_read_b128 v[18:21], v137 offset:16
	ds_read_b128 v[2:5], v138
	ds_read2_b32 v[102:103], v139 offset0:32 offset1:33
	ds_read_b128 v[10:13], v137 offset:32
	ds_read_b128 v[6:9], v137 offset:48
	ds_read2_b32 v[104:105], v140 offset0:4 offset1:5
	ds_read2_b32 v[106:107], v139 offset0:34 offset1:35
	v_mov_b32_e32 v110, 0
	s_waitcnt lgkmcnt(4)
	v_dot4c_i32_i8_e32 v110, v102, v14
	v_dot4c_i32_i8_e32 v110, v103, v18
	ds_read2_b32 v[102:103], v139 offset0:36 offset1:37
	ds_read2_b32 v[112:113], v139 offset0:38 offset1:39
	;; [unrolled: 1-line block ×3, first 2 shown]
	s_waitcnt lgkmcnt(3)
	v_dot4c_i32_i8_e32 v110, v106, v15
	v_dot4c_i32_i8_e32 v110, v107, v19
	s_waitcnt lgkmcnt(2)
	v_dot4c_i32_i8_e32 v110, v102, v16
	v_dot4c_i32_i8_e32 v110, v103, v20
	;; [unrolled: 3-line block ×3, first 2 shown]
	v_add_u32_e32 v102, 0x2100, v139
	ds_read2_b32 v[112:113], v139 offset0:58 offset1:59
	ds_read2_b32 v[114:115], v139 offset0:60 offset1:61
	;; [unrolled: 1-line block ×3, first 2 shown]
	ds_read2_b32 v[106:107], v102 offset1:1
	v_mov_b32_e32 v168, 0
	v_pk_mul_f16 v111, v2, v104
	v_add_u32_e32 v104, 0x2108, v139
	ds_read2_b32 v[154:155], v141 offset0:4 offset1:5
	ds_read2_b32 v[102:103], v143 offset0:6 offset1:7
	s_waitcnt lgkmcnt(2)
	v_dot4c_i32_i8_e32 v168, v106, v14
	v_dot4c_i32_i8_e32 v168, v107, v18
	ds_read2_b32 v[106:107], v104 offset1:1
	v_add_u32_e32 v156, 0x2110, v139
	v_add_u32_e32 v158, 0x2118, v139
	;; [unrolled: 1-line block ×3, first 2 shown]
	ds_read2_b32 v[156:157], v156 offset1:1
	ds_read2_b32 v[158:159], v158 offset1:1
	ds_read2_b32 v[160:161], v104 offset1:1
	s_waitcnt lgkmcnt(3)
	v_dot4c_i32_i8_e32 v168, v106, v15
	v_dot4c_i32_i8_e32 v168, v107, v19
	s_waitcnt lgkmcnt(2)
	v_dot4c_i32_i8_e32 v168, v156, v16
	v_dot4c_i32_i8_e32 v168, v157, v20
	v_mov_b32_e32 v169, 0
	s_waitcnt lgkmcnt(1)
	v_dot4c_i32_i8_e32 v168, v158, v17
	s_waitcnt lgkmcnt(0)
	v_dot4c_i32_i8_e32 v169, v160, v14
	v_add_u32_e32 v104, 0x4188, v139
	v_add_u32_e32 v162, 0x4190, v139
	;; [unrolled: 1-line block ×3, first 2 shown]
	v_dot4c_i32_i8_e32 v168, v159, v21
	ds_read2_b32 v[156:157], v142 offset0:4 offset1:5
	ds_read2_b32 v[106:107], v141 offset0:6 offset1:7
	ds_read2_b32 v[158:159], v140 offset0:6 offset1:7
	v_dot4c_i32_i8_e32 v169, v161, v18
	ds_read2_b32 v[160:161], v104 offset1:1
	v_add_u32_e32 v104, 0x6200, v139
	ds_read2_b32 v[162:163], v162 offset1:1
	ds_read2_b32 v[164:165], v164 offset1:1
	;; [unrolled: 1-line block ×3, first 2 shown]
	v_mov_b32_e32 v170, 0
	v_add_u32_e32 v104, 0x6218, v139
	s_waitcnt lgkmcnt(3)
	v_dot4c_i32_i8_e32 v169, v160, v15
	v_dot4c_i32_i8_e32 v169, v161, v19
	s_waitcnt lgkmcnt(0)
	v_dot4c_i32_i8_e32 v170, v166, v14
	v_add_u32_e32 v14, 0x6208, v139
	ds_read2_b32 v[160:161], v14 offset1:1
	v_dot4c_i32_i8_e32 v169, v162, v16
	v_dot4c_i32_i8_e32 v169, v163, v20
	;; [unrolled: 1-line block ×4, first 2 shown]
	v_add_u32_e32 v18, 0x6210, v139
	v_dot4c_i32_i8_e32 v169, v165, v21
	v_add_u32_e32 v14, 0x2120, v139
	ds_read2_b32 v[162:163], v18 offset1:1
	ds_read2_b32 v[164:165], v104 offset1:1
	;; [unrolled: 1-line block ×3, first 2 shown]
	s_waitcnt lgkmcnt(3)
	v_dot4c_i32_i8_e32 v170, v160, v15
	v_dot4c_i32_i8_e32 v170, v161, v19
	s_waitcnt lgkmcnt(2)
	v_dot4c_i32_i8_e32 v170, v162, v16
	v_dot4c_i32_i8_e32 v170, v163, v20
	ds_read2_b32 v[18:19], v143 offset0:4 offset1:5
	ds_read2_b32 v[14:15], v142 offset0:6 offset1:7
	s_waitcnt lgkmcnt(3)
	v_dot4c_i32_i8_e32 v170, v164, v17
	ds_read2_b32 v[16:17], v139 offset0:42 offset1:43
	v_mov_b32_e32 v163, 0
	v_dot4c_i32_i8_e32 v163, v108, v10
	v_dot4c_i32_i8_e32 v170, v165, v21
	v_dot4c_i32_i8_e32 v163, v109, v6
	ds_read2_b32 v[20:21], v139 offset0:44 offset1:45
	ds_read2_b32 v[108:109], v139 offset0:46 offset1:47
	;; [unrolled: 1-line block ×3, first 2 shown]
	v_pk_mul_f16 v154, v2, v154
	v_pk_mul_f16 v156, v2, v156
	s_waitcnt lgkmcnt(5)
	v_pk_mul_f16 v162, v2, v18
	s_waitcnt lgkmcnt(3)
	v_dot4c_i32_i8_e32 v163, v16, v11
	v_add_u32_e32 v2, 0x2128, v139
	v_dot4c_i32_i8_e32 v163, v17, v7
	ds_read2_b32 v[16:17], v2 offset1:1
	s_waitcnt lgkmcnt(3)
	v_dot4c_i32_i8_e32 v163, v20, v12
	v_dot4c_i32_i8_e32 v163, v21, v8
	v_mov_b32_e32 v165, 0
	s_waitcnt lgkmcnt(2)
	v_dot4c_i32_i8_e32 v163, v108, v13
	v_dot4c_i32_i8_e32 v165, v166, v10
	v_add_u32_e32 v18, 0x2130, v139
	v_add_u32_e32 v104, 0x2138, v139
	v_dot4c_i32_i8_e32 v163, v109, v9
	v_pk_mul_f16 v164, v3, v105
	v_dot4c_i32_i8_e32 v165, v167, v6
	v_add_u32_e32 v2, 0x41a0, v139
	ds_read2_b32 v[20:21], v18 offset1:1
	ds_read2_b32 v[104:105], v104 offset1:1
	;; [unrolled: 1-line block ×3, first 2 shown]
	s_waitcnt lgkmcnt(3)
	v_dot4c_i32_i8_e32 v165, v16, v11
	v_dot4c_i32_i8_e32 v165, v17, v7
	v_add_u32_e32 v2, 0x41a8, v139
	s_waitcnt lgkmcnt(2)
	v_dot4c_i32_i8_e32 v165, v20, v12
	ds_read2_b32 v[16:17], v2 offset1:1
	v_dot4c_i32_i8_e32 v165, v21, v8
	v_mov_b32_e32 v166, 0
	s_waitcnt lgkmcnt(2)
	v_dot4c_i32_i8_e32 v165, v104, v13
	s_waitcnt lgkmcnt(1)
	v_dot4c_i32_i8_e32 v166, v108, v10
	v_add_u32_e32 v18, 0x41b0, v139
	v_add_u32_e32 v104, 0x41b8, v139
	v_dot4c_i32_i8_e32 v165, v105, v9
	v_dot4c_i32_i8_e32 v166, v109, v6
	v_add_u32_e32 v2, 0x6220, v139
	ds_read2_b32 v[20:21], v18 offset1:1
	ds_read2_b32 v[104:105], v104 offset1:1
	;; [unrolled: 1-line block ×3, first 2 shown]
	s_waitcnt lgkmcnt(3)
	v_dot4c_i32_i8_e32 v166, v16, v11
	v_add_u32_e32 v2, 0x6228, v139
	v_dot4c_i32_i8_e32 v166, v17, v7
	ds_read2_b32 v[16:17], v2 offset1:1
	s_waitcnt lgkmcnt(3)
	v_dot4c_i32_i8_e32 v166, v20, v12
	v_mov_b32_e32 v167, 0
	v_dot4c_i32_i8_e32 v166, v21, v8
	s_waitcnt lgkmcnt(1)
	v_dot4c_i32_i8_e32 v167, v108, v10
	v_dot4c_i32_i8_e32 v166, v104, v13
	;; [unrolled: 1-line block ×3, first 2 shown]
	v_add_u32_e32 v6, 0x6230, v139
	v_dot4c_i32_i8_e32 v166, v105, v9
	v_add_u32_e32 v10, 0x6238, v139
	v_add_u32_e32 v2, 0x2140, v139
	ds_read2_b32 v[20:21], v6 offset1:1
	ds_read2_b32 v[104:105], v10 offset1:1
	;; [unrolled: 1-line block ×3, first 2 shown]
	s_waitcnt lgkmcnt(3)
	v_dot4c_i32_i8_e32 v167, v16, v11
	v_dot4c_i32_i8_e32 v167, v17, v7
	s_waitcnt lgkmcnt(2)
	v_dot4c_i32_i8_e32 v167, v20, v12
	v_dot4c_i32_i8_e32 v167, v21, v8
	s_waitcnt lgkmcnt(1)
	v_dot4c_i32_i8_e32 v167, v104, v13
	ds_read_b128 v[10:13], v137 offset:64
	v_dot4c_i32_i8_e32 v167, v105, v9
	ds_read_b128 v[6:9], v137 offset:80
	v_pk_mul_f16 v155, v3, v155
	v_pk_mul_f16 v157, v3, v157
	;; [unrolled: 1-line block ×3, first 2 shown]
	ds_read2_b32 v[2:3], v139 offset0:50 offset1:51
	v_mov_b32_e32 v172, 0
	s_waitcnt lgkmcnt(2)
	v_dot4c_i32_i8_e32 v172, v160, v10
	s_waitcnt lgkmcnt(1)
	v_dot4c_i32_i8_e32 v172, v161, v6
	ds_read2_b32 v[16:17], v139 offset0:52 offset1:53
	ds_read2_b32 v[18:19], v139 offset0:54 offset1:55
	;; [unrolled: 1-line block ×3, first 2 shown]
	s_waitcnt lgkmcnt(3)
	v_dot4c_i32_i8_e32 v172, v2, v11
	v_add_u32_e32 v2, 0x2148, v139
	v_dot4c_i32_i8_e32 v172, v3, v7
	ds_read2_b32 v[2:3], v2 offset1:1
	s_waitcnt lgkmcnt(3)
	v_dot4c_i32_i8_e32 v172, v16, v12
	v_dot4c_i32_i8_e32 v172, v17, v8
	v_mov_b32_e32 v160, 0
	s_waitcnt lgkmcnt(2)
	v_dot4c_i32_i8_e32 v172, v18, v13
	v_dot4c_i32_i8_e32 v160, v108, v10
	v_add_u32_e32 v16, 0x2150, v139
	v_add_u32_e32 v18, 0x2158, v139
	;; [unrolled: 1-line block ×3, first 2 shown]
	v_dot4c_i32_i8_e32 v172, v19, v9
	v_dot4c_i32_i8_e32 v160, v109, v6
	ds_read2_b32 v[16:17], v16 offset1:1
	ds_read2_b32 v[18:19], v18 offset1:1
	;; [unrolled: 1-line block ×3, first 2 shown]
	s_waitcnt lgkmcnt(3)
	v_dot4c_i32_i8_e32 v160, v2, v11
	v_dot4c_i32_i8_e32 v160, v3, v7
	v_add_u32_e32 v2, 0x41c8, v139
	s_waitcnt lgkmcnt(2)
	v_dot4c_i32_i8_e32 v160, v16, v12
	ds_read2_b32 v[2:3], v2 offset1:1
	v_dot4c_i32_i8_e32 v160, v17, v8
	v_mov_b32_e32 v161, 0
	s_waitcnt lgkmcnt(2)
	v_dot4c_i32_i8_e32 v160, v18, v13
	s_waitcnt lgkmcnt(1)
	v_dot4c_i32_i8_e32 v161, v104, v10
	v_add_u32_e32 v16, 0x41d0, v139
	v_add_u32_e32 v18, 0x41d8, v139
	;; [unrolled: 1-line block ×3, first 2 shown]
	v_dot4c_i32_i8_e32 v160, v19, v9
	v_dot4c_i32_i8_e32 v161, v105, v6
	ds_read2_b32 v[16:17], v16 offset1:1
	ds_read2_b32 v[18:19], v18 offset1:1
	;; [unrolled: 1-line block ×3, first 2 shown]
	s_waitcnt lgkmcnt(3)
	v_dot4c_i32_i8_e32 v161, v2, v11
	v_add_u32_e32 v2, 0x6248, v139
	v_dot4c_i32_i8_e32 v161, v3, v7
	ds_read2_b32 v[2:3], v2 offset1:1
	v_mov_b32_e32 v174, 0
	s_waitcnt lgkmcnt(1)
	v_dot4c_i32_i8_e32 v174, v104, v10
	v_dot4c_i32_i8_e32 v161, v16, v12
	;; [unrolled: 1-line block ×3, first 2 shown]
	v_add_u32_e32 v6, 0x6250, v139
	v_dot4c_i32_i8_e32 v161, v17, v8
	v_pk_mul_f16 v173, v4, v14
	v_add_u32_e32 v10, 0x6258, v139
	v_add_u32_e32 v14, 0x2160, v139
	ds_read2_b32 v[16:17], v6 offset1:1
	ds_read2_b32 v[104:105], v10 offset1:1
	;; [unrolled: 1-line block ×3, first 2 shown]
	s_waitcnt lgkmcnt(3)
	v_dot4c_i32_i8_e32 v174, v2, v11
	v_dot4c_i32_i8_e32 v174, v3, v7
	s_waitcnt lgkmcnt(2)
	v_dot4c_i32_i8_e32 v174, v16, v12
	v_dot4c_i32_i8_e32 v161, v18, v13
	;; [unrolled: 1-line block ×4, first 2 shown]
	s_waitcnt lgkmcnt(1)
	v_dot4c_i32_i8_e32 v174, v104, v13
	ds_read_b128 v[10:13], v137 offset:96
	ds_read_b128 v[16:19], v137 offset:112
	v_pk_mul_f16 v158, v4, v158
	v_pk_mul_f16 v106, v4, v106
	;; [unrolled: 1-line block ×3, first 2 shown]
	v_mov_b32_e32 v4, 0
	v_add_u32_e32 v2, 0x2168, v139
	s_waitcnt lgkmcnt(1)
	v_dot4c_i32_i8_e32 v4, v20, v10
	ds_read2_b32 v[2:3], v2 offset1:1
	s_waitcnt lgkmcnt(1)
	v_dot4c_i32_i8_e32 v4, v21, v16
	v_dot4c_i32_i8_e32 v4, v112, v11
	v_mov_b32_e32 v112, 0
	v_dot4c_i32_i8_e32 v112, v108, v10
	v_add_u32_e32 v6, 0x2170, v139
	v_add_u32_e32 v8, 0x2178, v139
	;; [unrolled: 1-line block ×3, first 2 shown]
	v_dot4c_i32_i8_e32 v174, v105, v9
	v_dot4c_i32_i8_e32 v112, v109, v16
	ds_read2_b32 v[6:7], v6 offset1:1
	ds_read2_b32 v[8:9], v8 offset1:1
	ds_read2_b32 v[20:21], v20 offset1:1
	s_waitcnt lgkmcnt(3)
	v_dot4c_i32_i8_e32 v112, v2, v11
	v_dot4c_i32_i8_e32 v112, v3, v17
	s_waitcnt lgkmcnt(2)
	v_dot4c_i32_i8_e32 v112, v6, v12
	v_dot4c_i32_i8_e32 v112, v7, v18
	;; [unrolled: 3-line block ×3, first 2 shown]
	v_cvt_f32_f16_e32 v3, v154
	v_cvt_f32_f16_e32 v2, v111
	v_cvt_f32_f16_sdwa v7, v154 dst_sel:DWORD dst_unused:UNUSED_PAD src0_sel:WORD_1
	v_cvt_f32_f16_sdwa v6, v111 dst_sel:DWORD dst_unused:UNUSED_PAD src0_sel:WORD_1
	v_cvt_f32_i32_e32 v9, v168
	v_cvt_f32_i32_e32 v8, v110
	v_dot4c_i32_i8_e32 v4, v113, v17
	v_cvt_f32_f16_e32 v105, v155
	v_cvt_f32_f16_e32 v104, v164
	v_cvt_f32_f16_sdwa v109, v155 dst_sel:DWORD dst_unused:UNUSED_PAD src0_sel:WORD_1
	v_cvt_f32_f16_sdwa v108, v164 dst_sel:DWORD dst_unused:UNUSED_PAD src0_sel:WORD_1
	v_cvt_f32_i32_e32 v111, v165
	v_cvt_f32_i32_e32 v110, v163
	v_dot4c_i32_i8_e32 v4, v114, v12
	v_dot4c_i32_i8_e32 v4, v115, v18
	;; [unrolled: 1-line block ×3, first 2 shown]
	v_pk_fma_f32 v[2:3], v[2:3], v[8:9], v[6:7]
	v_dot4c_i32_i8_e32 v4, v153, v19
	v_pk_mul_f16 v14, v5, v159
	v_pk_mul_f16 v113, v5, v107
	v_pk_add_f32 v[2:3], v[94:95], v[2:3]
	v_pk_fma_f32 v[6:7], v[104:105], v[110:111], v[108:109]
	v_cvt_f32_f16_e32 v9, v106
	v_cvt_f32_f16_e32 v8, v158
	v_cvt_f32_f16_sdwa v95, v106 dst_sel:DWORD dst_unused:UNUSED_PAD src0_sel:WORD_1
	v_cvt_f32_f16_sdwa v94, v158 dst_sel:DWORD dst_unused:UNUSED_PAD src0_sel:WORD_1
	v_cvt_f32_i32_e32 v105, v160
	v_cvt_f32_i32_e32 v104, v172
	v_cvt_f32_f16_e32 v107, v113
	v_cvt_f32_f16_e32 v106, v14
	v_cvt_f32_f16_sdwa v109, v113 dst_sel:DWORD dst_unused:UNUSED_PAD src0_sel:WORD_1
	v_cvt_f32_f16_sdwa v108, v14 dst_sel:DWORD dst_unused:UNUSED_PAD src0_sel:WORD_1
	v_cvt_f32_i32_e32 v111, v112
	v_cvt_f32_i32_e32 v110, v4
	v_pk_add_f32 v[2:3], v[2:3], v[6:7]
	v_pk_fma_f32 v[6:7], v[8:9], v[104:105], v[94:95]
	v_pk_add_f32 v[2:3], v[2:3], v[6:7]
	v_pk_fma_f32 v[6:7], v[106:107], v[110:111], v[108:109]
	v_pk_add_f32 v[94:95], v[2:3], v[6:7]
	v_add_u32_e32 v2, 0x41e8, v139
	ds_read2_b32 v[2:3], v2 offset1:1
	v_mov_b32_e32 v104, 0
	s_waitcnt lgkmcnt(1)
	v_dot4c_i32_i8_e32 v104, v20, v10
	v_add_u32_e32 v4, 0x41f0, v139
	v_add_u32_e32 v8, 0x41f8, v139
	v_dot4c_i32_i8_e32 v104, v21, v16
	v_add_u32_e32 v14, 0x6260, v139
	ds_read2_b32 v[6:7], v4 offset1:1
	ds_read2_b32 v[8:9], v8 offset1:1
	;; [unrolled: 1-line block ×3, first 2 shown]
	s_waitcnt lgkmcnt(3)
	v_dot4c_i32_i8_e32 v104, v2, v11
	v_add_u32_e32 v2, 0x6268, v139
	v_dot4c_i32_i8_e32 v104, v3, v17
	ds_read2_b32 v[2:3], v2 offset1:1
	s_waitcnt lgkmcnt(3)
	v_dot4c_i32_i8_e32 v104, v6, v12
	v_add_u32_e32 v4, 0x6270, v139
	v_dot4c_i32_i8_e32 v104, v7, v18
	ds_read2_b32 v[6:7], v4 offset1:1
	v_mov_b32_e32 v106, 0
	s_waitcnt lgkmcnt(3)
	v_dot4c_i32_i8_e32 v104, v8, v13
	s_waitcnt lgkmcnt(2)
	v_dot4c_i32_i8_e32 v106, v20, v10
	v_add_u32_e32 v4, 0x6278, v139
	v_dot4c_i32_i8_e32 v104, v9, v19
	v_dot4c_i32_i8_e32 v106, v21, v16
	ds_read2_b32 v[8:9], v4 offset1:1
	s_waitcnt lgkmcnt(2)
	v_dot4c_i32_i8_e32 v106, v2, v11
	v_dot4c_i32_i8_e32 v106, v3, v17
	s_waitcnt lgkmcnt(1)
	v_dot4c_i32_i8_e32 v106, v6, v12
	v_dot4c_i32_i8_e32 v106, v7, v18
	s_waitcnt lgkmcnt(0)
	v_dot4c_i32_i8_e32 v106, v8, v13
	v_pk_mul_f16 v105, v5, v15
	v_dot4c_i32_i8_e32 v106, v9, v19
	v_cvt_f32_f16_e32 v3, v162
	v_cvt_f32_f16_e32 v2, v156
	v_cvt_f32_f16_sdwa v7, v162 dst_sel:DWORD dst_unused:UNUSED_PAD src0_sel:WORD_1
	v_cvt_f32_f16_sdwa v6, v156 dst_sel:DWORD dst_unused:UNUSED_PAD src0_sel:WORD_1
	v_cvt_f32_i32_e32 v9, v170
	v_cvt_f32_i32_e32 v8, v169
	v_cvt_f32_f16_e32 v11, v171
	v_cvt_f32_f16_e32 v10, v157
	v_cvt_f32_f16_sdwa v13, v171 dst_sel:DWORD dst_unused:UNUSED_PAD src0_sel:WORD_1
	v_cvt_f32_f16_sdwa v12, v157 dst_sel:DWORD dst_unused:UNUSED_PAD src0_sel:WORD_1
	v_cvt_f32_i32_e32 v15, v167
	v_cvt_f32_i32_e32 v14, v166
	v_pk_mul_f16 v16, v5, v103
	v_pk_fma_f32 v[2:3], v[2:3], v[8:9], v[6:7]
	v_cvt_f32_f16_e32 v7, v102
	v_pk_fma_f32 v[4:5], v[10:11], v[14:15], v[12:13]
	v_cvt_f32_f16_e32 v6, v173
	v_cvt_f32_f16_sdwa v9, v102 dst_sel:DWORD dst_unused:UNUSED_PAD src0_sel:WORD_1
	v_cvt_f32_f16_sdwa v8, v173 dst_sel:DWORD dst_unused:UNUSED_PAD src0_sel:WORD_1
	v_cvt_f32_i32_e32 v11, v174
	v_cvt_f32_i32_e32 v10, v161
	v_cvt_f32_f16_e32 v13, v16
	v_cvt_f32_f16_e32 v12, v105
	v_cvt_f32_f16_sdwa v15, v16 dst_sel:DWORD dst_unused:UNUSED_PAD src0_sel:WORD_1
	v_cvt_f32_f16_sdwa v14, v105 dst_sel:DWORD dst_unused:UNUSED_PAD src0_sel:WORD_1
	v_cvt_f32_i32_e32 v17, v106
	v_cvt_f32_i32_e32 v16, v104
	v_pk_add_f32 v[2:3], v[92:93], v[2:3]
	v_pk_add_f32 v[2:3], v[2:3], v[4:5]
	v_pk_fma_f32 v[4:5], v[6:7], v[10:11], v[8:9]
	v_pk_add_f32 v[2:3], v[2:3], v[4:5]
	v_pk_fma_f32 v[4:5], v[12:13], v[16:17], v[14:15]
	v_pk_add_f32 v[92:93], v[2:3], v[4:5]
	s_barrier
.LBB223_5:                              ;   in Loop: Header=BB223_6 Depth=1
	v_add_co_u32_e32 v24, vcc, 0x120, v24
	v_addc_co_u32_e32 v25, vcc, 0, v25, vcc
	v_add_co_u32_e32 v26, vcc, 0xc0, v26
	v_addc_co_u32_e32 v1, vcc, 0, v1, vcc
	;; [unrolled: 2-line block ×36, first 2 shown]
	s_add_i32 s19, s19, 8
	s_addk_i32 s20, 0x100
	v_add_co_u32_e32 v100, vcc, 0xc0, v100
	s_cmp_ge_i32 s19, s17
	v_addc_co_u32_e32 v99, vcc, 0, v99, vcc
	s_cbranch_scc1 .LBB223_19
.LBB223_6:                              ; =>This Inner Loop Header: Depth=1
	v_mov_b32_e32 v2, s18
	v_add_co_u32_e32 v4, vcc, s14, v26
	v_addc_co_u32_e32 v5, vcc, v1, v2, vcc
	global_load_dword v3, v[4:5], off
	v_add_co_u32_e32 v4, vcc, s14, v28
	v_addc_co_u32_e32 v5, vcc, v27, v2, vcc
	global_load_dword v8, v[4:5], off offset:4
	v_add_co_u32_e32 v4, vcc, s14, v30
	v_addc_co_u32_e32 v5, vcc, v29, v2, vcc
	v_add_co_u32_e32 v6, vcc, s14, v32
	v_addc_co_u32_e32 v7, vcc, v31, v2, vcc
	global_load_dword v9, v[6:7], off
	global_load_dword v10, v[4:5], off
	v_add_co_u32_e32 v4, vcc, s14, v36
	v_addc_co_u32_e32 v5, vcc, v35, v2, vcc
	global_load_dword v11, v[4:5], off
	v_add_co_u32_e32 v4, vcc, s14, v34
	v_addc_co_u32_e32 v5, vcc, v33, v2, vcc
	;; [unrolled: 3-line block ×3, first 2 shown]
	v_add_co_u32_e32 v6, vcc, s14, v40
	v_addc_co_u32_e32 v7, vcc, v39, v2, vcc
	global_load_dword v13, v[4:5], off
	s_nop 0
	global_load_dword v6, v[6:7], off
	s_add_i32 s4, s20, 0xffffff80
	s_cmp_lt_i32 s4, s15
	s_waitcnt vmcnt(7)
	v_lshrrev_b32_e32 v5, 4, v3
	v_and_b32_e32 v3, 0xf0f0f0f, v3
	v_and_b32_e32 v5, 0xf0f0f0f, v5
	s_waitcnt vmcnt(6)
	v_ashrrev_i32_e32 v4, v117, v8
	v_lshlrev_b32_e32 v14, 11, v4
	v_lshrrev_b32_e32 v15, 12, v4
	v_lshrrev_b32_e32 v16, 5, v4
	v_lshlrev_b32_e32 v17, 2, v4
	v_lshlrev_b32_e32 v18, 18, v4
	v_lshlrev_b32_e32 v19, 9, v4
	v_and_b32_e32 v15, 16, v15
	s_waitcnt vmcnt(5)
	v_ashrrev_i32_e32 v7, v117, v9
	s_waitcnt vmcnt(4)
	v_lshrrev_b32_e32 v8, 4, v10
	v_and_b32_e32 v9, 0xf0f0f0f, v10
	v_lshlrev_b32_e32 v10, 4, v4
	v_lshlrev_b32_e32 v4, 25, v4
	v_and_b32_e32 v10, 16, v10
	v_and_b32_e32 v16, 0x1000, v16
	;; [unrolled: 1-line block ×7, first 2 shown]
	v_or3_b32 v3, v10, v3, v14
	v_or3_b32 v5, v15, v5, v16
	;; [unrolled: 1-line block ×4, first 2 shown]
	v_add_co_u32_e32 v4, vcc, s14, v44
	ds_write2_b32 v118, v3, v5 offset1:1
	v_addc_co_u32_e32 v5, vcc, v43, v2, vcc
	global_load_dword v3, v[4:5], off
	v_add_co_u32_e32 v4, vcc, s14, v42
	v_lshlrev_b32_e32 v20, 4, v7
	v_lshlrev_b32_e32 v21, 11, v7
	v_lshrrev_b32_e32 v102, 12, v7
	v_lshrrev_b32_e32 v103, 5, v7
	v_addc_co_u32_e32 v5, vcc, v41, v2, vcc
	v_and_b32_e32 v8, 0xf0f0f0f, v8
	v_lshlrev_b32_e32 v104, 2, v7
	v_lshlrev_b32_e32 v105, 18, v7
	;; [unrolled: 1-line block ×3, first 2 shown]
	v_and_b32_e32 v102, 16, v102
	v_and_b32_e32 v20, 16, v20
	v_and_b32_e32 v103, 0x1000, v103
	v_and_b32_e32 v21, 0x1000, v21
	global_load_dword v10, v[4:5], off
	v_lshlrev_b32_e32 v4, 25, v7
	v_and_b32_e32 v105, 0x100000, v105
	v_and_b32_e32 v104, 0x100000, v104
	v_or3_b32 v9, v20, v9, v21
	v_or3_b32 v8, v102, v8, v103
	v_and_b32_e32 v4, 0x10000000, v4
	v_and_b32_e32 v5, 0x10000000, v106
	v_or3_b32 v5, v8, v104, v5
	v_or3_b32 v4, v9, v105, v4
	s_waitcnt vmcnt(5)
	v_ashrrev_i32_e32 v7, v117, v11
	ds_write2_b32 v119, v4, v5 offset1:1
	v_lshlrev_b32_e32 v4, 4, v7
	v_lshlrev_b32_e32 v5, 11, v7
	s_waitcnt vmcnt(4)
	v_lshrrev_b32_e32 v8, 4, v12
	v_lshrrev_b32_e32 v9, 12, v7
	;; [unrolled: 1-line block ×3, first 2 shown]
	v_and_b32_e32 v12, 0xf0f0f0f, v12
	v_and_b32_e32 v4, 16, v4
	;; [unrolled: 1-line block ×6, first 2 shown]
	v_or3_b32 v12, v4, v12, v5
	v_lshlrev_b32_e32 v4, 2, v7
	v_or3_b32 v8, v9, v8, v11
	v_lshlrev_b32_e32 v5, 18, v7
	v_and_b32_e32 v11, 0x100000, v4
	v_add_co_u32_e32 v4, vcc, s14, v48
	v_and_b32_e32 v9, 0x100000, v5
	v_addc_co_u32_e32 v5, vcc, v47, v2, vcc
	global_load_dword v15, v[4:5], off
	v_add_co_u32_e32 v4, vcc, s14, v46
	v_addc_co_u32_e32 v5, vcc, v45, v2, vcc
	v_lshlrev_b32_e32 v14, 9, v7
	global_load_dword v16, v[4:5], off
	v_lshlrev_b32_e32 v4, 25, v7
	v_and_b32_e32 v4, 0x10000000, v4
	v_and_b32_e32 v5, 0x10000000, v14
	v_or3_b32 v5, v8, v11, v5
	v_or3_b32 v4, v12, v9, v4
	s_waitcnt vmcnt(4)
	v_ashrrev_i32_e32 v6, v117, v6
	ds_write2_b32 v120, v4, v5 offset1:1
	v_lshlrev_b32_e32 v4, 4, v6
	v_lshlrev_b32_e32 v5, 11, v6
	v_lshrrev_b32_e32 v7, 4, v13
	v_lshrrev_b32_e32 v8, 12, v6
	;; [unrolled: 1-line block ×3, first 2 shown]
	v_and_b32_e32 v11, 0xf0f0f0f, v13
	v_and_b32_e32 v4, 16, v4
	;; [unrolled: 1-line block ×6, first 2 shown]
	v_or3_b32 v11, v4, v11, v5
	v_lshlrev_b32_e32 v4, 2, v6
	v_or3_b32 v7, v8, v7, v9
	v_lshlrev_b32_e32 v5, 18, v6
	v_and_b32_e32 v9, 0x100000, v4
	v_add_co_u32_e32 v4, vcc, s14, v52
	v_and_b32_e32 v8, 0x100000, v5
	v_addc_co_u32_e32 v5, vcc, v51, v2, vcc
	global_load_dword v13, v[4:5], off
	v_add_co_u32_e32 v4, vcc, s14, v50
	v_addc_co_u32_e32 v5, vcc, v49, v2, vcc
	global_load_dword v14, v[4:5], off
	v_lshlrev_b32_e32 v12, 9, v6
	v_lshlrev_b32_e32 v4, 25, v6
	v_and_b32_e32 v4, 0x10000000, v4
	v_and_b32_e32 v5, 0x10000000, v12
	v_or3_b32 v5, v7, v9, v5
	v_or3_b32 v4, v11, v8, v4
	s_waitcnt vmcnt(5)
	v_ashrrev_i32_e32 v3, v117, v3
	ds_write2_b32 v121, v4, v5 offset1:1
	v_lshlrev_b32_e32 v4, 4, v3
	v_lshlrev_b32_e32 v5, 11, v3
	s_waitcnt vmcnt(4)
	v_lshrrev_b32_e32 v6, 4, v10
	v_lshrrev_b32_e32 v7, 12, v3
	;; [unrolled: 1-line block ×3, first 2 shown]
	v_and_b32_e32 v9, 0xf0f0f0f, v10
	v_and_b32_e32 v4, 16, v4
	;; [unrolled: 1-line block ×6, first 2 shown]
	v_or3_b32 v9, v4, v9, v5
	v_lshlrev_b32_e32 v4, 2, v3
	v_or3_b32 v6, v7, v6, v8
	v_lshlrev_b32_e32 v5, 18, v3
	v_and_b32_e32 v8, 0x100000, v4
	v_add_co_u32_e32 v4, vcc, s14, v56
	v_and_b32_e32 v7, 0x100000, v5
	v_addc_co_u32_e32 v5, vcc, v55, v2, vcc
	global_load_dword v11, v[4:5], off
	v_add_co_u32_e32 v4, vcc, s14, v54
	v_lshlrev_b32_e32 v10, 9, v3
	v_addc_co_u32_e32 v5, vcc, v53, v2, vcc
	v_lshlrev_b32_e32 v3, 25, v3
	global_load_dword v12, v[4:5], off
	v_and_b32_e32 v3, 0x10000000, v3
	v_and_b32_e32 v4, 0x10000000, v10
	v_or3_b32 v4, v6, v8, v4
	v_or3_b32 v3, v9, v7, v3
	ds_write2_b32 v122, v3, v4 offset1:1
	s_waitcnt vmcnt(5)
	v_ashrrev_i32_e32 v3, v117, v15
	v_lshlrev_b32_e32 v4, 4, v3
	v_lshlrev_b32_e32 v5, 11, v3
	s_waitcnt vmcnt(4)
	v_lshrrev_b32_e32 v6, 4, v16
	v_lshrrev_b32_e32 v7, 12, v3
	;; [unrolled: 1-line block ×3, first 2 shown]
	v_and_b32_e32 v9, 0xf0f0f0f, v16
	v_and_b32_e32 v4, 16, v4
	;; [unrolled: 1-line block ×6, first 2 shown]
	v_or3_b32 v9, v4, v9, v5
	v_lshlrev_b32_e32 v4, 2, v3
	v_or3_b32 v6, v7, v6, v8
	v_lshlrev_b32_e32 v5, 18, v3
	v_and_b32_e32 v8, 0x100000, v4
	v_add_co_u32_e32 v4, vcc, s14, v60
	v_and_b32_e32 v7, 0x100000, v5
	v_addc_co_u32_e32 v5, vcc, v59, v2, vcc
	global_load_dword v15, v[4:5], off
	v_add_co_u32_e32 v4, vcc, s14, v58
	v_lshlrev_b32_e32 v10, 9, v3
	v_addc_co_u32_e32 v5, vcc, v57, v2, vcc
	v_lshlrev_b32_e32 v3, 25, v3
	global_load_dword v16, v[4:5], off
	v_and_b32_e32 v3, 0x10000000, v3
	v_and_b32_e32 v4, 0x10000000, v10
	v_or3_b32 v4, v6, v8, v4
	v_or3_b32 v3, v9, v7, v3
	ds_write2_b32 v123, v3, v4 offset1:1
	s_waitcnt vmcnt(5)
	v_ashrrev_i32_e32 v3, v117, v13
	v_lshlrev_b32_e32 v4, 4, v3
	v_lshlrev_b32_e32 v5, 11, v3
	s_waitcnt vmcnt(4)
	v_lshrrev_b32_e32 v6, 4, v14
	v_lshrrev_b32_e32 v7, 12, v3
	;; [unrolled: 1-line block ×3, first 2 shown]
	v_and_b32_e32 v9, 0xf0f0f0f, v14
	v_and_b32_e32 v4, 16, v4
	;; [unrolled: 1-line block ×6, first 2 shown]
	v_or3_b32 v9, v4, v9, v5
	v_lshlrev_b32_e32 v4, 2, v3
	v_or3_b32 v6, v7, v6, v8
	v_lshlrev_b32_e32 v5, 18, v3
	v_and_b32_e32 v8, 0x100000, v4
	v_add_co_u32_e32 v4, vcc, s14, v64
	v_and_b32_e32 v7, 0x100000, v5
	v_addc_co_u32_e32 v5, vcc, v63, v2, vcc
	global_load_dword v13, v[4:5], off
	v_add_co_u32_e32 v4, vcc, s14, v62
	v_addc_co_u32_e32 v5, vcc, v61, v2, vcc
	global_load_dword v14, v[4:5], off
	v_lshlrev_b32_e32 v10, 9, v3
	v_lshlrev_b32_e32 v3, 25, v3
	v_and_b32_e32 v3, 0x10000000, v3
	v_and_b32_e32 v4, 0x10000000, v10
	v_or3_b32 v4, v6, v8, v4
	v_or3_b32 v3, v9, v7, v3
	ds_write2_b32 v124, v3, v4 offset1:1
	s_waitcnt vmcnt(5)
	v_ashrrev_i32_e32 v3, v117, v11
	v_lshlrev_b32_e32 v4, 4, v3
	v_lshlrev_b32_e32 v5, 11, v3
	v_lshrrev_b32_e32 v7, 12, v3
	s_waitcnt vmcnt(4)
	v_lshrrev_b32_e32 v6, 4, v12
	v_lshrrev_b32_e32 v8, 5, v3
	v_and_b32_e32 v9, 0xf0f0f0f, v12
	v_and_b32_e32 v4, 16, v4
	;; [unrolled: 1-line block ×6, first 2 shown]
	v_or3_b32 v9, v4, v9, v5
	v_lshlrev_b32_e32 v4, 2, v3
	v_or3_b32 v6, v7, v6, v8
	v_lshlrev_b32_e32 v5, 18, v3
	v_and_b32_e32 v8, 0x100000, v4
	v_add_co_u32_e32 v4, vcc, s14, v68
	v_and_b32_e32 v7, 0x100000, v5
	v_addc_co_u32_e32 v5, vcc, v67, v2, vcc
	global_load_dword v11, v[4:5], off
	v_add_co_u32_e32 v4, vcc, s14, v66
	v_lshlrev_b32_e32 v10, 9, v3
	v_addc_co_u32_e32 v5, vcc, v65, v2, vcc
	v_lshlrev_b32_e32 v3, 25, v3
	global_load_dword v12, v[4:5], off
	v_and_b32_e32 v3, 0x10000000, v3
	v_and_b32_e32 v4, 0x10000000, v10
	v_or3_b32 v4, v6, v8, v4
	v_or3_b32 v3, v9, v7, v3
	ds_write2_b32 v125, v3, v4 offset1:1
	s_waitcnt vmcnt(5)
	v_ashrrev_i32_e32 v3, v117, v15
	v_lshlrev_b32_e32 v4, 4, v3
	v_lshlrev_b32_e32 v5, 11, v3
	v_and_b32_e32 v4, 16, v4
	s_waitcnt vmcnt(4)
	v_and_b32_e32 v9, 0xf0f0f0f, v16
	v_and_b32_e32 v5, 0x1000, v5
	v_lshrrev_b32_e32 v6, 4, v16
	v_lshrrev_b32_e32 v7, 12, v3
	;; [unrolled: 1-line block ×3, first 2 shown]
	v_or3_b32 v9, v4, v9, v5
	v_add_co_u32_e32 v4, vcc, s14, v72
	v_and_b32_e32 v6, 0xf0f0f0f, v6
	v_and_b32_e32 v7, 16, v7
	;; [unrolled: 1-line block ×3, first 2 shown]
	v_addc_co_u32_e32 v5, vcc, v71, v2, vcc
	v_or3_b32 v6, v7, v6, v8
	global_load_dword v7, v[4:5], off
	v_add_co_u32_e32 v4, vcc, s14, v70
	v_addc_co_u32_e32 v5, vcc, v69, v2, vcc
	global_load_dword v8, v[4:5], off
	v_lshlrev_b32_e32 v4, 2, v3
	v_lshlrev_b32_e32 v5, 18, v3
	;; [unrolled: 1-line block ×4, first 2 shown]
	v_and_b32_e32 v5, 0x100000, v5
	v_and_b32_e32 v4, 0x100000, v4
	v_and_b32_e32 v3, 0x10000000, v3
	v_and_b32_e32 v10, 0x10000000, v10
	v_or3_b32 v4, v6, v4, v10
	v_or3_b32 v3, v9, v5, v3
	ds_write2_b32 v126, v3, v4 offset1:1
	s_waitcnt vmcnt(5)
	v_ashrrev_i32_e32 v3, v117, v13
	v_lshrrev_b32_e32 v5, 12, v3
	s_waitcnt vmcnt(4)
	v_lshrrev_b32_e32 v4, 4, v14
	v_and_b32_e32 v13, 0xf0f0f0f, v4
	v_add_co_u32_e32 v4, vcc, s14, v76
	v_and_b32_e32 v15, 16, v5
	v_addc_co_u32_e32 v5, vcc, v75, v2, vcc
	global_load_dword v16, v[4:5], off
	v_add_co_u32_e32 v4, vcc, s14, v74
	v_addc_co_u32_e32 v5, vcc, v73, v2, vcc
	global_load_dword v17, v[4:5], off
	v_lshlrev_b32_e32 v6, 4, v3
	v_lshlrev_b32_e32 v9, 11, v3
	v_lshrrev_b32_e32 v10, 5, v3
	v_and_b32_e32 v14, 0xf0f0f0f, v14
	v_and_b32_e32 v4, 16, v6
	;; [unrolled: 1-line block ×4, first 2 shown]
	v_or3_b32 v4, v4, v14, v6
	v_lshlrev_b32_e32 v6, 2, v3
	v_lshlrev_b32_e32 v9, 18, v3
	;; [unrolled: 1-line block ×4, first 2 shown]
	v_or3_b32 v5, v15, v13, v5
	v_and_b32_e32 v9, 0x100000, v9
	v_and_b32_e32 v6, 0x100000, v6
	;; [unrolled: 1-line block ×4, first 2 shown]
	v_or3_b32 v5, v5, v6, v10
	v_or3_b32 v3, v4, v9, v3
	ds_write2_b32 v127, v3, v5 offset1:1
	s_waitcnt vmcnt(5)
	v_ashrrev_i32_e32 v3, v117, v11
	v_lshlrev_b32_e32 v4, 4, v3
	v_lshlrev_b32_e32 v5, 11, v3
	v_lshrrev_b32_e32 v9, 12, v3
	s_waitcnt vmcnt(4)
	v_lshrrev_b32_e32 v6, 4, v12
	v_lshrrev_b32_e32 v10, 5, v3
	v_and_b32_e32 v11, 0xf0f0f0f, v12
	v_and_b32_e32 v4, 16, v4
	;; [unrolled: 1-line block ×6, first 2 shown]
	v_or3_b32 v11, v4, v11, v5
	v_lshlrev_b32_e32 v4, 2, v3
	v_or3_b32 v6, v9, v6, v10
	v_lshlrev_b32_e32 v5, 18, v3
	v_and_b32_e32 v10, 0x100000, v4
	v_add_co_u32_e32 v4, vcc, s14, v80
	v_and_b32_e32 v9, 0x100000, v5
	v_lshlrev_b32_e32 v12, 9, v3
	v_lshlrev_b32_e32 v3, 25, v3
	v_addc_co_u32_e32 v5, vcc, v79, v2, vcc
	v_and_b32_e32 v3, 0x10000000, v3
	global_load_dword v13, v[4:5], off
	v_and_b32_e32 v4, 0x10000000, v12
	v_or3_b32 v4, v6, v10, v4
	v_or3_b32 v3, v11, v9, v3
	ds_write2_b32 v128, v3, v4 offset1:1
	s_waitcnt vmcnt(4)
	v_ashrrev_i32_e32 v3, v117, v7
	v_lshlrev_b32_e32 v4, 4, v3
	v_lshlrev_b32_e32 v5, 11, v3
	s_waitcnt vmcnt(3)
	v_lshrrev_b32_e32 v6, 4, v8
	v_and_b32_e32 v8, 0xf0f0f0f, v8
	v_and_b32_e32 v4, 16, v4
	;; [unrolled: 1-line block ×3, first 2 shown]
	v_lshrrev_b32_e32 v7, 12, v3
	v_lshrrev_b32_e32 v9, 5, v3
	v_or3_b32 v8, v4, v8, v5
	v_add_co_u32_e32 v4, vcc, s14, v78
	v_and_b32_e32 v6, 0xf0f0f0f, v6
	v_and_b32_e32 v7, 16, v7
	;; [unrolled: 1-line block ×3, first 2 shown]
	v_addc_co_u32_e32 v5, vcc, v77, v2, vcc
	v_or3_b32 v6, v7, v6, v9
	global_load_dword v7, v[4:5], off
	v_lshlrev_b32_e32 v4, 2, v3
	v_lshlrev_b32_e32 v5, 18, v3
	;; [unrolled: 1-line block ×4, first 2 shown]
	v_and_b32_e32 v5, 0x100000, v5
	v_and_b32_e32 v4, 0x100000, v4
	v_and_b32_e32 v3, 0x10000000, v3
	v_and_b32_e32 v9, 0x10000000, v9
	v_or3_b32 v4, v6, v4, v9
	v_or3_b32 v3, v8, v5, v3
	ds_write2_b32 v129, v3, v4 offset1:1
	v_add_co_u32_e32 v4, vcc, s14, v84
	v_addc_co_u32_e32 v5, vcc, v83, v2, vcc
	global_load_dword v10, v[4:5], off
	v_add_co_u32_e32 v4, vcc, s14, v82
	s_waitcnt vmcnt(4)
	v_ashrrev_i32_e32 v3, v117, v16
	v_addc_co_u32_e32 v5, vcc, v81, v2, vcc
	v_lshlrev_b32_e32 v6, 4, v3
	v_lshlrev_b32_e32 v8, 11, v3
	s_waitcnt vmcnt(3)
	v_lshrrev_b32_e32 v9, 4, v17
	global_load_dword v11, v[4:5], off
	v_lshrrev_b32_e32 v4, 12, v3
	v_lshrrev_b32_e32 v5, 5, v3
	v_and_b32_e32 v9, 0xf0f0f0f, v9
	v_and_b32_e32 v12, 0xf0f0f0f, v17
	;; [unrolled: 1-line block ×6, first 2 shown]
	v_or3_b32 v6, v6, v12, v8
	v_or3_b32 v8, v4, v9, v5
	v_lshlrev_b32_e32 v4, 2, v3
	v_lshlrev_b32_e32 v5, 18, v3
	v_and_b32_e32 v12, 0x100000, v4
	v_add_co_u32_e32 v4, vcc, s14, v88
	v_and_b32_e32 v9, 0x100000, v5
	v_addc_co_u32_e32 v5, vcc, v87, v2, vcc
	global_load_dword v15, v[4:5], off
	v_add_co_u32_e32 v4, vcc, s14, v86
	v_lshlrev_b32_e32 v14, 9, v3
	v_addc_co_u32_e32 v5, vcc, v85, v2, vcc
	v_lshlrev_b32_e32 v3, 25, v3
	global_load_dword v16, v[4:5], off
	v_and_b32_e32 v3, 0x10000000, v3
	v_and_b32_e32 v4, 0x10000000, v14
	v_or3_b32 v4, v8, v12, v4
	v_or3_b32 v3, v6, v9, v3
	ds_write2_b32 v130, v3, v4 offset1:1
	v_add_co_u32_e32 v4, vcc, s14, v90
	v_addc_co_u32_e32 v5, vcc, v89, v2, vcc
	global_load_dword v6, v[4:5], off
	v_add_co_u32_e32 v4, vcc, s14, v96
	v_addc_co_u32_e32 v5, vcc, v91, v2, vcc
	global_load_dword v8, v[4:5], off
	;; [unrolled: 3-line block ×4, first 2 shown]
	s_waitcnt vmcnt(9)
	v_ashrrev_i32_e32 v3, v117, v13
	v_lshlrev_b32_e32 v4, 4, v3
	v_lshlrev_b32_e32 v5, 11, v3
	s_waitcnt vmcnt(8)
	v_lshrrev_b32_e32 v12, 4, v7
	v_lshrrev_b32_e32 v13, 12, v3
	;; [unrolled: 1-line block ×3, first 2 shown]
	v_and_b32_e32 v12, 0xf0f0f0f, v12
	v_and_b32_e32 v7, 0xf0f0f0f, v7
	;; [unrolled: 1-line block ×6, first 2 shown]
	v_or3_b32 v4, v4, v7, v5
	v_or3_b32 v5, v13, v12, v14
	v_lshlrev_b32_e32 v7, 2, v3
	v_lshlrev_b32_e32 v12, 18, v3
	;; [unrolled: 1-line block ×4, first 2 shown]
	v_and_b32_e32 v12, 0x100000, v12
	v_and_b32_e32 v7, 0x100000, v7
	;; [unrolled: 1-line block ×4, first 2 shown]
	v_or3_b32 v5, v5, v7, v13
	v_or3_b32 v3, v4, v12, v3
	ds_write2_b32 v131, v3, v5 offset1:1
	s_waitcnt vmcnt(7)
	v_ashrrev_i32_e32 v3, v117, v10
	v_lshlrev_b32_e32 v4, 4, v3
	v_lshlrev_b32_e32 v5, 11, v3
	s_waitcnt vmcnt(6)
	v_lshrrev_b32_e32 v7, 4, v11
	v_lshrrev_b32_e32 v10, 12, v3
	;; [unrolled: 1-line block ×3, first 2 shown]
	v_and_b32_e32 v7, 0xf0f0f0f, v7
	v_and_b32_e32 v11, 0xf0f0f0f, v11
	;; [unrolled: 1-line block ×6, first 2 shown]
	v_or3_b32 v4, v4, v11, v5
	v_or3_b32 v5, v10, v7, v12
	v_lshlrev_b32_e32 v7, 2, v3
	v_lshlrev_b32_e32 v10, 18, v3
	;; [unrolled: 1-line block ×4, first 2 shown]
	v_and_b32_e32 v10, 0x100000, v10
	v_and_b32_e32 v7, 0x100000, v7
	;; [unrolled: 1-line block ×4, first 2 shown]
	v_or3_b32 v5, v5, v7, v11
	v_or3_b32 v3, v4, v10, v3
	ds_write2_b32 v132, v3, v5 offset1:1
	s_waitcnt vmcnt(5)
	v_ashrrev_i32_e32 v3, v117, v15
	v_lshlrev_b32_e32 v4, 4, v3
	v_lshlrev_b32_e32 v5, 11, v3
	v_lshrrev_b32_e32 v10, 12, v3
	s_waitcnt vmcnt(4)
	v_lshrrev_b32_e32 v7, 4, v16
	v_lshrrev_b32_e32 v11, 5, v3
	v_and_b32_e32 v7, 0xf0f0f0f, v7
	v_and_b32_e32 v12, 0xf0f0f0f, v16
	;; [unrolled: 1-line block ×6, first 2 shown]
	v_or3_b32 v4, v4, v12, v5
	v_or3_b32 v5, v10, v7, v11
	v_lshlrev_b32_e32 v7, 2, v3
	v_lshlrev_b32_e32 v10, 18, v3
	;; [unrolled: 1-line block ×4, first 2 shown]
	v_and_b32_e32 v10, 0x100000, v10
	v_and_b32_e32 v7, 0x100000, v7
	;; [unrolled: 1-line block ×4, first 2 shown]
	v_or3_b32 v5, v5, v7, v11
	v_or3_b32 v3, v4, v10, v3
	ds_write2_b32 v133, v3, v5 offset1:1
	s_waitcnt vmcnt(3)
	ds_write_b32 v148, v6
	s_waitcnt vmcnt(2)
	ds_write_b32 v149, v8
	;; [unrolled: 2-line block ×4, first 2 shown]
	s_cbranch_scc0 .LBB223_5
; %bb.7:                                ;   in Loop: Header=BB223_6 Depth=1
	v_add_u32_e32 v2, s19, v134
	v_cmp_gt_i32_e32 vcc, s9, v2
	s_and_b64 s[22:23], s[2:3], vcc
	s_and_saveexec_b64 s[4:5], s[22:23]
	s_cbranch_execz .LBB223_9
; %bb.8:                                ;   in Loop: Header=BB223_6 Depth=1
	v_add_u32_e32 v2, s19, v147
	v_mad_i64_i32 v[2:3], s[22:23], v2, 36, v[22:23]
	global_load_dword v2, v[2:3], off offset:4
	s_waitcnt vmcnt(0)
	ds_write_b32 v135, v2
.LBB223_9:                              ;   in Loop: Header=BB223_6 Depth=1
	s_or_b64 exec, exec, s[4:5]
	s_and_saveexec_b64 s[4:5], s[0:1]
	s_cbranch_execz .LBB223_12
; %bb.10:                               ;   in Loop: Header=BB223_6 Depth=1
	v_add_u32_e32 v2, s19, v116
	v_cmp_gt_i32_e32 vcc, s9, v2
	s_and_b64 s[22:23], s[2:3], vcc
	s_and_b64 exec, exec, s[22:23]
	s_cbranch_execz .LBB223_12
; %bb.11:                               ;   in Loop: Header=BB223_6 Depth=1
	v_add_u32_e32 v2, s19, v145
	v_mad_i64_i32 v[2:3], s[22:23], v2, 36, s[6:7]
	global_load_dword v2, v[2:3], off
	s_waitcnt vmcnt(0)
	ds_write_b32 v136, v2
.LBB223_12:                             ;   in Loop: Header=BB223_6 Depth=1
	s_or_b64 exec, exec, s[4:5]
	s_waitcnt lgkmcnt(0)
	s_barrier
	ds_read_b128 v[14:17], v137
	ds_read_b128 v[18:21], v137 offset:16
	ds_read_b128 v[2:5], v138
	ds_read2_b32 v[104:105], v139 offset1:1
	ds_read_b128 v[10:13], v137 offset:32
	ds_read_b128 v[6:9], v137 offset:48
	ds_read2_b32 v[102:103], v140 offset1:1
	ds_read2_b32 v[106:107], v139 offset0:2 offset1:3
	v_mov_b32_e32 v166, 0
	s_waitcnt lgkmcnt(4)
	v_dot4c_i32_i8_e32 v166, v104, v14
	v_dot4c_i32_i8_e32 v166, v105, v18
	s_waitcnt lgkmcnt(1)
	v_pk_mul_f16 v172, v2, v102
	s_waitcnt lgkmcnt(0)
	v_dot4c_i32_i8_e32 v166, v106, v15
	v_add_u32_e32 v102, 0x2080, v139
	ds_read2_b32 v[104:105], v139 offset0:4 offset1:5
	ds_read2_b32 v[108:109], v139 offset0:6 offset1:7
	;; [unrolled: 1-line block ×3, first 2 shown]
	v_dot4c_i32_i8_e32 v166, v107, v19
	ds_read2_b32 v[152:153], v139 offset0:26 offset1:27
	ds_read2_b32 v[154:155], v139 offset0:28 offset1:29
	;; [unrolled: 1-line block ×3, first 2 shown]
	ds_read2_b32 v[106:107], v102 offset1:1
	ds_read2_b32 v[158:159], v141 offset1:1
	v_mov_b32_e32 v102, 0
	s_waitcnt lgkmcnt(7)
	v_dot4c_i32_i8_e32 v166, v104, v16
	v_dot4c_i32_i8_e32 v166, v105, v20
	s_waitcnt lgkmcnt(1)
	v_dot4c_i32_i8_e32 v102, v106, v14
	v_add_u32_e32 v106, 0x2088, v139
	ds_read2_b32 v[104:105], v143 offset0:2 offset1:3
	v_dot4c_i32_i8_e32 v102, v107, v18
	ds_read2_b32 v[106:107], v106 offset1:1
	v_dot4c_i32_i8_e32 v166, v108, v17
	v_dot4c_i32_i8_e32 v166, v109, v21
	v_add_u32_e32 v109, 0x2090, v139
	v_add_u32_e32 v114, 0x2098, v139
	v_add_u32_e32 v160, 0x4100, v139
	ds_read2_b32 v[112:113], v109 offset1:1
	ds_read2_b32 v[114:115], v114 offset1:1
	;; [unrolled: 1-line block ×3, first 2 shown]
	s_waitcnt lgkmcnt(3)
	v_dot4c_i32_i8_e32 v102, v106, v15
	v_dot4c_i32_i8_e32 v102, v107, v19
	s_waitcnt lgkmcnt(2)
	v_dot4c_i32_i8_e32 v102, v112, v16
	v_dot4c_i32_i8_e32 v102, v113, v20
	;; [unrolled: 3-line block ×3, first 2 shown]
	v_add_u32_e32 v106, 0x4108, v139
	ds_read2_b32 v[162:163], v142 offset1:1
	ds_read2_b32 v[112:113], v141 offset0:2 offset1:3
	ds_read2_b32 v[164:165], v140 offset0:2 offset1:3
	v_cvt_f32_i32_e32 v115, v102
	v_mov_b32_e32 v102, 0
	ds_read2_b32 v[106:107], v106 offset1:1
	v_pk_mul_f16 v173, v2, v158
	v_cvt_f32_i32_e32 v114, v166
	s_waitcnt lgkmcnt(4)
	v_dot4c_i32_i8_e32 v102, v160, v14
	v_add_u32_e32 v158, 0x4110, v139
	v_add_u32_e32 v166, 0x4118, v139
	;; [unrolled: 1-line block ×3, first 2 shown]
	v_dot4c_i32_i8_e32 v102, v161, v18
	ds_read2_b32 v[160:161], v158 offset1:1
	ds_read2_b32 v[166:167], v166 offset1:1
	;; [unrolled: 1-line block ×3, first 2 shown]
	s_waitcnt lgkmcnt(3)
	v_dot4c_i32_i8_e32 v102, v106, v15
	v_dot4c_i32_i8_e32 v102, v107, v19
	v_mov_b32_e32 v158, 0
	s_waitcnt lgkmcnt(2)
	v_dot4c_i32_i8_e32 v102, v160, v16
	s_waitcnt lgkmcnt(0)
	v_dot4c_i32_i8_e32 v158, v168, v14
	v_add_u32_e32 v14, 0x6188, v139
	v_dot4c_i32_i8_e32 v102, v161, v20
	ds_read2_b32 v[160:161], v14 offset1:1
	v_dot4c_i32_i8_e32 v102, v166, v17
	v_dot4c_i32_i8_e32 v158, v169, v18
	v_add_u32_e32 v18, 0x6190, v139
	v_dot4c_i32_i8_e32 v102, v167, v21
	v_add_u32_e32 v107, 0x6198, v139
	v_add_u32_e32 v14, 0x20a0, v139
	ds_read2_b32 v[166:167], v18 offset1:1
	ds_read2_b32 v[168:169], v107 offset1:1
	;; [unrolled: 1-line block ×3, first 2 shown]
	s_waitcnt lgkmcnt(3)
	v_dot4c_i32_i8_e32 v158, v160, v15
	v_dot4c_i32_i8_e32 v158, v161, v19
	s_waitcnt lgkmcnt(2)
	v_dot4c_i32_i8_e32 v158, v166, v16
	v_dot4c_i32_i8_e32 v158, v167, v20
	s_waitcnt lgkmcnt(1)
	v_dot4c_i32_i8_e32 v158, v168, v17
	ds_read2_b32 v[18:19], v143 offset1:1
	ds_read2_b32 v[16:17], v142 offset0:2 offset1:3
	v_dot4c_i32_i8_e32 v158, v169, v21
	ds_read2_b32 v[20:21], v139 offset0:10 offset1:11
	v_mov_b32_e32 v169, 0
	v_dot4c_i32_i8_e32 v169, v110, v10
	v_dot4c_i32_i8_e32 v169, v111, v6
	ds_read2_b32 v[110:111], v139 offset0:12 offset1:13
	ds_read2_b32 v[160:161], v139 offset0:14 offset1:15
	ds_read2_b32 v[166:167], v139 offset0:16 offset1:17
	v_pk_mul_f16 v162, v2, v162
	s_waitcnt lgkmcnt(5)
	v_pk_mul_f16 v168, v2, v18
	s_waitcnt lgkmcnt(3)
	v_dot4c_i32_i8_e32 v169, v20, v11
	v_add_u32_e32 v2, 0x20a8, v139
	v_dot4c_i32_i8_e32 v169, v21, v7
	ds_read2_b32 v[20:21], v2 offset1:1
	s_waitcnt lgkmcnt(3)
	v_dot4c_i32_i8_e32 v169, v110, v12
	v_dot4c_i32_i8_e32 v169, v111, v8
	v_mov_b32_e32 v175, 0
	s_waitcnt lgkmcnt(2)
	v_dot4c_i32_i8_e32 v169, v160, v13
	v_dot4c_i32_i8_e32 v175, v170, v10
	v_add_u32_e32 v18, 0x20b0, v139
	v_add_u32_e32 v110, 0x20b8, v139
	v_cvt_f32_i32_e32 v14, v102
	v_dot4c_i32_i8_e32 v169, v161, v9
	v_pk_mul_f16 v174, v3, v103
	v_dot4c_i32_i8_e32 v175, v171, v6
	v_add_u32_e32 v2, 0x4120, v139
	ds_read2_b32 v[102:103], v18 offset1:1
	ds_read2_b32 v[110:111], v110 offset1:1
	;; [unrolled: 1-line block ×3, first 2 shown]
	s_waitcnt lgkmcnt(3)
	v_dot4c_i32_i8_e32 v175, v20, v11
	v_dot4c_i32_i8_e32 v175, v21, v7
	v_add_u32_e32 v2, 0x4128, v139
	s_waitcnt lgkmcnt(2)
	v_dot4c_i32_i8_e32 v175, v102, v12
	ds_read2_b32 v[20:21], v2 offset1:1
	v_dot4c_i32_i8_e32 v175, v103, v8
	s_waitcnt lgkmcnt(2)
	v_dot4c_i32_i8_e32 v175, v110, v13
	v_mov_b32_e32 v171, 0
	v_add_u32_e32 v18, 0x4130, v139
	v_add_u32_e32 v110, 0x4138, v139
	v_cvt_f32_i32_e32 v15, v158
	v_dot4c_i32_i8_e32 v175, v111, v9
	v_pk_mul_f16 v170, v3, v159
	s_waitcnt lgkmcnt(1)
	v_dot4c_i32_i8_e32 v171, v160, v10
	v_add_u32_e32 v2, 0x61a0, v139
	ds_read2_b32 v[102:103], v18 offset1:1
	ds_read2_b32 v[110:111], v110 offset1:1
	;; [unrolled: 1-line block ×3, first 2 shown]
	v_dot4c_i32_i8_e32 v171, v161, v6
	s_waitcnt lgkmcnt(3)
	v_dot4c_i32_i8_e32 v171, v20, v11
	v_add_u32_e32 v2, 0x61a8, v139
	v_dot4c_i32_i8_e32 v171, v21, v7
	ds_read2_b32 v[20:21], v2 offset1:1
	s_waitcnt lgkmcnt(3)
	v_dot4c_i32_i8_e32 v171, v102, v12
	v_mov_b32_e32 v161, 0
	v_dot4c_i32_i8_e32 v171, v103, v8
	s_waitcnt lgkmcnt(1)
	v_dot4c_i32_i8_e32 v161, v158, v10
	v_dot4c_i32_i8_e32 v171, v110, v13
	;; [unrolled: 1-line block ×3, first 2 shown]
	v_add_u32_e32 v6, 0x61b0, v139
	v_dot4c_i32_i8_e32 v171, v111, v9
	v_add_u32_e32 v10, 0x61b8, v139
	v_add_u32_e32 v2, 0x20c0, v139
	ds_read2_b32 v[102:103], v6 offset1:1
	ds_read2_b32 v[110:111], v10 offset1:1
	;; [unrolled: 1-line block ×3, first 2 shown]
	s_waitcnt lgkmcnt(3)
	v_dot4c_i32_i8_e32 v161, v20, v11
	v_dot4c_i32_i8_e32 v161, v21, v7
	s_waitcnt lgkmcnt(2)
	v_dot4c_i32_i8_e32 v161, v102, v12
	v_dot4c_i32_i8_e32 v161, v103, v8
	s_waitcnt lgkmcnt(1)
	v_dot4c_i32_i8_e32 v161, v110, v13
	ds_read_b128 v[10:13], v137 offset:64
	v_dot4c_i32_i8_e32 v161, v111, v9
	ds_read_b128 v[6:9], v137 offset:80
	v_pk_mul_f16 v160, v3, v163
	v_pk_mul_f16 v163, v3, v19
	ds_read2_b32 v[2:3], v139 offset0:18 offset1:19
	v_mov_b32_e32 v176, 0
	s_waitcnt lgkmcnt(2)
	v_dot4c_i32_i8_e32 v176, v166, v10
	s_waitcnt lgkmcnt(1)
	v_dot4c_i32_i8_e32 v176, v167, v6
	ds_read2_b32 v[18:19], v139 offset0:20 offset1:21
	ds_read2_b32 v[20:21], v139 offset0:22 offset1:23
	;; [unrolled: 1-line block ×3, first 2 shown]
	s_waitcnt lgkmcnt(3)
	v_dot4c_i32_i8_e32 v176, v2, v11
	v_add_u32_e32 v2, 0x20c8, v139
	v_dot4c_i32_i8_e32 v176, v3, v7
	ds_read2_b32 v[2:3], v2 offset1:1
	s_waitcnt lgkmcnt(3)
	v_dot4c_i32_i8_e32 v176, v18, v12
	v_dot4c_i32_i8_e32 v176, v19, v8
	v_mov_b32_e32 v166, 0
	s_waitcnt lgkmcnt(2)
	v_dot4c_i32_i8_e32 v176, v20, v13
	v_dot4c_i32_i8_e32 v166, v158, v10
	v_add_u32_e32 v18, 0x20d0, v139
	v_add_u32_e32 v20, 0x20d8, v139
	;; [unrolled: 1-line block ×3, first 2 shown]
	v_dot4c_i32_i8_e32 v176, v21, v9
	v_dot4c_i32_i8_e32 v166, v159, v6
	ds_read2_b32 v[18:19], v18 offset1:1
	ds_read2_b32 v[20:21], v20 offset1:1
	;; [unrolled: 1-line block ×3, first 2 shown]
	s_waitcnt lgkmcnt(3)
	v_dot4c_i32_i8_e32 v166, v2, v11
	v_dot4c_i32_i8_e32 v166, v3, v7
	v_add_u32_e32 v2, 0x4148, v139
	s_waitcnt lgkmcnt(2)
	v_dot4c_i32_i8_e32 v166, v18, v12
	ds_read2_b32 v[2:3], v2 offset1:1
	v_dot4c_i32_i8_e32 v166, v19, v8
	v_mov_b32_e32 v167, 0
	s_waitcnt lgkmcnt(2)
	v_dot4c_i32_i8_e32 v166, v20, v13
	s_waitcnt lgkmcnt(1)
	v_dot4c_i32_i8_e32 v167, v110, v10
	v_add_u32_e32 v18, 0x4150, v139
	v_add_u32_e32 v20, 0x4158, v139
	;; [unrolled: 1-line block ×3, first 2 shown]
	v_dot4c_i32_i8_e32 v166, v21, v9
	v_dot4c_i32_i8_e32 v167, v111, v6
	ds_read2_b32 v[18:19], v18 offset1:1
	ds_read2_b32 v[20:21], v20 offset1:1
	;; [unrolled: 1-line block ×3, first 2 shown]
	s_waitcnt lgkmcnt(3)
	v_dot4c_i32_i8_e32 v167, v2, v11
	v_add_u32_e32 v2, 0x61c8, v139
	v_dot4c_i32_i8_e32 v167, v3, v7
	ds_read2_b32 v[2:3], v2 offset1:1
	v_mov_b32_e32 v177, 0
	s_waitcnt lgkmcnt(3)
	v_dot4c_i32_i8_e32 v167, v18, v12
	s_waitcnt lgkmcnt(1)
	v_dot4c_i32_i8_e32 v177, v110, v10
	v_dot4c_i32_i8_e32 v167, v19, v8
	;; [unrolled: 1-line block ×3, first 2 shown]
	v_add_u32_e32 v6, 0x61d0, v139
	v_dot4c_i32_i8_e32 v167, v20, v13
	v_add_u32_e32 v10, 0x61d8, v139
	v_add_u32_e32 v20, 0x20e0, v139
	ds_read2_b32 v[18:19], v6 offset1:1
	ds_read2_b32 v[110:111], v10 offset1:1
	;; [unrolled: 1-line block ×3, first 2 shown]
	s_waitcnt lgkmcnt(3)
	v_dot4c_i32_i8_e32 v177, v2, v11
	v_dot4c_i32_i8_e32 v177, v3, v7
	s_waitcnt lgkmcnt(2)
	v_dot4c_i32_i8_e32 v177, v18, v12
	v_dot4c_i32_i8_e32 v177, v19, v8
	;; [unrolled: 1-line block ×3, first 2 shown]
	s_waitcnt lgkmcnt(1)
	v_dot4c_i32_i8_e32 v177, v110, v13
	ds_read_b128 v[10:13], v137 offset:96
	ds_read_b128 v[18:21], v137 offset:112
	v_pk_mul_f16 v164, v4, v164
	v_pk_mul_f16 v112, v4, v112
	;; [unrolled: 1-line block ×4, first 2 shown]
	v_mov_b32_e32 v4, 0
	s_waitcnt lgkmcnt(1)
	v_dot4c_i32_i8_e32 v4, v102, v10
	v_add_u32_e32 v2, 0x20e8, v139
	s_waitcnt lgkmcnt(0)
	v_dot4c_i32_i8_e32 v4, v103, v18
	ds_read2_b32 v[2:3], v2 offset1:1
	v_dot4c_i32_i8_e32 v4, v152, v11
	v_dot4c_i32_i8_e32 v4, v153, v19
	v_mov_b32_e32 v153, 0
	v_dot4c_i32_i8_e32 v153, v158, v10
	v_add_u32_e32 v6, 0x20f0, v139
	v_add_u32_e32 v8, 0x20f8, v139
	;; [unrolled: 1-line block ×3, first 2 shown]
	v_dot4c_i32_i8_e32 v177, v111, v9
	v_dot4c_i32_i8_e32 v153, v159, v18
	ds_read2_b32 v[6:7], v6 offset1:1
	ds_read2_b32 v[8:9], v8 offset1:1
	;; [unrolled: 1-line block ×3, first 2 shown]
	s_waitcnt lgkmcnt(3)
	v_dot4c_i32_i8_e32 v153, v2, v11
	v_dot4c_i32_i8_e32 v153, v3, v19
	s_waitcnt lgkmcnt(2)
	v_dot4c_i32_i8_e32 v153, v6, v12
	v_dot4c_i32_i8_e32 v153, v7, v20
	v_cvt_f32_f16_e32 v108, v172
	v_cvt_f32_f16_e32 v109, v173
	s_waitcnt lgkmcnt(1)
	v_dot4c_i32_i8_e32 v153, v8, v13
	v_cvt_f32_f16_sdwa v3, v173 dst_sel:DWORD dst_unused:UNUSED_PAD src0_sel:WORD_1
	v_cvt_f32_f16_sdwa v2, v172 dst_sel:DWORD dst_unused:UNUSED_PAD src0_sel:WORD_1
	v_dot4c_i32_i8_e32 v153, v9, v21
	v_cvt_f32_f16_e32 v7, v170
	v_cvt_f32_f16_e32 v6, v174
	v_cvt_f32_f16_sdwa v9, v170 dst_sel:DWORD dst_unused:UNUSED_PAD src0_sel:WORD_1
	v_cvt_f32_f16_sdwa v8, v174 dst_sel:DWORD dst_unused:UNUSED_PAD src0_sel:WORD_1
	v_cvt_f32_i32_e32 v111, v175
	v_cvt_f32_i32_e32 v110, v169
	v_dot4c_i32_i8_e32 v4, v154, v12
	v_dot4c_i32_i8_e32 v4, v155, v20
	;; [unrolled: 1-line block ×3, first 2 shown]
	v_pk_fma_f32 v[2:3], v[108:109], v[114:115], v[2:3]
	v_dot4c_i32_i8_e32 v4, v157, v21
	v_pk_mul_f16 v152, v5, v165
	v_pk_mul_f16 v113, v5, v113
	v_pk_add_f32 v[2:3], v[94:95], v[2:3]
	v_pk_fma_f32 v[6:7], v[6:7], v[110:111], v[8:9]
	v_cvt_f32_f16_e32 v9, v112
	v_cvt_f32_f16_e32 v8, v164
	v_cvt_f32_f16_sdwa v95, v112 dst_sel:DWORD dst_unused:UNUSED_PAD src0_sel:WORD_1
	v_cvt_f32_f16_sdwa v94, v164 dst_sel:DWORD dst_unused:UNUSED_PAD src0_sel:WORD_1
	v_cvt_f32_i32_e32 v109, v166
	v_cvt_f32_i32_e32 v108, v176
	v_cvt_f32_f16_e32 v111, v113
	v_cvt_f32_f16_e32 v110, v152
	v_cvt_f32_f16_sdwa v113, v113 dst_sel:DWORD dst_unused:UNUSED_PAD src0_sel:WORD_1
	v_cvt_f32_f16_sdwa v112, v152 dst_sel:DWORD dst_unused:UNUSED_PAD src0_sel:WORD_1
	v_cvt_f32_i32_e32 v115, v153
	v_cvt_f32_i32_e32 v114, v4
	v_pk_add_f32 v[2:3], v[2:3], v[6:7]
	v_pk_fma_f32 v[6:7], v[8:9], v[108:109], v[94:95]
	v_pk_add_f32 v[2:3], v[2:3], v[6:7]
	v_pk_fma_f32 v[6:7], v[110:111], v[114:115], v[112:113]
	v_pk_add_f32 v[94:95], v[2:3], v[6:7]
	v_add_u32_e32 v2, 0x4168, v139
	ds_read2_b32 v[2:3], v2 offset1:1
	v_mov_b32_e32 v108, 0
	s_waitcnt lgkmcnt(1)
	v_dot4c_i32_i8_e32 v108, v102, v10
	v_add_u32_e32 v4, 0x4170, v139
	v_add_u32_e32 v8, 0x4178, v139
	;; [unrolled: 1-line block ×3, first 2 shown]
	v_dot4c_i32_i8_e32 v108, v103, v18
	ds_read2_b32 v[6:7], v4 offset1:1
	ds_read2_b32 v[8:9], v8 offset1:1
	;; [unrolled: 1-line block ×3, first 2 shown]
	s_waitcnt lgkmcnt(3)
	v_dot4c_i32_i8_e32 v108, v2, v11
	v_add_u32_e32 v2, 0x61e8, v139
	v_dot4c_i32_i8_e32 v108, v3, v19
	ds_read2_b32 v[2:3], v2 offset1:1
	s_waitcnt lgkmcnt(3)
	v_dot4c_i32_i8_e32 v108, v6, v12
	v_add_u32_e32 v4, 0x61f0, v139
	v_dot4c_i32_i8_e32 v108, v7, v20
	ds_read2_b32 v[6:7], v4 offset1:1
	v_mov_b32_e32 v109, 0
	s_waitcnt lgkmcnt(3)
	v_dot4c_i32_i8_e32 v108, v8, v13
	s_waitcnt lgkmcnt(2)
	v_dot4c_i32_i8_e32 v109, v102, v10
	v_add_u32_e32 v4, 0x61f8, v139
	v_dot4c_i32_i8_e32 v108, v9, v21
	v_dot4c_i32_i8_e32 v109, v103, v18
	ds_read2_b32 v[8:9], v4 offset1:1
	s_waitcnt lgkmcnt(2)
	v_dot4c_i32_i8_e32 v109, v2, v11
	v_dot4c_i32_i8_e32 v109, v3, v19
	s_waitcnt lgkmcnt(1)
	v_dot4c_i32_i8_e32 v109, v6, v12
	v_dot4c_i32_i8_e32 v109, v7, v20
	s_waitcnt lgkmcnt(0)
	v_dot4c_i32_i8_e32 v109, v8, v13
	v_dot4c_i32_i8_e32 v109, v9, v21
	v_cvt_f32_f16_e32 v7, v163
	v_cvt_f32_f16_e32 v6, v160
	v_cvt_f32_f16_sdwa v9, v163 dst_sel:DWORD dst_unused:UNUSED_PAD src0_sel:WORD_1
	v_cvt_f32_f16_sdwa v8, v160 dst_sel:DWORD dst_unused:UNUSED_PAD src0_sel:WORD_1
	v_cvt_f32_i32_e32 v11, v161
	v_cvt_f32_i32_e32 v10, v171
	v_cvt_f32_f16_e32 v106, v162
	v_cvt_f32_f16_e32 v107, v168
	v_cvt_f32_f16_sdwa v3, v168 dst_sel:DWORD dst_unused:UNUSED_PAD src0_sel:WORD_1
	v_cvt_f32_f16_sdwa v2, v162 dst_sel:DWORD dst_unused:UNUSED_PAD src0_sel:WORD_1
	v_pk_mul_f16 v17, v5, v17
	v_pk_mul_f16 v18, v5, v105
	v_pk_fma_f32 v[4:5], v[6:7], v[10:11], v[8:9]
	v_cvt_f32_f16_e32 v7, v104
	v_cvt_f32_f16_e32 v6, v16
	v_cvt_f32_f16_sdwa v9, v104 dst_sel:DWORD dst_unused:UNUSED_PAD src0_sel:WORD_1
	v_cvt_f32_f16_sdwa v8, v16 dst_sel:DWORD dst_unused:UNUSED_PAD src0_sel:WORD_1
	v_cvt_f32_i32_e32 v11, v177
	v_cvt_f32_i32_e32 v10, v167
	v_pk_fma_f32 v[2:3], v[106:107], v[14:15], v[2:3]
	v_cvt_f32_f16_e32 v13, v18
	v_cvt_f32_f16_e32 v12, v17
	v_cvt_f32_f16_sdwa v15, v18 dst_sel:DWORD dst_unused:UNUSED_PAD src0_sel:WORD_1
	v_cvt_f32_f16_sdwa v14, v17 dst_sel:DWORD dst_unused:UNUSED_PAD src0_sel:WORD_1
	v_cvt_f32_i32_e32 v17, v109
	v_cvt_f32_i32_e32 v16, v108
	v_pk_add_f32 v[2:3], v[92:93], v[2:3]
	v_pk_add_f32 v[2:3], v[2:3], v[4:5]
	v_pk_fma_f32 v[4:5], v[6:7], v[10:11], v[8:9]
	v_pk_add_f32 v[2:3], v[2:3], v[4:5]
	v_pk_fma_f32 v[4:5], v[12:13], v[16:17], v[14:15]
	v_pk_add_f32 v[92:93], v[2:3], v[4:5]
	s_cmp_ge_i32 s20, s15
	s_barrier
	s_cbranch_scc1 .LBB223_5
; %bb.13:                               ;   in Loop: Header=BB223_6 Depth=1
	v_add_u32_e32 v2, s19, v144
	v_cmp_gt_i32_e32 vcc, s9, v2
	s_and_b64 s[22:23], s[2:3], vcc
	s_and_saveexec_b64 s[4:5], s[22:23]
	s_cbranch_execz .LBB223_15
; %bb.14:                               ;   in Loop: Header=BB223_6 Depth=1
	v_add_u32_e32 v2, s19, v146
	v_mad_i64_i32 v[2:3], s[22:23], v2, 36, v[22:23]
	global_load_dword v2, v[2:3], off offset:4
	s_waitcnt vmcnt(0)
	ds_write_b32 v135, v2
.LBB223_15:                             ;   in Loop: Header=BB223_6 Depth=1
	s_or_b64 exec, exec, s[4:5]
	s_and_saveexec_b64 s[4:5], s[0:1]
	s_cbranch_execz .LBB223_4
; %bb.16:                               ;   in Loop: Header=BB223_6 Depth=1
	v_add3_u32 v2, v116, s19, 4
	v_cmp_gt_i32_e32 vcc, s9, v2
	s_and_b64 s[22:23], s[2:3], vcc
	s_and_b64 exec, exec, s[22:23]
	s_cbranch_execz .LBB223_4
; %bb.17:                               ;   in Loop: Header=BB223_6 Depth=1
	global_load_dword v2, v[24:25], off
	s_waitcnt vmcnt(0)
	ds_write_b32 v136, v2
	s_branch .LBB223_4
.LBB223_18:
	v_mov_b32_e32 v92, v93
	v_mov_b32_e32 v95, v93
	;; [unrolled: 1-line block ×3, first 2 shown]
.LBB223_19:
	s_mul_i32 s0, s11, s8
	s_waitcnt vmcnt(0)
	v_cmp_gt_i32_e32 vcc, s0, v101
	s_and_saveexec_b64 s[0:1], vcc
	s_cbranch_execz .LBB223_28
; %bb.20:
	v_and_b32_e32 v0, 0x3ff, v0
	v_add_u32_e32 v1, s16, v0
	v_mul_lo_u32 v0, v101, s10
	v_cmp_gt_u32_e32 vcc, s10, v1
	s_and_saveexec_b64 s[0:1], vcc
	s_cbranch_execz .LBB223_22
; %bb.21:
	v_bfe_u32 v2, v94, 16, 1
	s_movk_i32 s2, 0x7fff
	v_add3_u32 v2, v94, v2, s2
	v_lshrrev_b32_e32 v2, 16, v2
	v_mov_b32_e32 v3, 0x7fc0
	v_cmp_o_f32_e32 vcc, v94, v94
	v_cndmask_b32_e32 v4, v3, v2, vcc
	v_add_u32_e32 v2, v0, v1
	v_mov_b32_e32 v3, 0
	v_lshlrev_b64 v[2:3], 1, v[2:3]
	v_mov_b32_e32 v5, s13
	v_add_co_u32_e32 v2, vcc, s12, v2
	v_addc_co_u32_e32 v3, vcc, v5, v3, vcc
	global_store_short v[2:3], v4, off
.LBB223_22:
	s_or_b64 exec, exec, s[0:1]
	v_add_u32_e32 v2, 32, v1
	v_cmp_gt_u32_e32 vcc, s10, v2
	s_and_saveexec_b64 s[0:1], vcc
	s_cbranch_execz .LBB223_24
; %bb.23:
	v_bfe_u32 v3, v95, 16, 1
	s_movk_i32 s2, 0x7fff
	v_add3_u32 v3, v95, v3, s2
	v_lshrrev_b32_e32 v3, 16, v3
	v_mov_b32_e32 v4, 0x7fc0
	v_cmp_o_f32_e32 vcc, v95, v95
	v_cndmask_b32_e32 v4, v4, v3, vcc
	v_add_u32_e32 v2, v0, v2
	v_mov_b32_e32 v3, 0
	v_lshlrev_b64 v[2:3], 1, v[2:3]
	v_mov_b32_e32 v5, s13
	v_add_co_u32_e32 v2, vcc, s12, v2
	v_addc_co_u32_e32 v3, vcc, v5, v3, vcc
	global_store_short v[2:3], v4, off
.LBB223_24:
	s_or_b64 exec, exec, s[0:1]
	v_add_u32_e32 v2, 64, v1
	v_cmp_gt_u32_e32 vcc, s10, v2
	s_and_saveexec_b64 s[0:1], vcc
	s_cbranch_execz .LBB223_26
; %bb.25:
	v_bfe_u32 v3, v92, 16, 1
	s_movk_i32 s2, 0x7fff
	v_add3_u32 v3, v92, v3, s2
	v_lshrrev_b32_e32 v3, 16, v3
	v_mov_b32_e32 v4, 0x7fc0
	v_cmp_o_f32_e32 vcc, v92, v92
	v_cndmask_b32_e32 v4, v4, v3, vcc
	v_add_u32_e32 v2, v0, v2
	v_mov_b32_e32 v3, 0
	v_lshlrev_b64 v[2:3], 1, v[2:3]
	v_mov_b32_e32 v5, s13
	v_add_co_u32_e32 v2, vcc, s12, v2
	v_addc_co_u32_e32 v3, vcc, v5, v3, vcc
	global_store_short v[2:3], v4, off
.LBB223_26:
	s_or_b64 exec, exec, s[0:1]
	v_add_u32_e32 v1, 0x60, v1
	v_cmp_gt_u32_e32 vcc, s10, v1
	s_and_b64 exec, exec, vcc
	s_cbranch_execz .LBB223_28
; %bb.27:
	v_bfe_u32 v2, v93, 16, 1
	s_movk_i32 s0, 0x7fff
	v_add3_u32 v2, v93, v2, s0
	v_add_u32_e32 v0, v0, v1
	v_mov_b32_e32 v1, 0
	v_lshrrev_b32_e32 v2, 16, v2
	v_mov_b32_e32 v3, 0x7fc0
	v_cmp_o_f32_e32 vcc, v93, v93
	v_lshlrev_b64 v[0:1], 1, v[0:1]
	v_cndmask_b32_e32 v2, v3, v2, vcc
	v_mov_b32_e32 v3, s13
	v_add_co_u32_e32 v0, vcc, s12, v0
	v_addc_co_u32_e32 v1, vcc, v3, v1, vcc
	global_store_short v[0:1], v2, off
.LBB223_28:
	s_endpgm
	.section	.rodata,"a",@progbits
	.p2align	6, 0x0
	.amdhsa_kernel _ZL8moe_q5_1IN3c108BFloat16ELb0EEvPKvS3_PT_PKiS7_S7_iiiiiii
		.amdhsa_group_segment_fixed_size 38656
		.amdhsa_private_segment_fixed_size 0
		.amdhsa_kernarg_size 76
		.amdhsa_user_sgpr_count 6
		.amdhsa_user_sgpr_private_segment_buffer 1
		.amdhsa_user_sgpr_dispatch_ptr 0
		.amdhsa_user_sgpr_queue_ptr 0
		.amdhsa_user_sgpr_kernarg_segment_ptr 1
		.amdhsa_user_sgpr_dispatch_id 0
		.amdhsa_user_sgpr_flat_scratch_init 0
		.amdhsa_user_sgpr_kernarg_preload_length 0
		.amdhsa_user_sgpr_kernarg_preload_offset 0
		.amdhsa_user_sgpr_private_segment_size 0
		.amdhsa_uses_dynamic_stack 0
		.amdhsa_system_sgpr_private_segment_wavefront_offset 0
		.amdhsa_system_sgpr_workgroup_id_x 1
		.amdhsa_system_sgpr_workgroup_id_y 1
		.amdhsa_system_sgpr_workgroup_id_z 0
		.amdhsa_system_sgpr_workgroup_info 0
		.amdhsa_system_vgpr_workitem_id 1
		.amdhsa_next_free_vgpr 178
		.amdhsa_next_free_sgpr 24
		.amdhsa_accum_offset 180
		.amdhsa_reserve_vcc 1
		.amdhsa_reserve_flat_scratch 0
		.amdhsa_float_round_mode_32 0
		.amdhsa_float_round_mode_16_64 0
		.amdhsa_float_denorm_mode_32 3
		.amdhsa_float_denorm_mode_16_64 3
		.amdhsa_dx10_clamp 1
		.amdhsa_ieee_mode 1
		.amdhsa_fp16_overflow 0
		.amdhsa_tg_split 0
		.amdhsa_exception_fp_ieee_invalid_op 0
		.amdhsa_exception_fp_denorm_src 0
		.amdhsa_exception_fp_ieee_div_zero 0
		.amdhsa_exception_fp_ieee_overflow 0
		.amdhsa_exception_fp_ieee_underflow 0
		.amdhsa_exception_fp_ieee_inexact 0
		.amdhsa_exception_int_div_zero 0
	.end_amdhsa_kernel
	.section	.text._ZL8moe_q5_1IN3c108BFloat16ELb0EEvPKvS3_PT_PKiS7_S7_iiiiiii,"axG",@progbits,_ZL8moe_q5_1IN3c108BFloat16ELb0EEvPKvS3_PT_PKiS7_S7_iiiiiii,comdat
.Lfunc_end223:
	.size	_ZL8moe_q5_1IN3c108BFloat16ELb0EEvPKvS3_PT_PKiS7_S7_iiiiiii, .Lfunc_end223-_ZL8moe_q5_1IN3c108BFloat16ELb0EEvPKvS3_PT_PKiS7_S7_iiiiiii
                                        ; -- End function
	.section	.AMDGPU.csdata,"",@progbits
; Kernel info:
; codeLenInByte = 10896
; NumSgprs: 28
; NumVgprs: 178
; NumAgprs: 0
; TotalNumVgprs: 178
; ScratchSize: 0
; MemoryBound: 0
; FloatMode: 240
; IeeeMode: 1
; LDSByteSize: 38656 bytes/workgroup (compile time only)
; SGPRBlocks: 3
; VGPRBlocks: 22
; NumSGPRsForWavesPerEU: 28
; NumVGPRsForWavesPerEU: 178
; AccumOffset: 180
; Occupancy: 1
; WaveLimiterHint : 1
; COMPUTE_PGM_RSRC2:SCRATCH_EN: 0
; COMPUTE_PGM_RSRC2:USER_SGPR: 6
; COMPUTE_PGM_RSRC2:TRAP_HANDLER: 0
; COMPUTE_PGM_RSRC2:TGID_X_EN: 1
; COMPUTE_PGM_RSRC2:TGID_Y_EN: 1
; COMPUTE_PGM_RSRC2:TGID_Z_EN: 0
; COMPUTE_PGM_RSRC2:TIDIG_COMP_CNT: 1
; COMPUTE_PGM_RSRC3_GFX90A:ACCUM_OFFSET: 44
; COMPUTE_PGM_RSRC3_GFX90A:TG_SPLIT: 0
	.section	.text._ZL8moe_q5_1IN3c108BFloat16ELb1EEvPKvS3_PT_PKiS7_S7_iiiiiii,"axG",@progbits,_ZL8moe_q5_1IN3c108BFloat16ELb1EEvPKvS3_PT_PKiS7_S7_iiiiiii,comdat
	.globl	_ZL8moe_q5_1IN3c108BFloat16ELb1EEvPKvS3_PT_PKiS7_S7_iiiiiii ; -- Begin function _ZL8moe_q5_1IN3c108BFloat16ELb1EEvPKvS3_PT_PKiS7_S7_iiiiiii
	.p2align	8
	.type	_ZL8moe_q5_1IN3c108BFloat16ELb1EEvPKvS3_PT_PKiS7_S7_iiiiiii,@function
_ZL8moe_q5_1IN3c108BFloat16ELb1EEvPKvS3_PT_PKiS7_S7_iiiiiii: ; @_ZL8moe_q5_1IN3c108BFloat16ELb1EEvPKvS3_PT_PKiS7_S7_iiiiiii
; %bb.0:
	s_load_dwordx4 s[0:3], s[4:5], 0x18
	s_mov_b32 s8, s7
	s_mov_b32 s9, 0
	s_lshl_b64 s[10:11], s[8:9], 2
	s_waitcnt lgkmcnt(0)
	s_add_u32 s2, s2, s10
	s_addc_u32 s3, s3, s11
	s_load_dword s2, s[2:3], 0x0
	s_waitcnt lgkmcnt(0)
	s_cmpk_gt_u32 s2, 0xff
	s_cbranch_scc1 .LBB224_28
; %bb.1:
	s_load_dwordx2 s[10:11], s[4:5], 0x28
	s_lshl_b32 s3, s8, 3
	s_waitcnt lgkmcnt(0)
	s_load_dword s7, s[10:11], 0x0
	s_waitcnt lgkmcnt(0)
	s_cmp_gt_u32 s3, s7
	s_cbranch_scc1 .LBB224_28
; %bb.2:
	v_bfe_u32 v1, v0, 10, 10
	v_add_u32_e32 v122, s3, v1
	v_mov_b32_e32 v123, 0
	v_lshlrev_b64 v[2:3], 2, v[122:123]
	v_mov_b32_e32 v4, s1
	v_add_co_u32_e32 v2, vcc, s0, v2
	v_addc_co_u32_e32 v3, vcc, v4, v3, vcc
	global_load_dword v97, v[2:3], off
	s_load_dwordx8 s[8:15], s[4:5], 0x30
	s_load_dwordx2 s[16:17], s[4:5], 0x10
	s_waitcnt lgkmcnt(0)
	s_lshl_b32 s15, s6, 7
	s_cmp_lt_i32 s9, 32
	s_cbranch_scc1 .LBB224_18
; %bb.3:
	s_ashr_i32 s0, s9, 31
	s_lshr_b32 s0, s0, 27
	s_add_i32 s0, s9, s0
	s_ashr_i32 s18, s0, 5
	s_ashr_i32 s0, s12, 31
	s_lshr_b32 s0, s0, 27
	s_add_i32 s0, s12, s0
	s_ashr_i32 s12, s0, 5
	s_not_b32 s0, s15
	s_mul_i32 s8, s2, s8
	s_add_i32 s2, s0, s10
	v_and_b32_e32 v99, 0x3ff, v0
	v_lshlrev_b32_e32 v3, 2, v99
	v_min_i32_e32 v5, s2, v1
	v_lshlrev_b32_e32 v2, 3, v99
	s_movk_i32 s3, 0x104
	v_mul_lo_u32 v6, v5, s18
	v_mad_u64_u32 v[22:23], s[0:1], v5, s3, v[2:3]
	v_add_u32_e32 v5, 8, v1
	v_min_i32_e32 v5, s2, v5
	v_mul_lo_u32 v7, v5, s18
	v_mad_u64_u32 v[24:25], s[0:1], v5, s3, v[2:3]
	v_add_u32_e32 v5, 16, v1
	v_min_i32_e32 v5, s2, v5
	;; [unrolled: 4-line block ×15, first 2 shown]
	v_mad_u64_u32 v[52:53], s[0:1], v5, s3, v[2:3]
	v_lshlrev_b32_e32 v2, 2, v1
	v_lshrrev_b32_e32 v103, 3, v99
	v_mul_lo_u32 v21, v5, s18
	v_add_u32_e32 v5, v103, v2
	v_min_i32_e32 v23, s2, v5
	v_ashrrev_i32_e32 v25, 31, v23
	v_lshrrev_b32_e32 v25, 30, v25
	v_and_b32_e32 v95, 7, v99
	v_mul_lo_u32 v89, v23, s18
	v_add_u32_e32 v25, v23, v25
	v_lshlrev_b32_e32 v123, 5, v23
	v_add_u32_e32 v23, 32, v5
	v_and_b32_e32 v25, -4, v25
	v_lshlrev_b32_e32 v27, 2, v95
	s_mov_b32 s3, 0x8200
	v_min_i32_e32 v23, s2, v23
	v_add3_u32 v122, v25, v27, s3
	v_ashrrev_i32_e32 v25, 31, v23
	v_lshrrev_b32_e32 v25, 30, v25
	v_mul_lo_u32 v91, v23, s18
	v_add_u32_e32 v25, v23, v25
	v_lshlrev_b32_e32 v134, 5, v23
	v_add_u32_e32 v23, 64, v5
	s_load_dwordx4 s[4:7], s[4:5], 0x0
	v_and_b32_e32 v25, -4, v25
	v_min_i32_e32 v23, s2, v23
	v_add3_u32 v127, v25, v27, s3
	v_ashrrev_i32_e32 v25, 31, v23
	v_add_u32_e32 v5, 0x60, v5
	v_lshrrev_b32_e32 v25, 30, v25
	v_min_i32_e32 v5, s2, v5
	v_mul_lo_u32 v93, v23, s18
	v_add_u32_e32 v25, v23, v25
	v_lshlrev_b32_e32 v136, 5, v23
	v_ashrrev_i32_e32 v23, 31, v5
	v_and_b32_e32 v101, 12, v3
	v_lshrrev_b32_e32 v23, 30, v23
	v_and_b32_e32 v3, 28, v3
	v_mul_lo_u32 v126, v5, s18
	v_add_u32_e32 v23, v5, v23
	v_lshlrev_b32_e32 v138, 5, v5
	v_and_b32_e32 v5, 31, v99
	s_waitcnt lgkmcnt(0)
	v_add_co_u32_e32 v54, vcc, s6, v3
	v_lshlrev_b32_e32 v3, 7, v1
	v_lshl_or_b32 v5, v5, 2, v3
	v_add_u32_e32 v105, 0x9280, v5
	v_or_b32_e32 v2, v2, v99
	v_mov_b32_e32 v5, 0x9680
	v_lshl_add_u32 v107, v2, 2, v5
	v_lshl_add_u32 v111, v1, 4, v5
	v_and_b32_e32 v1, 0xfc, v99
	v_lshlrev_b32_e32 v2, 5, v99
	v_add3_u32 v115, v2, v1, s3
	v_add_u32_e32 v1, 32, v99
	v_add_u32_e32 v109, 0x9280, v3
	v_and_b32_e32 v2, 0x1fc, v1
	v_lshlrev_b32_e32 v3, 5, v1
	v_add3_u32 v117, v3, v2, s3
	v_add_u32_e32 v2, 64, v99
	v_and_b32_e32 v3, 0x1fc, v2
	v_lshlrev_b32_e32 v2, 5, v2
	s_abs_i32 s2, s14
	v_add3_u32 v119, v2, v3, s3
	v_cvt_f32_u32_e32 v3, s2
	v_add_u32_e32 v2, 0x60, v99
	v_and_b32_e32 v5, 0x1fc, v2
	v_lshlrev_b32_e32 v2, 5, v2
	v_add3_u32 v121, v2, v5, s3
	v_rcp_iflag_f32_e32 v2, v3
	v_and_b32_e32 v25, -4, v25
	v_and_b32_e32 v23, -4, v23
	v_add3_u32 v135, v25, v27, s3
	v_mul_f32_e32 v2, 0x4f7ffffe, v2
	v_cvt_u32_f32_e32 v2, v2
	v_add3_u32 v137, v23, v27, s3
	s_sub_i32 s3, 0, s2
	s_waitcnt vmcnt(0)
	v_sub_u32_e32 v3, 0, v97
	v_mul_lo_u32 v5, s3, v2
	v_mul_hi_u32 v5, v2, v5
	v_max_i32_e32 v3, v97, v3
	v_add_u32_e32 v2, v2, v5
	v_mul_hi_u32 v2, v3, v2
	v_mov_b32_e32 v23, s7
	v_mul_lo_u32 v5, v2, s2
	v_addc_co_u32_e32 v55, vcc, 0, v23, vcc
	v_sub_u32_e32 v3, v3, v5
	v_add_u32_e32 v5, 1, v2
	v_cmp_le_u32_e32 vcc, s2, v3
	v_cndmask_b32_e32 v2, v2, v5, vcc
	v_subrev_u32_e32 v5, s2, v3
	v_cndmask_b32_e32 v3, v3, v5, vcc
	v_lshrrev_b32_e32 v125, 3, v1
	v_xor_b32_e32 v1, s14, v97
	v_add_u32_e32 v5, 1, v2
	v_cmp_le_u32_e32 vcc, s2, v3
	v_ashrrev_i32_e32 v1, 31, v1
	v_cndmask_b32_e32 v2, v2, v5, vcc
	v_xor_b32_e32 v2, v2, v1
	v_sub_u32_e32 v1, v2, v1
	v_cmp_gt_i32_e64 s[2:3], s11, v1
	v_mul_lo_u32 v1, v1, s12
	v_ashrrev_i32_e32 v2, 31, v1
	v_add_co_u32_e32 v3, vcc, v1, v99
	s_mul_i32 s20, s18, s15
	v_addc_co_u32_e32 v5, vcc, 0, v2, vcc
	v_mad_u64_u32 v[2:3], s[22:23], v3, 36, s[6:7]
	s_movk_i32 s21, 0x90
	v_mad_i32_i24 v3, v5, 36, v3
	v_add_co_u32_e32 v56, vcc, s21, v2
	s_mul_hi_i32 s21, s20, 24
	s_mul_i32 s22, s20, 24
	v_lshrrev_b32_e32 v4, 2, v99
	v_addc_co_u32_e32 v57, vcc, 0, v3, vcc
	v_mov_b32_e32 v2, s22
	v_mov_b32_e32 v3, s21
	v_mad_u64_u32 v[2:3], s[22:23], v4, 24, v[2:3]
	v_mad_i64_i32 v[4:5], s[22:23], v6, 24, v[2:3]
	v_add_u32_e32 v129, v99, v1
	v_add_u32_e32 v131, v125, v1
	;; [unrolled: 1-line block ×3, first 2 shown]
	v_add_co_u32_e32 v1, vcc, v4, v101
	v_addc_co_u32_e32 v6, vcc, 0, v5, vcc
	v_mov_b32_e32 v85, s5
	v_add_co_u32_e32 v1, vcc, s4, v1
	v_addc_co_u32_e32 v6, vcc, v6, v85, vcc
	v_add_co_u32_e32 v58, vcc, 8, v1
	v_addc_co_u32_e32 v1, vcc, 0, v6, vcc
	v_mov_b32_e32 v6, s5
	v_add_co_u32_e32 v60, vcc, s4, v4
	v_addc_co_u32_e32 v23, vcc, v6, v5, vcc
	v_mad_i64_i32 v[4:5], s[22:23], v7, 24, v[2:3]
	v_add_co_u32_e32 v4, vcc, s4, v4
	v_addc_co_u32_e32 v5, vcc, v5, v85, vcc
	v_add_co_u32_e32 v6, vcc, v4, v101
	v_addc_co_u32_e32 v7, vcc, 0, v5, vcc
	v_add_co_u32_e32 v62, vcc, 8, v6
	v_addc_co_u32_e32 v25, vcc, 0, v7, vcc
	v_add_co_u32_e32 v64, vcc, 4, v4
	v_addc_co_u32_e32 v27, vcc, 0, v5, vcc
	v_mad_i64_i32 v[4:5], s[22:23], v8, 24, v[2:3]
	v_add_co_u32_e32 v4, vcc, s4, v4
	v_addc_co_u32_e32 v5, vcc, v5, v85, vcc
	v_add_co_u32_e32 v6, vcc, v4, v101
	v_addc_co_u32_e32 v7, vcc, 0, v5, vcc
	v_add_co_u32_e32 v66, vcc, 8, v6
	v_addc_co_u32_e32 v29, vcc, 0, v7, vcc
	;; [unrolled: 9-line block ×15, first 2 shown]
	v_add_co_u32_e32 v120, vcc, 4, v2
	v_addc_co_u32_e32 v87, vcc, 0, v3, vcc
	v_mad_i64_i32 v[2:3], s[22:23], v89, 24, 0
	v_mad_i64_i32 v[2:3], s[22:23], s20, 24, v[2:3]
	v_mad_u64_u32 v[2:3], s[22:23], v95, 24, v[2:3]
	v_mov_b32_e32 v4, s5
	v_add_co_u32_e32 v124, vcc, s4, v2
	v_addc_co_u32_e32 v89, vcc, v4, v3, vcc
	v_mad_i64_i32 v[2:3], s[22:23], v91, 24, 0
	v_mad_i64_i32 v[2:3], s[22:23], s20, 24, v[2:3]
	v_mad_u64_u32 v[2:3], s[22:23], v95, 24, v[2:3]
	v_add_co_u32_e32 v128, vcc, s4, v2
	v_addc_co_u32_e32 v91, vcc, v4, v3, vcc
	v_mad_i64_i32 v[2:3], s[22:23], v93, 24, 0
	v_mad_i64_i32 v[2:3], s[22:23], s20, 24, v[2:3]
	v_mad_u64_u32 v[2:3], s[22:23], v95, 24, v[2:3]
	;; [unrolled: 5-line block ×3, first 2 shown]
	v_add_co_u32_e32 v132, vcc, s4, v2
	v_mov_b32_e32 v126, 0
	s_ashr_i32 s19, s8, 31
	s_mov_b32 s10, 0
	v_cmp_gt_u32_e64 s[0:1], 4, v99
	v_mul_u32_u24_e32 v113, 0x104, v99
	v_addc_co_u32_e32 v95, vcc, v4, v3, vcc
	s_movk_i32 s20, 0x80
	v_add_u32_e32 v148, v122, v123
	v_add_u32_e32 v149, v127, v134
	;; [unrolled: 1-line block ×4, first 2 shown]
	v_mov_b32_e32 v127, v126
	v_mov_b32_e32 v122, v126
	v_mov_b32_e32 v123, v126
	s_branch .LBB224_6
.LBB224_4:                              ;   in Loop: Header=BB224_6 Depth=1
	s_or_b64 exec, exec, s[4:5]
	s_waitcnt lgkmcnt(0)
	s_barrier
	ds_read_b128 v[14:17], v109
	ds_read_b128 v[18:21], v109 offset:16
	ds_read_b128 v[2:5], v111
	ds_read2_b32 v[134:135], v113 offset0:32 offset1:33
	ds_read_b128 v[10:13], v109 offset:32
	ds_read_b128 v[6:9], v109 offset:48
	ds_read2_b32 v[136:137], v115 offset0:4 offset1:5
	ds_read2_b32 v[138:139], v113 offset0:34 offset1:35
	v_mov_b32_e32 v142, 0
	s_waitcnt lgkmcnt(4)
	v_dot4c_i32_i8_e32 v142, v134, v14
	v_dot4c_i32_i8_e32 v142, v135, v18
	ds_read2_b32 v[134:135], v113 offset0:36 offset1:37
	ds_read2_b32 v[144:145], v113 offset0:38 offset1:39
	ds_read2_b32 v[140:141], v113 offset0:40 offset1:41
	s_waitcnt lgkmcnt(3)
	v_dot4c_i32_i8_e32 v142, v138, v15
	v_dot4c_i32_i8_e32 v142, v139, v19
	s_waitcnt lgkmcnt(2)
	v_dot4c_i32_i8_e32 v142, v134, v16
	v_dot4c_i32_i8_e32 v142, v135, v20
	;; [unrolled: 3-line block ×3, first 2 shown]
	v_add_u32_e32 v134, 0x2100, v113
	ds_read2_b32 v[144:145], v113 offset0:58 offset1:59
	ds_read2_b32 v[146:147], v113 offset0:60 offset1:61
	;; [unrolled: 1-line block ×3, first 2 shown]
	ds_read2_b32 v[138:139], v134 offset1:1
	v_mov_b32_e32 v168, 0
	v_pk_mul_f16 v143, v2, v136
	v_add_u32_e32 v136, 0x2108, v113
	ds_read2_b32 v[154:155], v117 offset0:4 offset1:5
	ds_read2_b32 v[134:135], v121 offset0:6 offset1:7
	s_waitcnt lgkmcnt(2)
	v_dot4c_i32_i8_e32 v168, v138, v14
	v_dot4c_i32_i8_e32 v168, v139, v18
	ds_read2_b32 v[138:139], v136 offset1:1
	v_add_u32_e32 v156, 0x2110, v113
	v_add_u32_e32 v158, 0x2118, v113
	;; [unrolled: 1-line block ×3, first 2 shown]
	ds_read2_b32 v[156:157], v156 offset1:1
	ds_read2_b32 v[158:159], v158 offset1:1
	ds_read2_b32 v[160:161], v136 offset1:1
	s_waitcnt lgkmcnt(3)
	v_dot4c_i32_i8_e32 v168, v138, v15
	v_dot4c_i32_i8_e32 v168, v139, v19
	s_waitcnt lgkmcnt(2)
	v_dot4c_i32_i8_e32 v168, v156, v16
	v_dot4c_i32_i8_e32 v168, v157, v20
	v_mov_b32_e32 v169, 0
	s_waitcnt lgkmcnt(1)
	v_dot4c_i32_i8_e32 v168, v158, v17
	s_waitcnt lgkmcnt(0)
	v_dot4c_i32_i8_e32 v169, v160, v14
	v_add_u32_e32 v136, 0x4188, v113
	v_add_u32_e32 v162, 0x4190, v113
	;; [unrolled: 1-line block ×3, first 2 shown]
	v_dot4c_i32_i8_e32 v168, v159, v21
	ds_read2_b32 v[156:157], v119 offset0:4 offset1:5
	ds_read2_b32 v[138:139], v117 offset0:6 offset1:7
	;; [unrolled: 1-line block ×3, first 2 shown]
	v_dot4c_i32_i8_e32 v169, v161, v18
	ds_read2_b32 v[160:161], v136 offset1:1
	v_add_u32_e32 v136, 0x6200, v113
	ds_read2_b32 v[162:163], v162 offset1:1
	ds_read2_b32 v[164:165], v164 offset1:1
	;; [unrolled: 1-line block ×3, first 2 shown]
	v_mov_b32_e32 v170, 0
	v_add_u32_e32 v136, 0x6218, v113
	s_waitcnt lgkmcnt(3)
	v_dot4c_i32_i8_e32 v169, v160, v15
	v_dot4c_i32_i8_e32 v169, v161, v19
	s_waitcnt lgkmcnt(0)
	v_dot4c_i32_i8_e32 v170, v166, v14
	v_add_u32_e32 v14, 0x6208, v113
	ds_read2_b32 v[160:161], v14 offset1:1
	v_dot4c_i32_i8_e32 v169, v162, v16
	v_dot4c_i32_i8_e32 v169, v163, v20
	;; [unrolled: 1-line block ×4, first 2 shown]
	v_add_u32_e32 v18, 0x6210, v113
	v_dot4c_i32_i8_e32 v169, v165, v21
	v_add_u32_e32 v14, 0x2120, v113
	ds_read2_b32 v[162:163], v18 offset1:1
	ds_read2_b32 v[164:165], v136 offset1:1
	;; [unrolled: 1-line block ×3, first 2 shown]
	s_waitcnt lgkmcnt(3)
	v_dot4c_i32_i8_e32 v170, v160, v15
	v_dot4c_i32_i8_e32 v170, v161, v19
	s_waitcnt lgkmcnt(2)
	v_dot4c_i32_i8_e32 v170, v162, v16
	v_dot4c_i32_i8_e32 v170, v163, v20
	ds_read2_b32 v[18:19], v121 offset0:4 offset1:5
	ds_read2_b32 v[14:15], v119 offset0:6 offset1:7
	s_waitcnt lgkmcnt(3)
	v_dot4c_i32_i8_e32 v170, v164, v17
	ds_read2_b32 v[16:17], v113 offset0:42 offset1:43
	v_mov_b32_e32 v163, 0
	v_dot4c_i32_i8_e32 v163, v140, v10
	v_dot4c_i32_i8_e32 v170, v165, v21
	v_dot4c_i32_i8_e32 v163, v141, v6
	ds_read2_b32 v[20:21], v113 offset0:44 offset1:45
	ds_read2_b32 v[140:141], v113 offset0:46 offset1:47
	;; [unrolled: 1-line block ×3, first 2 shown]
	v_pk_mul_f16 v154, v2, v154
	v_pk_mul_f16 v156, v2, v156
	s_waitcnt lgkmcnt(5)
	v_pk_mul_f16 v162, v2, v18
	s_waitcnt lgkmcnt(3)
	v_dot4c_i32_i8_e32 v163, v16, v11
	v_add_u32_e32 v2, 0x2128, v113
	v_dot4c_i32_i8_e32 v163, v17, v7
	ds_read2_b32 v[16:17], v2 offset1:1
	s_waitcnt lgkmcnt(3)
	v_dot4c_i32_i8_e32 v163, v20, v12
	v_dot4c_i32_i8_e32 v163, v21, v8
	v_mov_b32_e32 v165, 0
	s_waitcnt lgkmcnt(2)
	v_dot4c_i32_i8_e32 v163, v140, v13
	v_dot4c_i32_i8_e32 v165, v166, v10
	v_add_u32_e32 v18, 0x2130, v113
	v_add_u32_e32 v136, 0x2138, v113
	v_dot4c_i32_i8_e32 v163, v141, v9
	v_pk_mul_f16 v164, v3, v137
	v_dot4c_i32_i8_e32 v165, v167, v6
	v_add_u32_e32 v2, 0x41a0, v113
	ds_read2_b32 v[20:21], v18 offset1:1
	ds_read2_b32 v[136:137], v136 offset1:1
	;; [unrolled: 1-line block ×3, first 2 shown]
	s_waitcnt lgkmcnt(3)
	v_dot4c_i32_i8_e32 v165, v16, v11
	v_dot4c_i32_i8_e32 v165, v17, v7
	v_add_u32_e32 v2, 0x41a8, v113
	s_waitcnt lgkmcnt(2)
	v_dot4c_i32_i8_e32 v165, v20, v12
	ds_read2_b32 v[16:17], v2 offset1:1
	v_dot4c_i32_i8_e32 v165, v21, v8
	v_mov_b32_e32 v166, 0
	s_waitcnt lgkmcnt(2)
	v_dot4c_i32_i8_e32 v165, v136, v13
	s_waitcnt lgkmcnt(1)
	v_dot4c_i32_i8_e32 v166, v140, v10
	v_add_u32_e32 v18, 0x41b0, v113
	v_add_u32_e32 v136, 0x41b8, v113
	v_dot4c_i32_i8_e32 v165, v137, v9
	v_dot4c_i32_i8_e32 v166, v141, v6
	v_add_u32_e32 v2, 0x6220, v113
	ds_read2_b32 v[20:21], v18 offset1:1
	ds_read2_b32 v[136:137], v136 offset1:1
	;; [unrolled: 1-line block ×3, first 2 shown]
	s_waitcnt lgkmcnt(3)
	v_dot4c_i32_i8_e32 v166, v16, v11
	v_add_u32_e32 v2, 0x6228, v113
	v_dot4c_i32_i8_e32 v166, v17, v7
	ds_read2_b32 v[16:17], v2 offset1:1
	s_waitcnt lgkmcnt(3)
	v_dot4c_i32_i8_e32 v166, v20, v12
	v_mov_b32_e32 v167, 0
	v_dot4c_i32_i8_e32 v166, v21, v8
	s_waitcnt lgkmcnt(1)
	v_dot4c_i32_i8_e32 v167, v140, v10
	v_dot4c_i32_i8_e32 v166, v136, v13
	;; [unrolled: 1-line block ×3, first 2 shown]
	v_add_u32_e32 v6, 0x6230, v113
	v_dot4c_i32_i8_e32 v166, v137, v9
	v_add_u32_e32 v10, 0x6238, v113
	v_add_u32_e32 v2, 0x2140, v113
	ds_read2_b32 v[20:21], v6 offset1:1
	ds_read2_b32 v[136:137], v10 offset1:1
	;; [unrolled: 1-line block ×3, first 2 shown]
	s_waitcnt lgkmcnt(3)
	v_dot4c_i32_i8_e32 v167, v16, v11
	v_dot4c_i32_i8_e32 v167, v17, v7
	s_waitcnt lgkmcnt(2)
	v_dot4c_i32_i8_e32 v167, v20, v12
	v_dot4c_i32_i8_e32 v167, v21, v8
	s_waitcnt lgkmcnt(1)
	v_dot4c_i32_i8_e32 v167, v136, v13
	ds_read_b128 v[10:13], v109 offset:64
	v_dot4c_i32_i8_e32 v167, v137, v9
	ds_read_b128 v[6:9], v109 offset:80
	v_pk_mul_f16 v155, v3, v155
	v_pk_mul_f16 v157, v3, v157
	;; [unrolled: 1-line block ×3, first 2 shown]
	ds_read2_b32 v[2:3], v113 offset0:50 offset1:51
	v_mov_b32_e32 v172, 0
	s_waitcnt lgkmcnt(2)
	v_dot4c_i32_i8_e32 v172, v160, v10
	s_waitcnt lgkmcnt(1)
	v_dot4c_i32_i8_e32 v172, v161, v6
	ds_read2_b32 v[16:17], v113 offset0:52 offset1:53
	ds_read2_b32 v[18:19], v113 offset0:54 offset1:55
	;; [unrolled: 1-line block ×3, first 2 shown]
	s_waitcnt lgkmcnt(3)
	v_dot4c_i32_i8_e32 v172, v2, v11
	v_add_u32_e32 v2, 0x2148, v113
	v_dot4c_i32_i8_e32 v172, v3, v7
	ds_read2_b32 v[2:3], v2 offset1:1
	s_waitcnt lgkmcnt(3)
	v_dot4c_i32_i8_e32 v172, v16, v12
	v_dot4c_i32_i8_e32 v172, v17, v8
	v_mov_b32_e32 v160, 0
	s_waitcnt lgkmcnt(2)
	v_dot4c_i32_i8_e32 v172, v18, v13
	v_dot4c_i32_i8_e32 v160, v140, v10
	v_add_u32_e32 v16, 0x2150, v113
	v_add_u32_e32 v18, 0x2158, v113
	;; [unrolled: 1-line block ×3, first 2 shown]
	v_dot4c_i32_i8_e32 v172, v19, v9
	v_dot4c_i32_i8_e32 v160, v141, v6
	ds_read2_b32 v[16:17], v16 offset1:1
	ds_read2_b32 v[18:19], v18 offset1:1
	;; [unrolled: 1-line block ×3, first 2 shown]
	s_waitcnt lgkmcnt(3)
	v_dot4c_i32_i8_e32 v160, v2, v11
	v_dot4c_i32_i8_e32 v160, v3, v7
	v_add_u32_e32 v2, 0x41c8, v113
	s_waitcnt lgkmcnt(2)
	v_dot4c_i32_i8_e32 v160, v16, v12
	ds_read2_b32 v[2:3], v2 offset1:1
	v_dot4c_i32_i8_e32 v160, v17, v8
	v_mov_b32_e32 v161, 0
	s_waitcnt lgkmcnt(2)
	v_dot4c_i32_i8_e32 v160, v18, v13
	s_waitcnt lgkmcnt(1)
	v_dot4c_i32_i8_e32 v161, v136, v10
	v_add_u32_e32 v16, 0x41d0, v113
	v_add_u32_e32 v18, 0x41d8, v113
	;; [unrolled: 1-line block ×3, first 2 shown]
	v_dot4c_i32_i8_e32 v160, v19, v9
	v_dot4c_i32_i8_e32 v161, v137, v6
	ds_read2_b32 v[16:17], v16 offset1:1
	ds_read2_b32 v[18:19], v18 offset1:1
	;; [unrolled: 1-line block ×3, first 2 shown]
	s_waitcnt lgkmcnt(3)
	v_dot4c_i32_i8_e32 v161, v2, v11
	v_add_u32_e32 v2, 0x6248, v113
	v_dot4c_i32_i8_e32 v161, v3, v7
	ds_read2_b32 v[2:3], v2 offset1:1
	v_mov_b32_e32 v174, 0
	s_waitcnt lgkmcnt(1)
	v_dot4c_i32_i8_e32 v174, v136, v10
	v_dot4c_i32_i8_e32 v161, v16, v12
	;; [unrolled: 1-line block ×3, first 2 shown]
	v_add_u32_e32 v6, 0x6250, v113
	v_dot4c_i32_i8_e32 v161, v17, v8
	v_pk_mul_f16 v173, v4, v14
	v_add_u32_e32 v10, 0x6258, v113
	v_add_u32_e32 v14, 0x2160, v113
	ds_read2_b32 v[16:17], v6 offset1:1
	ds_read2_b32 v[136:137], v10 offset1:1
	;; [unrolled: 1-line block ×3, first 2 shown]
	s_waitcnt lgkmcnt(3)
	v_dot4c_i32_i8_e32 v174, v2, v11
	v_dot4c_i32_i8_e32 v174, v3, v7
	s_waitcnt lgkmcnt(2)
	v_dot4c_i32_i8_e32 v174, v16, v12
	v_dot4c_i32_i8_e32 v161, v18, v13
	;; [unrolled: 1-line block ×4, first 2 shown]
	s_waitcnt lgkmcnt(1)
	v_dot4c_i32_i8_e32 v174, v136, v13
	ds_read_b128 v[10:13], v109 offset:96
	ds_read_b128 v[16:19], v109 offset:112
	v_pk_mul_f16 v158, v4, v158
	v_pk_mul_f16 v138, v4, v138
	;; [unrolled: 1-line block ×3, first 2 shown]
	v_mov_b32_e32 v4, 0
	v_add_u32_e32 v2, 0x2168, v113
	s_waitcnt lgkmcnt(1)
	v_dot4c_i32_i8_e32 v4, v20, v10
	ds_read2_b32 v[2:3], v2 offset1:1
	s_waitcnt lgkmcnt(1)
	v_dot4c_i32_i8_e32 v4, v21, v16
	v_dot4c_i32_i8_e32 v4, v144, v11
	v_mov_b32_e32 v144, 0
	v_dot4c_i32_i8_e32 v144, v140, v10
	v_add_u32_e32 v6, 0x2170, v113
	v_add_u32_e32 v8, 0x2178, v113
	;; [unrolled: 1-line block ×3, first 2 shown]
	v_dot4c_i32_i8_e32 v174, v137, v9
	v_dot4c_i32_i8_e32 v144, v141, v16
	ds_read2_b32 v[6:7], v6 offset1:1
	ds_read2_b32 v[8:9], v8 offset1:1
	ds_read2_b32 v[20:21], v20 offset1:1
	s_waitcnt lgkmcnt(3)
	v_dot4c_i32_i8_e32 v144, v2, v11
	v_dot4c_i32_i8_e32 v144, v3, v17
	s_waitcnt lgkmcnt(2)
	v_dot4c_i32_i8_e32 v144, v6, v12
	v_dot4c_i32_i8_e32 v144, v7, v18
	;; [unrolled: 3-line block ×3, first 2 shown]
	v_cvt_f32_f16_e32 v3, v154
	v_cvt_f32_f16_e32 v2, v143
	v_cvt_f32_f16_sdwa v7, v154 dst_sel:DWORD dst_unused:UNUSED_PAD src0_sel:WORD_1
	v_cvt_f32_f16_sdwa v6, v143 dst_sel:DWORD dst_unused:UNUSED_PAD src0_sel:WORD_1
	v_cvt_f32_i32_e32 v9, v168
	v_cvt_f32_i32_e32 v8, v142
	v_dot4c_i32_i8_e32 v4, v145, v17
	v_cvt_f32_f16_e32 v137, v155
	v_cvt_f32_f16_e32 v136, v164
	v_cvt_f32_f16_sdwa v141, v155 dst_sel:DWORD dst_unused:UNUSED_PAD src0_sel:WORD_1
	v_cvt_f32_f16_sdwa v140, v164 dst_sel:DWORD dst_unused:UNUSED_PAD src0_sel:WORD_1
	v_cvt_f32_i32_e32 v143, v165
	v_cvt_f32_i32_e32 v142, v163
	v_dot4c_i32_i8_e32 v4, v146, v12
	v_dot4c_i32_i8_e32 v4, v147, v18
	;; [unrolled: 1-line block ×3, first 2 shown]
	v_pk_fma_f32 v[2:3], v[2:3], v[8:9], v[6:7]
	v_dot4c_i32_i8_e32 v4, v153, v19
	v_pk_mul_f16 v14, v5, v159
	v_pk_mul_f16 v145, v5, v139
	v_pk_add_f32 v[2:3], v[126:127], v[2:3]
	v_pk_fma_f32 v[6:7], v[136:137], v[142:143], v[140:141]
	v_cvt_f32_f16_e32 v9, v138
	v_cvt_f32_f16_e32 v8, v158
	v_cvt_f32_f16_sdwa v127, v138 dst_sel:DWORD dst_unused:UNUSED_PAD src0_sel:WORD_1
	v_cvt_f32_f16_sdwa v126, v158 dst_sel:DWORD dst_unused:UNUSED_PAD src0_sel:WORD_1
	v_cvt_f32_i32_e32 v137, v160
	v_cvt_f32_i32_e32 v136, v172
	v_cvt_f32_f16_e32 v139, v145
	v_cvt_f32_f16_e32 v138, v14
	v_cvt_f32_f16_sdwa v141, v145 dst_sel:DWORD dst_unused:UNUSED_PAD src0_sel:WORD_1
	v_cvt_f32_f16_sdwa v140, v14 dst_sel:DWORD dst_unused:UNUSED_PAD src0_sel:WORD_1
	v_cvt_f32_i32_e32 v143, v144
	v_cvt_f32_i32_e32 v142, v4
	v_pk_add_f32 v[2:3], v[2:3], v[6:7]
	v_pk_fma_f32 v[6:7], v[8:9], v[136:137], v[126:127]
	v_pk_add_f32 v[2:3], v[2:3], v[6:7]
	v_pk_fma_f32 v[6:7], v[138:139], v[142:143], v[140:141]
	v_pk_add_f32 v[126:127], v[2:3], v[6:7]
	v_add_u32_e32 v2, 0x41e8, v113
	ds_read2_b32 v[2:3], v2 offset1:1
	v_mov_b32_e32 v136, 0
	s_waitcnt lgkmcnt(1)
	v_dot4c_i32_i8_e32 v136, v20, v10
	v_add_u32_e32 v4, 0x41f0, v113
	v_add_u32_e32 v8, 0x41f8, v113
	v_dot4c_i32_i8_e32 v136, v21, v16
	v_add_u32_e32 v14, 0x6260, v113
	ds_read2_b32 v[6:7], v4 offset1:1
	ds_read2_b32 v[8:9], v8 offset1:1
	;; [unrolled: 1-line block ×3, first 2 shown]
	s_waitcnt lgkmcnt(3)
	v_dot4c_i32_i8_e32 v136, v2, v11
	v_add_u32_e32 v2, 0x6268, v113
	v_dot4c_i32_i8_e32 v136, v3, v17
	ds_read2_b32 v[2:3], v2 offset1:1
	s_waitcnt lgkmcnt(3)
	v_dot4c_i32_i8_e32 v136, v6, v12
	v_add_u32_e32 v4, 0x6270, v113
	v_dot4c_i32_i8_e32 v136, v7, v18
	ds_read2_b32 v[6:7], v4 offset1:1
	v_mov_b32_e32 v138, 0
	s_waitcnt lgkmcnt(3)
	v_dot4c_i32_i8_e32 v136, v8, v13
	s_waitcnt lgkmcnt(2)
	v_dot4c_i32_i8_e32 v138, v20, v10
	v_add_u32_e32 v4, 0x6278, v113
	v_dot4c_i32_i8_e32 v136, v9, v19
	v_dot4c_i32_i8_e32 v138, v21, v16
	ds_read2_b32 v[8:9], v4 offset1:1
	s_waitcnt lgkmcnt(2)
	v_dot4c_i32_i8_e32 v138, v2, v11
	v_dot4c_i32_i8_e32 v138, v3, v17
	s_waitcnt lgkmcnt(1)
	v_dot4c_i32_i8_e32 v138, v6, v12
	v_dot4c_i32_i8_e32 v138, v7, v18
	s_waitcnt lgkmcnt(0)
	v_dot4c_i32_i8_e32 v138, v8, v13
	v_pk_mul_f16 v137, v5, v15
	v_dot4c_i32_i8_e32 v138, v9, v19
	v_cvt_f32_f16_e32 v3, v162
	v_cvt_f32_f16_e32 v2, v156
	v_cvt_f32_f16_sdwa v7, v162 dst_sel:DWORD dst_unused:UNUSED_PAD src0_sel:WORD_1
	v_cvt_f32_f16_sdwa v6, v156 dst_sel:DWORD dst_unused:UNUSED_PAD src0_sel:WORD_1
	v_cvt_f32_i32_e32 v9, v170
	v_cvt_f32_i32_e32 v8, v169
	v_cvt_f32_f16_e32 v11, v171
	v_cvt_f32_f16_e32 v10, v157
	v_cvt_f32_f16_sdwa v13, v171 dst_sel:DWORD dst_unused:UNUSED_PAD src0_sel:WORD_1
	v_cvt_f32_f16_sdwa v12, v157 dst_sel:DWORD dst_unused:UNUSED_PAD src0_sel:WORD_1
	v_cvt_f32_i32_e32 v15, v167
	v_cvt_f32_i32_e32 v14, v166
	v_pk_mul_f16 v16, v5, v135
	v_pk_fma_f32 v[2:3], v[2:3], v[8:9], v[6:7]
	v_cvt_f32_f16_e32 v7, v134
	v_pk_fma_f32 v[4:5], v[10:11], v[14:15], v[12:13]
	v_cvt_f32_f16_e32 v6, v173
	v_cvt_f32_f16_sdwa v9, v134 dst_sel:DWORD dst_unused:UNUSED_PAD src0_sel:WORD_1
	v_cvt_f32_f16_sdwa v8, v173 dst_sel:DWORD dst_unused:UNUSED_PAD src0_sel:WORD_1
	v_cvt_f32_i32_e32 v11, v174
	v_cvt_f32_i32_e32 v10, v161
	v_cvt_f32_f16_e32 v13, v16
	v_cvt_f32_f16_e32 v12, v137
	v_cvt_f32_f16_sdwa v15, v16 dst_sel:DWORD dst_unused:UNUSED_PAD src0_sel:WORD_1
	v_cvt_f32_f16_sdwa v14, v137 dst_sel:DWORD dst_unused:UNUSED_PAD src0_sel:WORD_1
	v_cvt_f32_i32_e32 v17, v138
	v_cvt_f32_i32_e32 v16, v136
	v_pk_add_f32 v[2:3], v[122:123], v[2:3]
	v_pk_add_f32 v[2:3], v[2:3], v[4:5]
	v_pk_fma_f32 v[4:5], v[6:7], v[10:11], v[8:9]
	v_pk_add_f32 v[2:3], v[2:3], v[4:5]
	v_pk_fma_f32 v[4:5], v[12:13], v[16:17], v[14:15]
	v_pk_add_f32 v[122:123], v[2:3], v[4:5]
	s_barrier
.LBB224_5:                              ;   in Loop: Header=BB224_6 Depth=1
	v_add_co_u32_e32 v56, vcc, 0x120, v56
	v_addc_co_u32_e32 v57, vcc, 0, v57, vcc
	v_add_co_u32_e32 v58, vcc, 0xc0, v58
	v_addc_co_u32_e32 v1, vcc, 0, v1, vcc
	v_add_co_u32_e32 v60, vcc, 0xc0, v60
	v_addc_co_u32_e32 v23, vcc, 0, v23, vcc
	v_add_co_u32_e32 v62, vcc, 0xc0, v62
	v_addc_co_u32_e32 v25, vcc, 0, v25, vcc
	v_add_co_u32_e32 v64, vcc, 0xc0, v64
	v_addc_co_u32_e32 v27, vcc, 0, v27, vcc
	v_add_co_u32_e32 v66, vcc, 0xc0, v66
	v_addc_co_u32_e32 v29, vcc, 0, v29, vcc
	v_add_co_u32_e32 v68, vcc, 0xc0, v68
	v_addc_co_u32_e32 v31, vcc, 0, v31, vcc
	v_add_co_u32_e32 v70, vcc, 0xc0, v70
	v_addc_co_u32_e32 v33, vcc, 0, v33, vcc
	v_add_co_u32_e32 v72, vcc, 0xc0, v72
	v_addc_co_u32_e32 v35, vcc, 0, v35, vcc
	v_add_co_u32_e32 v74, vcc, 0xc0, v74
	v_addc_co_u32_e32 v37, vcc, 0, v37, vcc
	v_add_co_u32_e32 v76, vcc, 0xc0, v76
	v_addc_co_u32_e32 v39, vcc, 0, v39, vcc
	v_add_co_u32_e32 v78, vcc, 0xc0, v78
	v_addc_co_u32_e32 v41, vcc, 0, v41, vcc
	v_add_co_u32_e32 v80, vcc, 0xc0, v80
	v_addc_co_u32_e32 v43, vcc, 0, v43, vcc
	v_add_co_u32_e32 v82, vcc, 0xc0, v82
	v_addc_co_u32_e32 v45, vcc, 0, v45, vcc
	v_add_co_u32_e32 v84, vcc, 0xc0, v84
	v_addc_co_u32_e32 v47, vcc, 0, v47, vcc
	v_add_co_u32_e32 v86, vcc, 0xc0, v86
	v_addc_co_u32_e32 v49, vcc, 0, v49, vcc
	v_add_co_u32_e32 v88, vcc, 0xc0, v88
	v_addc_co_u32_e32 v51, vcc, 0, v51, vcc
	v_add_co_u32_e32 v90, vcc, 0xc0, v90
	v_addc_co_u32_e32 v53, vcc, 0, v53, vcc
	v_add_co_u32_e32 v92, vcc, 0xc0, v92
	v_addc_co_u32_e32 v59, vcc, 0, v59, vcc
	v_add_co_u32_e32 v94, vcc, 0xc0, v94
	v_addc_co_u32_e32 v61, vcc, 0, v61, vcc
	v_add_co_u32_e32 v96, vcc, 0xc0, v96
	v_addc_co_u32_e32 v63, vcc, 0, v63, vcc
	v_add_co_u32_e32 v98, vcc, 0xc0, v98
	v_addc_co_u32_e32 v65, vcc, 0, v65, vcc
	v_add_co_u32_e32 v100, vcc, 0xc0, v100
	v_addc_co_u32_e32 v67, vcc, 0, v67, vcc
	v_add_co_u32_e32 v102, vcc, 0xc0, v102
	v_addc_co_u32_e32 v69, vcc, 0, v69, vcc
	v_add_co_u32_e32 v104, vcc, 0xc0, v104
	v_addc_co_u32_e32 v71, vcc, 0, v71, vcc
	v_add_co_u32_e32 v106, vcc, 0xc0, v106
	v_addc_co_u32_e32 v73, vcc, 0, v73, vcc
	v_add_co_u32_e32 v108, vcc, 0xc0, v108
	v_addc_co_u32_e32 v75, vcc, 0, v75, vcc
	v_add_co_u32_e32 v110, vcc, 0xc0, v110
	v_addc_co_u32_e32 v77, vcc, 0, v77, vcc
	v_add_co_u32_e32 v112, vcc, 0xc0, v112
	v_addc_co_u32_e32 v79, vcc, 0, v79, vcc
	v_add_co_u32_e32 v114, vcc, 0xc0, v114
	v_addc_co_u32_e32 v81, vcc, 0, v81, vcc
	v_add_co_u32_e32 v116, vcc, 0xc0, v116
	v_addc_co_u32_e32 v83, vcc, 0, v83, vcc
	v_add_co_u32_e32 v118, vcc, 0xc0, v118
	v_addc_co_u32_e32 v85, vcc, 0, v85, vcc
	v_add_co_u32_e32 v120, vcc, 0xc0, v120
	v_addc_co_u32_e32 v87, vcc, 0, v87, vcc
	v_add_co_u32_e32 v124, vcc, 0xc0, v124
	v_addc_co_u32_e32 v89, vcc, 0, v89, vcc
	v_add_co_u32_e32 v128, vcc, 0xc0, v128
	v_addc_co_u32_e32 v91, vcc, 0, v91, vcc
	v_add_co_u32_e32 v130, vcc, 0xc0, v130
	v_addc_co_u32_e32 v93, vcc, 0, v93, vcc
	s_add_i32 s10, s10, 8
	s_addk_i32 s20, 0x100
	v_add_co_u32_e32 v132, vcc, 0xc0, v132
	s_cmp_ge_i32 s10, s18
	v_addc_co_u32_e32 v95, vcc, 0, v95, vcc
	s_cbranch_scc1 .LBB224_19
.LBB224_6:                              ; =>This Inner Loop Header: Depth=1
	v_mov_b32_e32 v2, s19
	v_add_co_u32_e32 v4, vcc, s8, v58
	v_addc_co_u32_e32 v5, vcc, v1, v2, vcc
	global_load_dword v3, v[4:5], off
	v_add_co_u32_e32 v4, vcc, s8, v60
	v_addc_co_u32_e32 v5, vcc, v23, v2, vcc
	global_load_dword v8, v[4:5], off offset:4
	v_add_co_u32_e32 v4, vcc, s8, v62
	v_addc_co_u32_e32 v5, vcc, v25, v2, vcc
	v_add_co_u32_e32 v6, vcc, s8, v64
	v_addc_co_u32_e32 v7, vcc, v27, v2, vcc
	global_load_dword v9, v[6:7], off
	global_load_dword v10, v[4:5], off
	v_add_co_u32_e32 v4, vcc, s8, v68
	v_addc_co_u32_e32 v5, vcc, v31, v2, vcc
	global_load_dword v11, v[4:5], off
	v_add_co_u32_e32 v4, vcc, s8, v66
	v_addc_co_u32_e32 v5, vcc, v29, v2, vcc
	;; [unrolled: 3-line block ×3, first 2 shown]
	v_add_co_u32_e32 v6, vcc, s8, v72
	v_addc_co_u32_e32 v7, vcc, v35, v2, vcc
	global_load_dword v13, v[4:5], off
	s_nop 0
	global_load_dword v6, v[6:7], off
	s_add_i32 s4, s20, 0xffffff80
	s_cmp_lt_i32 s4, s9
	s_waitcnt vmcnt(7)
	v_lshrrev_b32_e32 v5, 4, v3
	v_and_b32_e32 v3, 0xf0f0f0f, v3
	v_and_b32_e32 v5, 0xf0f0f0f, v5
	s_waitcnt vmcnt(6)
	v_ashrrev_i32_e32 v4, v101, v8
	v_lshlrev_b32_e32 v14, 11, v4
	v_lshrrev_b32_e32 v15, 12, v4
	v_lshrrev_b32_e32 v16, 5, v4
	v_lshlrev_b32_e32 v17, 2, v4
	v_lshlrev_b32_e32 v18, 18, v4
	;; [unrolled: 1-line block ×3, first 2 shown]
	v_and_b32_e32 v15, 16, v15
	s_waitcnt vmcnt(5)
	v_ashrrev_i32_e32 v7, v101, v9
	s_waitcnt vmcnt(4)
	v_lshrrev_b32_e32 v8, 4, v10
	v_and_b32_e32 v9, 0xf0f0f0f, v10
	v_lshlrev_b32_e32 v10, 4, v4
	v_lshlrev_b32_e32 v4, 25, v4
	v_and_b32_e32 v10, 16, v10
	v_and_b32_e32 v16, 0x1000, v16
	;; [unrolled: 1-line block ×7, first 2 shown]
	v_or3_b32 v3, v10, v3, v14
	v_or3_b32 v5, v15, v5, v16
	v_or3_b32 v5, v5, v17, v19
	v_or3_b32 v3, v3, v18, v4
	v_add_co_u32_e32 v4, vcc, s8, v76
	ds_write2_b32 v22, v3, v5 offset1:1
	v_addc_co_u32_e32 v5, vcc, v39, v2, vcc
	global_load_dword v3, v[4:5], off
	v_add_co_u32_e32 v4, vcc, s8, v74
	v_lshlrev_b32_e32 v20, 4, v7
	v_lshlrev_b32_e32 v21, 11, v7
	v_lshrrev_b32_e32 v134, 12, v7
	v_lshrrev_b32_e32 v135, 5, v7
	v_addc_co_u32_e32 v5, vcc, v37, v2, vcc
	v_and_b32_e32 v8, 0xf0f0f0f, v8
	v_lshlrev_b32_e32 v136, 2, v7
	v_lshlrev_b32_e32 v137, 18, v7
	;; [unrolled: 1-line block ×3, first 2 shown]
	v_and_b32_e32 v134, 16, v134
	v_and_b32_e32 v20, 16, v20
	;; [unrolled: 1-line block ×4, first 2 shown]
	global_load_dword v10, v[4:5], off
	v_lshlrev_b32_e32 v4, 25, v7
	v_and_b32_e32 v137, 0x100000, v137
	v_and_b32_e32 v136, 0x100000, v136
	v_or3_b32 v9, v20, v9, v21
	v_or3_b32 v8, v134, v8, v135
	v_and_b32_e32 v4, 0x10000000, v4
	v_and_b32_e32 v5, 0x10000000, v138
	v_or3_b32 v5, v8, v136, v5
	v_or3_b32 v4, v9, v137, v4
	s_waitcnt vmcnt(5)
	v_ashrrev_i32_e32 v7, v101, v11
	ds_write2_b32 v24, v4, v5 offset1:1
	v_lshlrev_b32_e32 v4, 4, v7
	v_lshlrev_b32_e32 v5, 11, v7
	s_waitcnt vmcnt(4)
	v_lshrrev_b32_e32 v8, 4, v12
	v_lshrrev_b32_e32 v9, 12, v7
	;; [unrolled: 1-line block ×3, first 2 shown]
	v_and_b32_e32 v12, 0xf0f0f0f, v12
	v_and_b32_e32 v4, 16, v4
	v_and_b32_e32 v5, 0x1000, v5
	v_and_b32_e32 v8, 0xf0f0f0f, v8
	v_and_b32_e32 v9, 16, v9
	v_and_b32_e32 v11, 0x1000, v11
	v_or3_b32 v12, v4, v12, v5
	v_lshlrev_b32_e32 v4, 2, v7
	v_or3_b32 v8, v9, v8, v11
	v_lshlrev_b32_e32 v5, 18, v7
	v_and_b32_e32 v11, 0x100000, v4
	v_add_co_u32_e32 v4, vcc, s8, v80
	v_and_b32_e32 v9, 0x100000, v5
	v_addc_co_u32_e32 v5, vcc, v43, v2, vcc
	global_load_dword v15, v[4:5], off
	v_add_co_u32_e32 v4, vcc, s8, v78
	v_addc_co_u32_e32 v5, vcc, v41, v2, vcc
	v_lshlrev_b32_e32 v14, 9, v7
	global_load_dword v16, v[4:5], off
	v_lshlrev_b32_e32 v4, 25, v7
	v_and_b32_e32 v4, 0x10000000, v4
	v_and_b32_e32 v5, 0x10000000, v14
	v_or3_b32 v5, v8, v11, v5
	v_or3_b32 v4, v12, v9, v4
	s_waitcnt vmcnt(4)
	v_ashrrev_i32_e32 v6, v101, v6
	ds_write2_b32 v26, v4, v5 offset1:1
	v_lshlrev_b32_e32 v4, 4, v6
	v_lshlrev_b32_e32 v5, 11, v6
	v_lshrrev_b32_e32 v7, 4, v13
	v_lshrrev_b32_e32 v8, 12, v6
	;; [unrolled: 1-line block ×3, first 2 shown]
	v_and_b32_e32 v11, 0xf0f0f0f, v13
	v_and_b32_e32 v4, 16, v4
	;; [unrolled: 1-line block ×6, first 2 shown]
	v_or3_b32 v11, v4, v11, v5
	v_lshlrev_b32_e32 v4, 2, v6
	v_or3_b32 v7, v8, v7, v9
	v_lshlrev_b32_e32 v5, 18, v6
	v_and_b32_e32 v9, 0x100000, v4
	v_add_co_u32_e32 v4, vcc, s8, v84
	v_and_b32_e32 v8, 0x100000, v5
	v_addc_co_u32_e32 v5, vcc, v47, v2, vcc
	global_load_dword v13, v[4:5], off
	v_add_co_u32_e32 v4, vcc, s8, v82
	v_addc_co_u32_e32 v5, vcc, v45, v2, vcc
	global_load_dword v14, v[4:5], off
	v_lshlrev_b32_e32 v12, 9, v6
	v_lshlrev_b32_e32 v4, 25, v6
	v_and_b32_e32 v4, 0x10000000, v4
	v_and_b32_e32 v5, 0x10000000, v12
	v_or3_b32 v5, v7, v9, v5
	v_or3_b32 v4, v11, v8, v4
	s_waitcnt vmcnt(5)
	v_ashrrev_i32_e32 v3, v101, v3
	ds_write2_b32 v28, v4, v5 offset1:1
	v_lshlrev_b32_e32 v4, 4, v3
	v_lshlrev_b32_e32 v5, 11, v3
	s_waitcnt vmcnt(4)
	v_lshrrev_b32_e32 v6, 4, v10
	v_lshrrev_b32_e32 v7, 12, v3
	;; [unrolled: 1-line block ×3, first 2 shown]
	v_and_b32_e32 v9, 0xf0f0f0f, v10
	v_and_b32_e32 v4, 16, v4
	;; [unrolled: 1-line block ×6, first 2 shown]
	v_or3_b32 v9, v4, v9, v5
	v_lshlrev_b32_e32 v4, 2, v3
	v_or3_b32 v6, v7, v6, v8
	v_lshlrev_b32_e32 v5, 18, v3
	v_and_b32_e32 v8, 0x100000, v4
	v_add_co_u32_e32 v4, vcc, s8, v88
	v_and_b32_e32 v7, 0x100000, v5
	v_addc_co_u32_e32 v5, vcc, v51, v2, vcc
	global_load_dword v11, v[4:5], off
	v_add_co_u32_e32 v4, vcc, s8, v86
	v_lshlrev_b32_e32 v10, 9, v3
	v_addc_co_u32_e32 v5, vcc, v49, v2, vcc
	v_lshlrev_b32_e32 v3, 25, v3
	global_load_dword v12, v[4:5], off
	v_and_b32_e32 v3, 0x10000000, v3
	v_and_b32_e32 v4, 0x10000000, v10
	v_or3_b32 v4, v6, v8, v4
	v_or3_b32 v3, v9, v7, v3
	ds_write2_b32 v30, v3, v4 offset1:1
	s_waitcnt vmcnt(5)
	v_ashrrev_i32_e32 v3, v101, v15
	v_lshlrev_b32_e32 v4, 4, v3
	v_lshlrev_b32_e32 v5, 11, v3
	s_waitcnt vmcnt(4)
	v_lshrrev_b32_e32 v6, 4, v16
	v_lshrrev_b32_e32 v7, 12, v3
	;; [unrolled: 1-line block ×3, first 2 shown]
	v_and_b32_e32 v9, 0xf0f0f0f, v16
	v_and_b32_e32 v4, 16, v4
	;; [unrolled: 1-line block ×6, first 2 shown]
	v_or3_b32 v9, v4, v9, v5
	v_lshlrev_b32_e32 v4, 2, v3
	v_or3_b32 v6, v7, v6, v8
	v_lshlrev_b32_e32 v5, 18, v3
	v_and_b32_e32 v8, 0x100000, v4
	v_add_co_u32_e32 v4, vcc, s8, v92
	v_and_b32_e32 v7, 0x100000, v5
	v_addc_co_u32_e32 v5, vcc, v59, v2, vcc
	global_load_dword v15, v[4:5], off
	v_add_co_u32_e32 v4, vcc, s8, v90
	v_lshlrev_b32_e32 v10, 9, v3
	v_addc_co_u32_e32 v5, vcc, v53, v2, vcc
	v_lshlrev_b32_e32 v3, 25, v3
	global_load_dword v16, v[4:5], off
	v_and_b32_e32 v3, 0x10000000, v3
	v_and_b32_e32 v4, 0x10000000, v10
	v_or3_b32 v4, v6, v8, v4
	v_or3_b32 v3, v9, v7, v3
	ds_write2_b32 v32, v3, v4 offset1:1
	s_waitcnt vmcnt(5)
	v_ashrrev_i32_e32 v3, v101, v13
	v_lshlrev_b32_e32 v4, 4, v3
	v_lshlrev_b32_e32 v5, 11, v3
	s_waitcnt vmcnt(4)
	v_lshrrev_b32_e32 v6, 4, v14
	v_lshrrev_b32_e32 v7, 12, v3
	;; [unrolled: 1-line block ×3, first 2 shown]
	v_and_b32_e32 v9, 0xf0f0f0f, v14
	v_and_b32_e32 v4, 16, v4
	;; [unrolled: 1-line block ×6, first 2 shown]
	v_or3_b32 v9, v4, v9, v5
	v_lshlrev_b32_e32 v4, 2, v3
	v_or3_b32 v6, v7, v6, v8
	v_lshlrev_b32_e32 v5, 18, v3
	v_and_b32_e32 v8, 0x100000, v4
	v_add_co_u32_e32 v4, vcc, s8, v96
	v_and_b32_e32 v7, 0x100000, v5
	v_addc_co_u32_e32 v5, vcc, v63, v2, vcc
	global_load_dword v13, v[4:5], off
	v_add_co_u32_e32 v4, vcc, s8, v94
	v_addc_co_u32_e32 v5, vcc, v61, v2, vcc
	global_load_dword v14, v[4:5], off
	v_lshlrev_b32_e32 v10, 9, v3
	v_lshlrev_b32_e32 v3, 25, v3
	v_and_b32_e32 v3, 0x10000000, v3
	v_and_b32_e32 v4, 0x10000000, v10
	v_or3_b32 v4, v6, v8, v4
	v_or3_b32 v3, v9, v7, v3
	ds_write2_b32 v34, v3, v4 offset1:1
	s_waitcnt vmcnt(5)
	v_ashrrev_i32_e32 v3, v101, v11
	v_lshlrev_b32_e32 v4, 4, v3
	v_lshlrev_b32_e32 v5, 11, v3
	v_lshrrev_b32_e32 v7, 12, v3
	s_waitcnt vmcnt(4)
	v_lshrrev_b32_e32 v6, 4, v12
	v_lshrrev_b32_e32 v8, 5, v3
	v_and_b32_e32 v9, 0xf0f0f0f, v12
	v_and_b32_e32 v4, 16, v4
	;; [unrolled: 1-line block ×6, first 2 shown]
	v_or3_b32 v9, v4, v9, v5
	v_lshlrev_b32_e32 v4, 2, v3
	v_or3_b32 v6, v7, v6, v8
	v_lshlrev_b32_e32 v5, 18, v3
	v_and_b32_e32 v8, 0x100000, v4
	v_add_co_u32_e32 v4, vcc, s8, v100
	v_and_b32_e32 v7, 0x100000, v5
	v_addc_co_u32_e32 v5, vcc, v67, v2, vcc
	global_load_dword v11, v[4:5], off
	v_add_co_u32_e32 v4, vcc, s8, v98
	v_lshlrev_b32_e32 v10, 9, v3
	v_addc_co_u32_e32 v5, vcc, v65, v2, vcc
	v_lshlrev_b32_e32 v3, 25, v3
	global_load_dword v12, v[4:5], off
	v_and_b32_e32 v3, 0x10000000, v3
	v_and_b32_e32 v4, 0x10000000, v10
	v_or3_b32 v4, v6, v8, v4
	v_or3_b32 v3, v9, v7, v3
	ds_write2_b32 v36, v3, v4 offset1:1
	s_waitcnt vmcnt(5)
	v_ashrrev_i32_e32 v3, v101, v15
	v_lshlrev_b32_e32 v4, 4, v3
	v_lshlrev_b32_e32 v5, 11, v3
	v_and_b32_e32 v4, 16, v4
	s_waitcnt vmcnt(4)
	v_and_b32_e32 v9, 0xf0f0f0f, v16
	v_and_b32_e32 v5, 0x1000, v5
	v_lshrrev_b32_e32 v6, 4, v16
	v_lshrrev_b32_e32 v7, 12, v3
	;; [unrolled: 1-line block ×3, first 2 shown]
	v_or3_b32 v9, v4, v9, v5
	v_add_co_u32_e32 v4, vcc, s8, v104
	v_and_b32_e32 v6, 0xf0f0f0f, v6
	v_and_b32_e32 v7, 16, v7
	;; [unrolled: 1-line block ×3, first 2 shown]
	v_addc_co_u32_e32 v5, vcc, v71, v2, vcc
	v_or3_b32 v6, v7, v6, v8
	global_load_dword v7, v[4:5], off
	v_add_co_u32_e32 v4, vcc, s8, v102
	v_addc_co_u32_e32 v5, vcc, v69, v2, vcc
	global_load_dword v8, v[4:5], off
	v_lshlrev_b32_e32 v4, 2, v3
	v_lshlrev_b32_e32 v5, 18, v3
	;; [unrolled: 1-line block ×4, first 2 shown]
	v_and_b32_e32 v5, 0x100000, v5
	v_and_b32_e32 v4, 0x100000, v4
	;; [unrolled: 1-line block ×4, first 2 shown]
	v_or3_b32 v4, v6, v4, v10
	v_or3_b32 v3, v9, v5, v3
	ds_write2_b32 v38, v3, v4 offset1:1
	s_waitcnt vmcnt(5)
	v_ashrrev_i32_e32 v3, v101, v13
	v_lshrrev_b32_e32 v5, 12, v3
	s_waitcnt vmcnt(4)
	v_lshrrev_b32_e32 v4, 4, v14
	v_and_b32_e32 v13, 0xf0f0f0f, v4
	v_add_co_u32_e32 v4, vcc, s8, v108
	v_and_b32_e32 v15, 16, v5
	v_addc_co_u32_e32 v5, vcc, v75, v2, vcc
	global_load_dword v16, v[4:5], off
	v_add_co_u32_e32 v4, vcc, s8, v106
	v_addc_co_u32_e32 v5, vcc, v73, v2, vcc
	global_load_dword v17, v[4:5], off
	v_lshlrev_b32_e32 v6, 4, v3
	v_lshlrev_b32_e32 v9, 11, v3
	v_lshrrev_b32_e32 v10, 5, v3
	v_and_b32_e32 v14, 0xf0f0f0f, v14
	v_and_b32_e32 v4, 16, v6
	;; [unrolled: 1-line block ×4, first 2 shown]
	v_or3_b32 v4, v4, v14, v6
	v_lshlrev_b32_e32 v6, 2, v3
	v_lshlrev_b32_e32 v9, 18, v3
	;; [unrolled: 1-line block ×4, first 2 shown]
	v_or3_b32 v5, v15, v13, v5
	v_and_b32_e32 v9, 0x100000, v9
	v_and_b32_e32 v6, 0x100000, v6
	;; [unrolled: 1-line block ×4, first 2 shown]
	v_or3_b32 v5, v5, v6, v10
	v_or3_b32 v3, v4, v9, v3
	ds_write2_b32 v40, v3, v5 offset1:1
	s_waitcnt vmcnt(5)
	v_ashrrev_i32_e32 v3, v101, v11
	v_lshlrev_b32_e32 v4, 4, v3
	v_lshlrev_b32_e32 v5, 11, v3
	v_lshrrev_b32_e32 v9, 12, v3
	s_waitcnt vmcnt(4)
	v_lshrrev_b32_e32 v6, 4, v12
	v_lshrrev_b32_e32 v10, 5, v3
	v_and_b32_e32 v11, 0xf0f0f0f, v12
	v_and_b32_e32 v4, 16, v4
	v_and_b32_e32 v5, 0x1000, v5
	v_and_b32_e32 v6, 0xf0f0f0f, v6
	v_and_b32_e32 v9, 16, v9
	v_and_b32_e32 v10, 0x1000, v10
	v_or3_b32 v11, v4, v11, v5
	v_lshlrev_b32_e32 v4, 2, v3
	v_or3_b32 v6, v9, v6, v10
	v_lshlrev_b32_e32 v5, 18, v3
	v_and_b32_e32 v10, 0x100000, v4
	v_add_co_u32_e32 v4, vcc, s8, v112
	v_and_b32_e32 v9, 0x100000, v5
	v_lshlrev_b32_e32 v12, 9, v3
	v_lshlrev_b32_e32 v3, 25, v3
	v_addc_co_u32_e32 v5, vcc, v79, v2, vcc
	v_and_b32_e32 v3, 0x10000000, v3
	global_load_dword v13, v[4:5], off
	v_and_b32_e32 v4, 0x10000000, v12
	v_or3_b32 v4, v6, v10, v4
	v_or3_b32 v3, v11, v9, v3
	ds_write2_b32 v42, v3, v4 offset1:1
	s_waitcnt vmcnt(4)
	v_ashrrev_i32_e32 v3, v101, v7
	v_lshlrev_b32_e32 v4, 4, v3
	v_lshlrev_b32_e32 v5, 11, v3
	s_waitcnt vmcnt(3)
	v_lshrrev_b32_e32 v6, 4, v8
	v_and_b32_e32 v8, 0xf0f0f0f, v8
	v_and_b32_e32 v4, 16, v4
	;; [unrolled: 1-line block ×3, first 2 shown]
	v_lshrrev_b32_e32 v7, 12, v3
	v_lshrrev_b32_e32 v9, 5, v3
	v_or3_b32 v8, v4, v8, v5
	v_add_co_u32_e32 v4, vcc, s8, v110
	v_and_b32_e32 v6, 0xf0f0f0f, v6
	v_and_b32_e32 v7, 16, v7
	;; [unrolled: 1-line block ×3, first 2 shown]
	v_addc_co_u32_e32 v5, vcc, v77, v2, vcc
	v_or3_b32 v6, v7, v6, v9
	global_load_dword v7, v[4:5], off
	v_lshlrev_b32_e32 v4, 2, v3
	v_lshlrev_b32_e32 v5, 18, v3
	;; [unrolled: 1-line block ×4, first 2 shown]
	v_and_b32_e32 v5, 0x100000, v5
	v_and_b32_e32 v4, 0x100000, v4
	;; [unrolled: 1-line block ×4, first 2 shown]
	v_or3_b32 v4, v6, v4, v9
	v_or3_b32 v3, v8, v5, v3
	ds_write2_b32 v44, v3, v4 offset1:1
	v_add_co_u32_e32 v4, vcc, s8, v116
	v_addc_co_u32_e32 v5, vcc, v83, v2, vcc
	global_load_dword v10, v[4:5], off
	v_add_co_u32_e32 v4, vcc, s8, v114
	s_waitcnt vmcnt(4)
	v_ashrrev_i32_e32 v3, v101, v16
	v_addc_co_u32_e32 v5, vcc, v81, v2, vcc
	v_lshlrev_b32_e32 v6, 4, v3
	v_lshlrev_b32_e32 v8, 11, v3
	s_waitcnt vmcnt(3)
	v_lshrrev_b32_e32 v9, 4, v17
	global_load_dword v11, v[4:5], off
	v_lshrrev_b32_e32 v4, 12, v3
	v_lshrrev_b32_e32 v5, 5, v3
	v_and_b32_e32 v9, 0xf0f0f0f, v9
	v_and_b32_e32 v12, 0xf0f0f0f, v17
	;; [unrolled: 1-line block ×6, first 2 shown]
	v_or3_b32 v6, v6, v12, v8
	v_or3_b32 v8, v4, v9, v5
	v_lshlrev_b32_e32 v4, 2, v3
	v_lshlrev_b32_e32 v5, 18, v3
	v_and_b32_e32 v12, 0x100000, v4
	v_add_co_u32_e32 v4, vcc, s8, v120
	v_and_b32_e32 v9, 0x100000, v5
	v_addc_co_u32_e32 v5, vcc, v87, v2, vcc
	global_load_dword v15, v[4:5], off
	v_add_co_u32_e32 v4, vcc, s8, v118
	v_lshlrev_b32_e32 v14, 9, v3
	v_addc_co_u32_e32 v5, vcc, v85, v2, vcc
	v_lshlrev_b32_e32 v3, 25, v3
	global_load_dword v16, v[4:5], off
	v_and_b32_e32 v3, 0x10000000, v3
	v_and_b32_e32 v4, 0x10000000, v14
	v_or3_b32 v4, v8, v12, v4
	v_or3_b32 v3, v6, v9, v3
	ds_write2_b32 v46, v3, v4 offset1:1
	v_add_co_u32_e32 v4, vcc, s8, v124
	v_addc_co_u32_e32 v5, vcc, v89, v2, vcc
	global_load_dword v6, v[4:5], off
	v_add_co_u32_e32 v4, vcc, s8, v128
	v_addc_co_u32_e32 v5, vcc, v91, v2, vcc
	global_load_dword v8, v[4:5], off
	;; [unrolled: 3-line block ×4, first 2 shown]
	s_waitcnt vmcnt(9)
	v_ashrrev_i32_e32 v3, v101, v13
	v_lshlrev_b32_e32 v4, 4, v3
	v_lshlrev_b32_e32 v5, 11, v3
	s_waitcnt vmcnt(8)
	v_lshrrev_b32_e32 v12, 4, v7
	v_lshrrev_b32_e32 v13, 12, v3
	;; [unrolled: 1-line block ×3, first 2 shown]
	v_and_b32_e32 v12, 0xf0f0f0f, v12
	v_and_b32_e32 v7, 0xf0f0f0f, v7
	;; [unrolled: 1-line block ×6, first 2 shown]
	v_or3_b32 v4, v4, v7, v5
	v_or3_b32 v5, v13, v12, v14
	v_lshlrev_b32_e32 v7, 2, v3
	v_lshlrev_b32_e32 v12, 18, v3
	;; [unrolled: 1-line block ×4, first 2 shown]
	v_and_b32_e32 v12, 0x100000, v12
	v_and_b32_e32 v7, 0x100000, v7
	;; [unrolled: 1-line block ×4, first 2 shown]
	v_or3_b32 v5, v5, v7, v13
	v_or3_b32 v3, v4, v12, v3
	ds_write2_b32 v48, v3, v5 offset1:1
	s_waitcnt vmcnt(7)
	v_ashrrev_i32_e32 v3, v101, v10
	v_lshlrev_b32_e32 v4, 4, v3
	v_lshlrev_b32_e32 v5, 11, v3
	s_waitcnt vmcnt(6)
	v_lshrrev_b32_e32 v7, 4, v11
	v_lshrrev_b32_e32 v10, 12, v3
	;; [unrolled: 1-line block ×3, first 2 shown]
	v_and_b32_e32 v7, 0xf0f0f0f, v7
	v_and_b32_e32 v11, 0xf0f0f0f, v11
	v_and_b32_e32 v10, 16, v10
	v_and_b32_e32 v4, 16, v4
	v_and_b32_e32 v12, 0x1000, v12
	v_and_b32_e32 v5, 0x1000, v5
	v_or3_b32 v4, v4, v11, v5
	v_or3_b32 v5, v10, v7, v12
	v_lshlrev_b32_e32 v7, 2, v3
	v_lshlrev_b32_e32 v10, 18, v3
	;; [unrolled: 1-line block ×4, first 2 shown]
	v_and_b32_e32 v10, 0x100000, v10
	v_and_b32_e32 v7, 0x100000, v7
	;; [unrolled: 1-line block ×4, first 2 shown]
	v_or3_b32 v5, v5, v7, v11
	v_or3_b32 v3, v4, v10, v3
	ds_write2_b32 v50, v3, v5 offset1:1
	s_waitcnt vmcnt(5)
	v_ashrrev_i32_e32 v3, v101, v15
	v_lshlrev_b32_e32 v4, 4, v3
	v_lshlrev_b32_e32 v5, 11, v3
	v_lshrrev_b32_e32 v10, 12, v3
	s_waitcnt vmcnt(4)
	v_lshrrev_b32_e32 v7, 4, v16
	v_lshrrev_b32_e32 v11, 5, v3
	v_and_b32_e32 v7, 0xf0f0f0f, v7
	v_and_b32_e32 v12, 0xf0f0f0f, v16
	;; [unrolled: 1-line block ×6, first 2 shown]
	v_or3_b32 v4, v4, v12, v5
	v_or3_b32 v5, v10, v7, v11
	v_lshlrev_b32_e32 v7, 2, v3
	v_lshlrev_b32_e32 v10, 18, v3
	;; [unrolled: 1-line block ×4, first 2 shown]
	v_and_b32_e32 v10, 0x100000, v10
	v_and_b32_e32 v7, 0x100000, v7
	;; [unrolled: 1-line block ×4, first 2 shown]
	v_or3_b32 v5, v5, v7, v11
	v_or3_b32 v3, v4, v10, v3
	ds_write2_b32 v52, v3, v5 offset1:1
	s_waitcnt vmcnt(3)
	ds_write_b32 v148, v6
	s_waitcnt vmcnt(2)
	ds_write_b32 v149, v8
	;; [unrolled: 2-line block ×4, first 2 shown]
	s_cbranch_scc0 .LBB224_5
; %bb.7:                                ;   in Loop: Header=BB224_6 Depth=1
	v_add_u32_e32 v2, s10, v103
	v_cmp_gt_i32_e32 vcc, s12, v2
	s_and_b64 s[22:23], s[2:3], vcc
	s_and_saveexec_b64 s[4:5], s[22:23]
	s_cbranch_execz .LBB224_9
; %bb.8:                                ;   in Loop: Header=BB224_6 Depth=1
	v_add_u32_e32 v2, s10, v133
	v_mad_i64_i32 v[2:3], s[22:23], v2, 36, v[54:55]
	global_load_dword v2, v[2:3], off offset:4
	s_waitcnt vmcnt(0)
	ds_write_b32 v105, v2
.LBB224_9:                              ;   in Loop: Header=BB224_6 Depth=1
	s_or_b64 exec, exec, s[4:5]
	s_and_saveexec_b64 s[4:5], s[0:1]
	s_cbranch_execz .LBB224_12
; %bb.10:                               ;   in Loop: Header=BB224_6 Depth=1
	v_add_u32_e32 v2, s10, v99
	v_cmp_gt_i32_e32 vcc, s12, v2
	s_and_b64 s[22:23], s[2:3], vcc
	s_and_b64 exec, exec, s[22:23]
	s_cbranch_execz .LBB224_12
; %bb.11:                               ;   in Loop: Header=BB224_6 Depth=1
	v_add_u32_e32 v2, s10, v129
	v_mad_i64_i32 v[2:3], s[22:23], v2, 36, s[6:7]
	global_load_dword v2, v[2:3], off
	s_waitcnt vmcnt(0)
	ds_write_b32 v107, v2
.LBB224_12:                             ;   in Loop: Header=BB224_6 Depth=1
	s_or_b64 exec, exec, s[4:5]
	s_waitcnt lgkmcnt(0)
	s_barrier
	ds_read_b128 v[14:17], v109
	ds_read_b128 v[18:21], v109 offset:16
	ds_read_b128 v[2:5], v111
	ds_read2_b32 v[136:137], v113 offset1:1
	ds_read_b128 v[10:13], v109 offset:32
	ds_read_b128 v[6:9], v109 offset:48
	ds_read2_b32 v[134:135], v115 offset1:1
	ds_read2_b32 v[138:139], v113 offset0:2 offset1:3
	v_mov_b32_e32 v166, 0
	s_waitcnt lgkmcnt(4)
	v_dot4c_i32_i8_e32 v166, v136, v14
	v_dot4c_i32_i8_e32 v166, v137, v18
	s_waitcnt lgkmcnt(1)
	v_pk_mul_f16 v172, v2, v134
	s_waitcnt lgkmcnt(0)
	v_dot4c_i32_i8_e32 v166, v138, v15
	v_add_u32_e32 v134, 0x2080, v113
	ds_read2_b32 v[136:137], v113 offset0:4 offset1:5
	ds_read2_b32 v[140:141], v113 offset0:6 offset1:7
	;; [unrolled: 1-line block ×3, first 2 shown]
	v_dot4c_i32_i8_e32 v166, v139, v19
	ds_read2_b32 v[152:153], v113 offset0:26 offset1:27
	ds_read2_b32 v[154:155], v113 offset0:28 offset1:29
	;; [unrolled: 1-line block ×3, first 2 shown]
	ds_read2_b32 v[138:139], v134 offset1:1
	s_waitcnt lgkmcnt(6)
	v_dot4c_i32_i8_e32 v166, v136, v16
	v_dot4c_i32_i8_e32 v166, v137, v20
	ds_read2_b32 v[136:137], v121 offset0:2 offset1:3
	ds_read2_b32 v[158:159], v117 offset1:1
	v_mov_b32_e32 v134, 0
	s_waitcnt lgkmcnt(2)
	v_dot4c_i32_i8_e32 v134, v138, v14
	v_add_u32_e32 v138, 0x2088, v113
	v_dot4c_i32_i8_e32 v134, v139, v18
	ds_read2_b32 v[138:139], v138 offset1:1
	v_dot4c_i32_i8_e32 v166, v140, v17
	v_dot4c_i32_i8_e32 v166, v141, v21
	v_add_u32_e32 v141, 0x2090, v113
	v_add_u32_e32 v146, 0x2098, v113
	;; [unrolled: 1-line block ×3, first 2 shown]
	ds_read2_b32 v[144:145], v141 offset1:1
	ds_read2_b32 v[146:147], v146 offset1:1
	;; [unrolled: 1-line block ×3, first 2 shown]
	s_waitcnt lgkmcnt(3)
	v_dot4c_i32_i8_e32 v134, v138, v15
	v_dot4c_i32_i8_e32 v134, v139, v19
	s_waitcnt lgkmcnt(2)
	v_dot4c_i32_i8_e32 v134, v144, v16
	v_dot4c_i32_i8_e32 v134, v145, v20
	s_waitcnt lgkmcnt(1)
	v_dot4c_i32_i8_e32 v134, v146, v17
	v_dot4c_i32_i8_e32 v134, v147, v21
	v_add_u32_e32 v138, 0x4108, v113
	ds_read2_b32 v[162:163], v119 offset1:1
	ds_read2_b32 v[144:145], v117 offset0:2 offset1:3
	ds_read2_b32 v[164:165], v115 offset0:2 offset1:3
	v_cvt_f32_i32_e32 v147, v134
	v_mov_b32_e32 v134, 0
	ds_read2_b32 v[138:139], v138 offset1:1
	v_pk_mul_f16 v173, v2, v158
	v_cvt_f32_i32_e32 v146, v166
	s_waitcnt lgkmcnt(4)
	v_dot4c_i32_i8_e32 v134, v160, v14
	v_add_u32_e32 v158, 0x4110, v113
	v_add_u32_e32 v166, 0x4118, v113
	;; [unrolled: 1-line block ×3, first 2 shown]
	v_dot4c_i32_i8_e32 v134, v161, v18
	ds_read2_b32 v[160:161], v158 offset1:1
	ds_read2_b32 v[166:167], v166 offset1:1
	;; [unrolled: 1-line block ×3, first 2 shown]
	s_waitcnt lgkmcnt(3)
	v_dot4c_i32_i8_e32 v134, v138, v15
	v_dot4c_i32_i8_e32 v134, v139, v19
	v_mov_b32_e32 v158, 0
	s_waitcnt lgkmcnt(2)
	v_dot4c_i32_i8_e32 v134, v160, v16
	s_waitcnt lgkmcnt(0)
	v_dot4c_i32_i8_e32 v158, v168, v14
	v_add_u32_e32 v14, 0x6188, v113
	v_dot4c_i32_i8_e32 v134, v161, v20
	ds_read2_b32 v[160:161], v14 offset1:1
	v_dot4c_i32_i8_e32 v134, v166, v17
	v_dot4c_i32_i8_e32 v158, v169, v18
	v_add_u32_e32 v18, 0x6190, v113
	v_dot4c_i32_i8_e32 v134, v167, v21
	v_add_u32_e32 v139, 0x6198, v113
	v_add_u32_e32 v14, 0x20a0, v113
	ds_read2_b32 v[166:167], v18 offset1:1
	ds_read2_b32 v[168:169], v139 offset1:1
	;; [unrolled: 1-line block ×3, first 2 shown]
	s_waitcnt lgkmcnt(3)
	v_dot4c_i32_i8_e32 v158, v160, v15
	v_dot4c_i32_i8_e32 v158, v161, v19
	s_waitcnt lgkmcnt(2)
	v_dot4c_i32_i8_e32 v158, v166, v16
	v_dot4c_i32_i8_e32 v158, v167, v20
	s_waitcnt lgkmcnt(1)
	v_dot4c_i32_i8_e32 v158, v168, v17
	ds_read2_b32 v[18:19], v121 offset1:1
	ds_read2_b32 v[16:17], v119 offset0:2 offset1:3
	v_dot4c_i32_i8_e32 v158, v169, v21
	ds_read2_b32 v[20:21], v113 offset0:10 offset1:11
	v_mov_b32_e32 v169, 0
	v_dot4c_i32_i8_e32 v169, v142, v10
	v_dot4c_i32_i8_e32 v169, v143, v6
	ds_read2_b32 v[142:143], v113 offset0:12 offset1:13
	ds_read2_b32 v[160:161], v113 offset0:14 offset1:15
	;; [unrolled: 1-line block ×3, first 2 shown]
	v_pk_mul_f16 v162, v2, v162
	s_waitcnt lgkmcnt(5)
	v_pk_mul_f16 v168, v2, v18
	s_waitcnt lgkmcnt(3)
	v_dot4c_i32_i8_e32 v169, v20, v11
	v_add_u32_e32 v2, 0x20a8, v113
	v_dot4c_i32_i8_e32 v169, v21, v7
	ds_read2_b32 v[20:21], v2 offset1:1
	s_waitcnt lgkmcnt(3)
	v_dot4c_i32_i8_e32 v169, v142, v12
	v_dot4c_i32_i8_e32 v169, v143, v8
	v_mov_b32_e32 v175, 0
	s_waitcnt lgkmcnt(2)
	v_dot4c_i32_i8_e32 v169, v160, v13
	v_dot4c_i32_i8_e32 v175, v170, v10
	v_add_u32_e32 v18, 0x20b0, v113
	v_add_u32_e32 v142, 0x20b8, v113
	v_cvt_f32_i32_e32 v14, v134
	v_dot4c_i32_i8_e32 v169, v161, v9
	v_pk_mul_f16 v174, v3, v135
	v_dot4c_i32_i8_e32 v175, v171, v6
	v_add_u32_e32 v2, 0x4120, v113
	ds_read2_b32 v[134:135], v18 offset1:1
	ds_read2_b32 v[142:143], v142 offset1:1
	;; [unrolled: 1-line block ×3, first 2 shown]
	s_waitcnt lgkmcnt(3)
	v_dot4c_i32_i8_e32 v175, v20, v11
	v_dot4c_i32_i8_e32 v175, v21, v7
	v_add_u32_e32 v2, 0x4128, v113
	s_waitcnt lgkmcnt(2)
	v_dot4c_i32_i8_e32 v175, v134, v12
	ds_read2_b32 v[20:21], v2 offset1:1
	v_dot4c_i32_i8_e32 v175, v135, v8
	s_waitcnt lgkmcnt(2)
	v_dot4c_i32_i8_e32 v175, v142, v13
	v_mov_b32_e32 v171, 0
	v_add_u32_e32 v18, 0x4130, v113
	v_add_u32_e32 v142, 0x4138, v113
	v_cvt_f32_i32_e32 v15, v158
	v_dot4c_i32_i8_e32 v175, v143, v9
	v_pk_mul_f16 v170, v3, v159
	s_waitcnt lgkmcnt(1)
	v_dot4c_i32_i8_e32 v171, v160, v10
	v_add_u32_e32 v2, 0x61a0, v113
	ds_read2_b32 v[134:135], v18 offset1:1
	ds_read2_b32 v[142:143], v142 offset1:1
	;; [unrolled: 1-line block ×3, first 2 shown]
	v_dot4c_i32_i8_e32 v171, v161, v6
	s_waitcnt lgkmcnt(3)
	v_dot4c_i32_i8_e32 v171, v20, v11
	v_add_u32_e32 v2, 0x61a8, v113
	v_dot4c_i32_i8_e32 v171, v21, v7
	ds_read2_b32 v[20:21], v2 offset1:1
	s_waitcnt lgkmcnt(3)
	v_dot4c_i32_i8_e32 v171, v134, v12
	v_mov_b32_e32 v161, 0
	v_dot4c_i32_i8_e32 v171, v135, v8
	s_waitcnt lgkmcnt(1)
	v_dot4c_i32_i8_e32 v161, v158, v10
	v_dot4c_i32_i8_e32 v171, v142, v13
	;; [unrolled: 1-line block ×3, first 2 shown]
	v_add_u32_e32 v6, 0x61b0, v113
	v_dot4c_i32_i8_e32 v171, v143, v9
	v_add_u32_e32 v10, 0x61b8, v113
	v_add_u32_e32 v2, 0x20c0, v113
	ds_read2_b32 v[134:135], v6 offset1:1
	ds_read2_b32 v[142:143], v10 offset1:1
	;; [unrolled: 1-line block ×3, first 2 shown]
	s_waitcnt lgkmcnt(3)
	v_dot4c_i32_i8_e32 v161, v20, v11
	v_dot4c_i32_i8_e32 v161, v21, v7
	s_waitcnt lgkmcnt(2)
	v_dot4c_i32_i8_e32 v161, v134, v12
	v_dot4c_i32_i8_e32 v161, v135, v8
	s_waitcnt lgkmcnt(1)
	v_dot4c_i32_i8_e32 v161, v142, v13
	ds_read_b128 v[10:13], v109 offset:64
	v_dot4c_i32_i8_e32 v161, v143, v9
	ds_read_b128 v[6:9], v109 offset:80
	v_pk_mul_f16 v160, v3, v163
	v_pk_mul_f16 v163, v3, v19
	ds_read2_b32 v[2:3], v113 offset0:18 offset1:19
	v_mov_b32_e32 v176, 0
	s_waitcnt lgkmcnt(2)
	v_dot4c_i32_i8_e32 v176, v166, v10
	s_waitcnt lgkmcnt(1)
	v_dot4c_i32_i8_e32 v176, v167, v6
	ds_read2_b32 v[18:19], v113 offset0:20 offset1:21
	ds_read2_b32 v[20:21], v113 offset0:22 offset1:23
	;; [unrolled: 1-line block ×3, first 2 shown]
	s_waitcnt lgkmcnt(3)
	v_dot4c_i32_i8_e32 v176, v2, v11
	v_add_u32_e32 v2, 0x20c8, v113
	v_dot4c_i32_i8_e32 v176, v3, v7
	ds_read2_b32 v[2:3], v2 offset1:1
	s_waitcnt lgkmcnt(3)
	v_dot4c_i32_i8_e32 v176, v18, v12
	v_dot4c_i32_i8_e32 v176, v19, v8
	v_mov_b32_e32 v166, 0
	s_waitcnt lgkmcnt(2)
	v_dot4c_i32_i8_e32 v176, v20, v13
	v_dot4c_i32_i8_e32 v166, v158, v10
	v_add_u32_e32 v18, 0x20d0, v113
	v_add_u32_e32 v20, 0x20d8, v113
	;; [unrolled: 1-line block ×3, first 2 shown]
	v_dot4c_i32_i8_e32 v176, v21, v9
	v_dot4c_i32_i8_e32 v166, v159, v6
	ds_read2_b32 v[18:19], v18 offset1:1
	ds_read2_b32 v[20:21], v20 offset1:1
	;; [unrolled: 1-line block ×3, first 2 shown]
	s_waitcnt lgkmcnt(3)
	v_dot4c_i32_i8_e32 v166, v2, v11
	v_dot4c_i32_i8_e32 v166, v3, v7
	v_add_u32_e32 v2, 0x4148, v113
	s_waitcnt lgkmcnt(2)
	v_dot4c_i32_i8_e32 v166, v18, v12
	ds_read2_b32 v[2:3], v2 offset1:1
	v_dot4c_i32_i8_e32 v166, v19, v8
	v_mov_b32_e32 v167, 0
	s_waitcnt lgkmcnt(2)
	v_dot4c_i32_i8_e32 v166, v20, v13
	s_waitcnt lgkmcnt(1)
	v_dot4c_i32_i8_e32 v167, v142, v10
	v_add_u32_e32 v18, 0x4150, v113
	v_add_u32_e32 v20, 0x4158, v113
	;; [unrolled: 1-line block ×3, first 2 shown]
	v_dot4c_i32_i8_e32 v166, v21, v9
	v_dot4c_i32_i8_e32 v167, v143, v6
	ds_read2_b32 v[18:19], v18 offset1:1
	ds_read2_b32 v[20:21], v20 offset1:1
	;; [unrolled: 1-line block ×3, first 2 shown]
	s_waitcnt lgkmcnt(3)
	v_dot4c_i32_i8_e32 v167, v2, v11
	v_add_u32_e32 v2, 0x61c8, v113
	v_dot4c_i32_i8_e32 v167, v3, v7
	ds_read2_b32 v[2:3], v2 offset1:1
	v_mov_b32_e32 v177, 0
	s_waitcnt lgkmcnt(3)
	v_dot4c_i32_i8_e32 v167, v18, v12
	s_waitcnt lgkmcnt(1)
	v_dot4c_i32_i8_e32 v177, v142, v10
	v_dot4c_i32_i8_e32 v167, v19, v8
	;; [unrolled: 1-line block ×3, first 2 shown]
	v_add_u32_e32 v6, 0x61d0, v113
	v_dot4c_i32_i8_e32 v167, v20, v13
	v_add_u32_e32 v10, 0x61d8, v113
	v_add_u32_e32 v20, 0x20e0, v113
	ds_read2_b32 v[18:19], v6 offset1:1
	ds_read2_b32 v[142:143], v10 offset1:1
	;; [unrolled: 1-line block ×3, first 2 shown]
	s_waitcnt lgkmcnt(3)
	v_dot4c_i32_i8_e32 v177, v2, v11
	v_dot4c_i32_i8_e32 v177, v3, v7
	s_waitcnt lgkmcnt(2)
	v_dot4c_i32_i8_e32 v177, v18, v12
	v_dot4c_i32_i8_e32 v177, v19, v8
	;; [unrolled: 1-line block ×3, first 2 shown]
	s_waitcnt lgkmcnt(1)
	v_dot4c_i32_i8_e32 v177, v142, v13
	ds_read_b128 v[10:13], v109 offset:96
	ds_read_b128 v[18:21], v109 offset:112
	v_pk_mul_f16 v164, v4, v164
	v_pk_mul_f16 v144, v4, v144
	;; [unrolled: 1-line block ×4, first 2 shown]
	v_mov_b32_e32 v4, 0
	s_waitcnt lgkmcnt(1)
	v_dot4c_i32_i8_e32 v4, v134, v10
	v_add_u32_e32 v2, 0x20e8, v113
	s_waitcnt lgkmcnt(0)
	v_dot4c_i32_i8_e32 v4, v135, v18
	ds_read2_b32 v[2:3], v2 offset1:1
	v_dot4c_i32_i8_e32 v4, v152, v11
	v_dot4c_i32_i8_e32 v4, v153, v19
	v_mov_b32_e32 v153, 0
	v_dot4c_i32_i8_e32 v153, v158, v10
	v_add_u32_e32 v6, 0x20f0, v113
	v_add_u32_e32 v8, 0x20f8, v113
	;; [unrolled: 1-line block ×3, first 2 shown]
	v_dot4c_i32_i8_e32 v177, v143, v9
	v_dot4c_i32_i8_e32 v153, v159, v18
	ds_read2_b32 v[6:7], v6 offset1:1
	ds_read2_b32 v[8:9], v8 offset1:1
	;; [unrolled: 1-line block ×3, first 2 shown]
	s_waitcnt lgkmcnt(3)
	v_dot4c_i32_i8_e32 v153, v2, v11
	v_dot4c_i32_i8_e32 v153, v3, v19
	s_waitcnt lgkmcnt(2)
	v_dot4c_i32_i8_e32 v153, v6, v12
	v_dot4c_i32_i8_e32 v153, v7, v20
	v_cvt_f32_f16_e32 v140, v172
	v_cvt_f32_f16_e32 v141, v173
	s_waitcnt lgkmcnt(1)
	v_dot4c_i32_i8_e32 v153, v8, v13
	v_cvt_f32_f16_sdwa v3, v173 dst_sel:DWORD dst_unused:UNUSED_PAD src0_sel:WORD_1
	v_cvt_f32_f16_sdwa v2, v172 dst_sel:DWORD dst_unused:UNUSED_PAD src0_sel:WORD_1
	v_dot4c_i32_i8_e32 v153, v9, v21
	v_cvt_f32_f16_e32 v7, v170
	v_cvt_f32_f16_e32 v6, v174
	v_cvt_f32_f16_sdwa v9, v170 dst_sel:DWORD dst_unused:UNUSED_PAD src0_sel:WORD_1
	v_cvt_f32_f16_sdwa v8, v174 dst_sel:DWORD dst_unused:UNUSED_PAD src0_sel:WORD_1
	v_cvt_f32_i32_e32 v143, v175
	v_cvt_f32_i32_e32 v142, v169
	v_dot4c_i32_i8_e32 v4, v154, v12
	v_dot4c_i32_i8_e32 v4, v155, v20
	;; [unrolled: 1-line block ×3, first 2 shown]
	v_pk_fma_f32 v[2:3], v[140:141], v[146:147], v[2:3]
	v_dot4c_i32_i8_e32 v4, v157, v21
	v_pk_mul_f16 v152, v5, v165
	v_pk_mul_f16 v145, v5, v145
	v_pk_add_f32 v[2:3], v[126:127], v[2:3]
	v_pk_fma_f32 v[6:7], v[6:7], v[142:143], v[8:9]
	v_cvt_f32_f16_e32 v9, v144
	v_cvt_f32_f16_e32 v8, v164
	v_cvt_f32_f16_sdwa v127, v144 dst_sel:DWORD dst_unused:UNUSED_PAD src0_sel:WORD_1
	v_cvt_f32_f16_sdwa v126, v164 dst_sel:DWORD dst_unused:UNUSED_PAD src0_sel:WORD_1
	v_cvt_f32_i32_e32 v141, v166
	v_cvt_f32_i32_e32 v140, v176
	v_cvt_f32_f16_e32 v143, v145
	v_cvt_f32_f16_e32 v142, v152
	v_cvt_f32_f16_sdwa v145, v145 dst_sel:DWORD dst_unused:UNUSED_PAD src0_sel:WORD_1
	v_cvt_f32_f16_sdwa v144, v152 dst_sel:DWORD dst_unused:UNUSED_PAD src0_sel:WORD_1
	v_cvt_f32_i32_e32 v147, v153
	v_cvt_f32_i32_e32 v146, v4
	v_pk_add_f32 v[2:3], v[2:3], v[6:7]
	v_pk_fma_f32 v[6:7], v[8:9], v[140:141], v[126:127]
	v_pk_add_f32 v[2:3], v[2:3], v[6:7]
	v_pk_fma_f32 v[6:7], v[142:143], v[146:147], v[144:145]
	v_pk_add_f32 v[126:127], v[2:3], v[6:7]
	v_add_u32_e32 v2, 0x4168, v113
	ds_read2_b32 v[2:3], v2 offset1:1
	v_mov_b32_e32 v140, 0
	s_waitcnt lgkmcnt(1)
	v_dot4c_i32_i8_e32 v140, v134, v10
	v_add_u32_e32 v4, 0x4170, v113
	v_add_u32_e32 v8, 0x4178, v113
	;; [unrolled: 1-line block ×3, first 2 shown]
	v_dot4c_i32_i8_e32 v140, v135, v18
	ds_read2_b32 v[6:7], v4 offset1:1
	ds_read2_b32 v[8:9], v8 offset1:1
	ds_read2_b32 v[134:135], v134 offset1:1
	s_waitcnt lgkmcnt(3)
	v_dot4c_i32_i8_e32 v140, v2, v11
	v_add_u32_e32 v2, 0x61e8, v113
	v_dot4c_i32_i8_e32 v140, v3, v19
	ds_read2_b32 v[2:3], v2 offset1:1
	s_waitcnt lgkmcnt(3)
	v_dot4c_i32_i8_e32 v140, v6, v12
	v_add_u32_e32 v4, 0x61f0, v113
	v_dot4c_i32_i8_e32 v140, v7, v20
	ds_read2_b32 v[6:7], v4 offset1:1
	v_mov_b32_e32 v141, 0
	s_waitcnt lgkmcnt(3)
	v_dot4c_i32_i8_e32 v140, v8, v13
	s_waitcnt lgkmcnt(2)
	v_dot4c_i32_i8_e32 v141, v134, v10
	v_add_u32_e32 v4, 0x61f8, v113
	v_dot4c_i32_i8_e32 v140, v9, v21
	v_dot4c_i32_i8_e32 v141, v135, v18
	ds_read2_b32 v[8:9], v4 offset1:1
	s_waitcnt lgkmcnt(2)
	v_dot4c_i32_i8_e32 v141, v2, v11
	v_dot4c_i32_i8_e32 v141, v3, v19
	s_waitcnt lgkmcnt(1)
	v_dot4c_i32_i8_e32 v141, v6, v12
	v_dot4c_i32_i8_e32 v141, v7, v20
	;; [unrolled: 3-line block ×3, first 2 shown]
	v_cvt_f32_f16_e32 v7, v163
	v_cvt_f32_f16_e32 v6, v160
	v_cvt_f32_f16_sdwa v9, v163 dst_sel:DWORD dst_unused:UNUSED_PAD src0_sel:WORD_1
	v_cvt_f32_f16_sdwa v8, v160 dst_sel:DWORD dst_unused:UNUSED_PAD src0_sel:WORD_1
	v_cvt_f32_i32_e32 v11, v161
	v_cvt_f32_i32_e32 v10, v171
	v_cvt_f32_f16_e32 v138, v162
	v_cvt_f32_f16_e32 v139, v168
	v_cvt_f32_f16_sdwa v3, v168 dst_sel:DWORD dst_unused:UNUSED_PAD src0_sel:WORD_1
	v_cvt_f32_f16_sdwa v2, v162 dst_sel:DWORD dst_unused:UNUSED_PAD src0_sel:WORD_1
	v_pk_mul_f16 v17, v5, v17
	v_pk_mul_f16 v18, v5, v137
	v_pk_fma_f32 v[4:5], v[6:7], v[10:11], v[8:9]
	v_cvt_f32_f16_e32 v7, v136
	v_cvt_f32_f16_e32 v6, v16
	v_cvt_f32_f16_sdwa v9, v136 dst_sel:DWORD dst_unused:UNUSED_PAD src0_sel:WORD_1
	v_cvt_f32_f16_sdwa v8, v16 dst_sel:DWORD dst_unused:UNUSED_PAD src0_sel:WORD_1
	v_cvt_f32_i32_e32 v11, v177
	v_cvt_f32_i32_e32 v10, v167
	v_pk_fma_f32 v[2:3], v[138:139], v[14:15], v[2:3]
	v_cvt_f32_f16_e32 v13, v18
	v_cvt_f32_f16_e32 v12, v17
	v_cvt_f32_f16_sdwa v15, v18 dst_sel:DWORD dst_unused:UNUSED_PAD src0_sel:WORD_1
	v_cvt_f32_f16_sdwa v14, v17 dst_sel:DWORD dst_unused:UNUSED_PAD src0_sel:WORD_1
	v_cvt_f32_i32_e32 v17, v141
	v_cvt_f32_i32_e32 v16, v140
	v_pk_add_f32 v[2:3], v[122:123], v[2:3]
	v_pk_add_f32 v[2:3], v[2:3], v[4:5]
	v_pk_fma_f32 v[4:5], v[6:7], v[10:11], v[8:9]
	v_pk_add_f32 v[2:3], v[2:3], v[4:5]
	v_pk_fma_f32 v[4:5], v[12:13], v[16:17], v[14:15]
	v_pk_add_f32 v[122:123], v[2:3], v[4:5]
	s_cmp_ge_i32 s20, s9
	s_barrier
	s_cbranch_scc1 .LBB224_5
; %bb.13:                               ;   in Loop: Header=BB224_6 Depth=1
	v_add_u32_e32 v2, s10, v125
	v_cmp_gt_i32_e32 vcc, s12, v2
	s_and_b64 s[22:23], s[2:3], vcc
	s_and_saveexec_b64 s[4:5], s[22:23]
	s_cbranch_execz .LBB224_15
; %bb.14:                               ;   in Loop: Header=BB224_6 Depth=1
	v_add_u32_e32 v2, s10, v131
	v_mad_i64_i32 v[2:3], s[22:23], v2, 36, v[54:55]
	global_load_dword v2, v[2:3], off offset:4
	s_waitcnt vmcnt(0)
	ds_write_b32 v105, v2
.LBB224_15:                             ;   in Loop: Header=BB224_6 Depth=1
	s_or_b64 exec, exec, s[4:5]
	s_and_saveexec_b64 s[4:5], s[0:1]
	s_cbranch_execz .LBB224_4
; %bb.16:                               ;   in Loop: Header=BB224_6 Depth=1
	v_add3_u32 v2, v99, s10, 4
	v_cmp_gt_i32_e32 vcc, s12, v2
	s_and_b64 s[22:23], s[2:3], vcc
	s_and_b64 exec, exec, s[22:23]
	s_cbranch_execz .LBB224_4
; %bb.17:                               ;   in Loop: Header=BB224_6 Depth=1
	global_load_dword v2, v[56:57], off
	s_waitcnt vmcnt(0)
	ds_write_b32 v107, v2
	s_branch .LBB224_4
.LBB224_18:
	v_mov_b32_e32 v122, v123
	v_mov_b32_e32 v127, v123
	;; [unrolled: 1-line block ×3, first 2 shown]
.LBB224_19:
	s_mul_i32 s0, s14, s11
	s_waitcnt vmcnt(0)
	v_cmp_gt_i32_e32 vcc, s0, v97
	s_and_saveexec_b64 s[0:1], vcc
	s_cbranch_execz .LBB224_28
; %bb.20:
	v_and_b32_e32 v0, 0x3ff, v0
	v_add_u32_e32 v1, s15, v0
	v_mul_lo_u32 v0, v97, s13
	v_cmp_gt_u32_e32 vcc, s13, v1
	s_and_saveexec_b64 s[0:1], vcc
	s_cbranch_execz .LBB224_22
; %bb.21:
	v_bfe_u32 v2, v126, 16, 1
	s_movk_i32 s2, 0x7fff
	v_add3_u32 v2, v126, v2, s2
	v_lshrrev_b32_e32 v2, 16, v2
	v_mov_b32_e32 v3, 0x7fc0
	v_cmp_o_f32_e32 vcc, v126, v126
	v_cndmask_b32_e32 v4, v3, v2, vcc
	v_add_u32_e32 v2, v0, v1
	v_mov_b32_e32 v3, 0
	v_lshlrev_b64 v[2:3], 1, v[2:3]
	v_mov_b32_e32 v5, s17
	v_add_co_u32_e32 v2, vcc, s16, v2
	v_addc_co_u32_e32 v3, vcc, v5, v3, vcc
	global_store_short v[2:3], v4, off
.LBB224_22:
	s_or_b64 exec, exec, s[0:1]
	v_add_u32_e32 v2, 32, v1
	v_cmp_gt_u32_e32 vcc, s13, v2
	s_and_saveexec_b64 s[0:1], vcc
	s_cbranch_execz .LBB224_24
; %bb.23:
	v_bfe_u32 v3, v127, 16, 1
	s_movk_i32 s2, 0x7fff
	v_add3_u32 v3, v127, v3, s2
	v_lshrrev_b32_e32 v3, 16, v3
	v_mov_b32_e32 v4, 0x7fc0
	v_cmp_o_f32_e32 vcc, v127, v127
	v_cndmask_b32_e32 v4, v4, v3, vcc
	v_add_u32_e32 v2, v0, v2
	v_mov_b32_e32 v3, 0
	v_lshlrev_b64 v[2:3], 1, v[2:3]
	v_mov_b32_e32 v5, s17
	v_add_co_u32_e32 v2, vcc, s16, v2
	v_addc_co_u32_e32 v3, vcc, v5, v3, vcc
	global_store_short v[2:3], v4, off
.LBB224_24:
	s_or_b64 exec, exec, s[0:1]
	v_add_u32_e32 v2, 64, v1
	;; [unrolled: 21-line block ×3, first 2 shown]
	v_cmp_gt_u32_e32 vcc, s13, v1
	s_and_b64 exec, exec, vcc
	s_cbranch_execz .LBB224_28
; %bb.27:
	v_bfe_u32 v2, v123, 16, 1
	s_movk_i32 s0, 0x7fff
	v_add3_u32 v2, v123, v2, s0
	v_add_u32_e32 v0, v0, v1
	v_mov_b32_e32 v1, 0
	v_lshrrev_b32_e32 v2, 16, v2
	v_mov_b32_e32 v3, 0x7fc0
	v_cmp_o_f32_e32 vcc, v123, v123
	v_lshlrev_b64 v[0:1], 1, v[0:1]
	v_cndmask_b32_e32 v2, v3, v2, vcc
	v_mov_b32_e32 v3, s17
	v_add_co_u32_e32 v0, vcc, s16, v0
	v_addc_co_u32_e32 v1, vcc, v3, v1, vcc
	global_store_short v[0:1], v2, off
.LBB224_28:
	s_endpgm
	.section	.rodata,"a",@progbits
	.p2align	6, 0x0
	.amdhsa_kernel _ZL8moe_q5_1IN3c108BFloat16ELb1EEvPKvS3_PT_PKiS7_S7_iiiiiii
		.amdhsa_group_segment_fixed_size 38656
		.amdhsa_private_segment_fixed_size 0
		.amdhsa_kernarg_size 76
		.amdhsa_user_sgpr_count 6
		.amdhsa_user_sgpr_private_segment_buffer 1
		.amdhsa_user_sgpr_dispatch_ptr 0
		.amdhsa_user_sgpr_queue_ptr 0
		.amdhsa_user_sgpr_kernarg_segment_ptr 1
		.amdhsa_user_sgpr_dispatch_id 0
		.amdhsa_user_sgpr_flat_scratch_init 0
		.amdhsa_user_sgpr_kernarg_preload_length 0
		.amdhsa_user_sgpr_kernarg_preload_offset 0
		.amdhsa_user_sgpr_private_segment_size 0
		.amdhsa_uses_dynamic_stack 0
		.amdhsa_system_sgpr_private_segment_wavefront_offset 0
		.amdhsa_system_sgpr_workgroup_id_x 1
		.amdhsa_system_sgpr_workgroup_id_y 1
		.amdhsa_system_sgpr_workgroup_id_z 0
		.amdhsa_system_sgpr_workgroup_info 0
		.amdhsa_system_vgpr_workitem_id 1
		.amdhsa_next_free_vgpr 178
		.amdhsa_next_free_sgpr 24
		.amdhsa_accum_offset 180
		.amdhsa_reserve_vcc 1
		.amdhsa_reserve_flat_scratch 0
		.amdhsa_float_round_mode_32 0
		.amdhsa_float_round_mode_16_64 0
		.amdhsa_float_denorm_mode_32 3
		.amdhsa_float_denorm_mode_16_64 3
		.amdhsa_dx10_clamp 1
		.amdhsa_ieee_mode 1
		.amdhsa_fp16_overflow 0
		.amdhsa_tg_split 0
		.amdhsa_exception_fp_ieee_invalid_op 0
		.amdhsa_exception_fp_denorm_src 0
		.amdhsa_exception_fp_ieee_div_zero 0
		.amdhsa_exception_fp_ieee_overflow 0
		.amdhsa_exception_fp_ieee_underflow 0
		.amdhsa_exception_fp_ieee_inexact 0
		.amdhsa_exception_int_div_zero 0
	.end_amdhsa_kernel
	.section	.text._ZL8moe_q5_1IN3c108BFloat16ELb1EEvPKvS3_PT_PKiS7_S7_iiiiiii,"axG",@progbits,_ZL8moe_q5_1IN3c108BFloat16ELb1EEvPKvS3_PT_PKiS7_S7_iiiiiii,comdat
.Lfunc_end224:
	.size	_ZL8moe_q5_1IN3c108BFloat16ELb1EEvPKvS3_PT_PKiS7_S7_iiiiiii, .Lfunc_end224-_ZL8moe_q5_1IN3c108BFloat16ELb1EEvPKvS3_PT_PKiS7_S7_iiiiiii
                                        ; -- End function
	.section	.AMDGPU.csdata,"",@progbits
; Kernel info:
; codeLenInByte = 11160
; NumSgprs: 28
; NumVgprs: 178
; NumAgprs: 0
; TotalNumVgprs: 178
; ScratchSize: 0
; MemoryBound: 0
; FloatMode: 240
; IeeeMode: 1
; LDSByteSize: 38656 bytes/workgroup (compile time only)
; SGPRBlocks: 3
; VGPRBlocks: 22
; NumSGPRsForWavesPerEU: 28
; NumVGPRsForWavesPerEU: 178
; AccumOffset: 180
; Occupancy: 1
; WaveLimiterHint : 1
; COMPUTE_PGM_RSRC2:SCRATCH_EN: 0
; COMPUTE_PGM_RSRC2:USER_SGPR: 6
; COMPUTE_PGM_RSRC2:TRAP_HANDLER: 0
; COMPUTE_PGM_RSRC2:TGID_X_EN: 1
; COMPUTE_PGM_RSRC2:TGID_Y_EN: 1
; COMPUTE_PGM_RSRC2:TGID_Z_EN: 0
; COMPUTE_PGM_RSRC2:TIDIG_COMP_CNT: 1
; COMPUTE_PGM_RSRC3_GFX90A:ACCUM_OFFSET: 44
; COMPUTE_PGM_RSRC3_GFX90A:TG_SPLIT: 0
	.section	.text._ZL8moe_q8_0IN3c108BFloat16ELb0EEvPKvS3_PT_PKiS7_S7_iiiiiii,"axG",@progbits,_ZL8moe_q8_0IN3c108BFloat16ELb0EEvPKvS3_PT_PKiS7_S7_iiiiiii,comdat
	.globl	_ZL8moe_q8_0IN3c108BFloat16ELb0EEvPKvS3_PT_PKiS7_S7_iiiiiii ; -- Begin function _ZL8moe_q8_0IN3c108BFloat16ELb0EEvPKvS3_PT_PKiS7_S7_iiiiiii
	.p2align	8
	.type	_ZL8moe_q8_0IN3c108BFloat16ELb0EEvPKvS3_PT_PKiS7_S7_iiiiiii,@function
_ZL8moe_q8_0IN3c108BFloat16ELb0EEvPKvS3_PT_PKiS7_S7_iiiiiii: ; @_ZL8moe_q8_0IN3c108BFloat16ELb0EEvPKvS3_PT_PKiS7_S7_iiiiiii
; %bb.0:
	s_load_dwordx4 s[0:3], s[4:5], 0x18
	s_mov_b32 s8, s7
	s_mov_b32 s9, 0
	s_lshl_b64 s[10:11], s[8:9], 2
	s_waitcnt lgkmcnt(0)
	s_add_u32 s2, s2, s10
	s_addc_u32 s3, s3, s11
	s_load_dword s2, s[2:3], 0x0
	s_waitcnt lgkmcnt(0)
	s_cmpk_gt_u32 s2, 0xff
	s_cbranch_scc1 .LBB225_21
; %bb.1:
	s_load_dwordx2 s[10:11], s[4:5], 0x28
	s_lshl_b32 s3, s8, 3
	s_waitcnt lgkmcnt(0)
	s_load_dword s7, s[10:11], 0x0
	s_waitcnt lgkmcnt(0)
	s_cmp_gt_u32 s3, s7
	s_cbranch_scc1 .LBB225_21
; %bb.2:
	v_bfe_u32 v1, v0, 10, 10
	v_add_u32_e32 v38, s3, v1
	v_mov_b32_e32 v39, 0
	v_lshlrev_b64 v[2:3], 2, v[38:39]
	v_mov_b32_e32 v4, s1
	v_add_co_u32_e32 v2, vcc, s0, v2
	v_addc_co_u32_e32 v3, vcc, v4, v3, vcc
	global_load_dword v63, v[2:3], off
	s_load_dwordx2 s[14:15], s[4:5], 0x30
	s_load_dwordx2 s[12:13], s[4:5], 0x10
	s_load_dwordx4 s[8:11], s[4:5], 0x3c
	s_lshl_b32 s16, s6, 7
	s_mov_b32 s17, 0
	s_waitcnt lgkmcnt(0)
	s_cmp_lt_i32 s15, 32
	s_cbranch_scc1 .LBB225_11
; %bb.3:
	s_ashr_i32 s0, s15, 31
	s_lshr_b32 s0, s0, 27
	s_add_i32 s0, s15, s0
	s_ashr_i32 s18, s0, 5
	s_ashr_i32 s0, s9, 31
	s_lshr_b32 s0, s0, 27
	s_add_i32 s0, s9, s0
	v_and_b32_e32 v66, 0x3ff, v0
	s_ashr_i32 s9, s0, 5
	v_lshlrev_b32_e32 v2, 2, v66
	s_movk_i32 s0, 0x84
	v_and_b32_e32 v6, 28, v2
	v_mad_u32_u24 v68, v1, s0, v2
	v_lshlrev_b32_e32 v2, 3, v1
	v_lshrrev_b32_e32 v3, 2, v66
	v_add_u32_e32 v5, v3, v2
	v_add_u16_e32 v2, v3, v2
	s_load_dwordx4 s[4:7], s[4:5], 0x0
	v_and_b32_e32 v38, 3, v66
	v_lshrrev_b16_e32 v2, 1, v2
	s_mul_i32 s14, s2, s14
	v_and_b32_e32 v2, 0x1ffc, v2
	v_lshlrev_b32_e32 v3, 2, v38
	s_movk_i32 s2, 0x4200
	v_add3_u32 v51, v2, v3, s2
	v_add_u32_e32 v2, 64, v5
	v_mul_lo_u32 v39, s18, v5
	v_lshlrev_b32_e32 v64, 4, v5
	v_lshrrev_b32_e32 v5, 1, v2
	v_and_b32_e32 v5, 0x3ffc, v5
	v_lshlrev_b32_e32 v95, 4, v2
	v_and_b32_e32 v2, 31, v66
	v_lshlrev_b32_e32 v84, 7, v1
	v_add3_u32 v65, v5, v3, s2
	s_waitcnt lgkmcnt(0)
	v_mov_b32_e32 v3, s7
	v_add_co_u32_e32 v22, vcc, s6, v6
	v_lshl_or_b32 v2, v2, 2, v84
	v_lshrrev_b32_e32 v67, 3, v66
	v_addc_co_u32_e32 v23, vcc, 0, v3, vcc
	v_add_u32_e32 v85, 0x4a40, v2
	v_lshl_add_u32 v2, v1, 2, v66
	v_mov_b32_e32 v3, 0x4e40
	v_mul_lo_u32 v4, s18, v1
	v_lshl_add_u32 v86, v2, 2, v3
	v_lshlrev_b32_e32 v87, 4, v1
	v_lshlrev_b32_e32 v1, 2, v67
	v_lshlrev_b32_e32 v2, 4, v66
	v_add3_u32 v89, v2, v1, s2
	v_add_u32_e32 v1, 32, v66
	v_lshrrev_b32_e32 v2, 1, v1
	v_and_b32_e32 v2, 0xfc, v2
	v_lshlrev_b32_e32 v1, 4, v1
	v_add3_u32 v90, v1, v2, s2
	v_add_u32_e32 v1, 64, v66
	v_lshrrev_b32_e32 v2, 1, v1
	v_and_b32_e32 v2, 0xfc, v2
	v_lshlrev_b32_e32 v1, 4, v1
	s_abs_i32 s3, s11
	v_add3_u32 v91, v1, v2, s2
	v_cvt_f32_u32_e32 v2, s3
	v_add_u32_e32 v1, 0x60, v66
	v_lshrrev_b32_e32 v3, 1, v1
	v_and_b32_e32 v3, 0xfc, v3
	v_rcp_iflag_f32_e32 v2, v2
	v_lshlrev_b32_e32 v1, 4, v1
	v_add3_u32 v92, v1, v3, s2
	s_sub_i32 s2, 0, s3
	v_mul_f32_e32 v2, 0x4f7ffffe, v2
	v_cvt_u32_f32_e32 v2, v2
	s_waitcnt vmcnt(0)
	v_sub_u32_e32 v3, 0, v63
	v_max_i32_e32 v3, v63, v3
	v_xor_b32_e32 v1, s11, v63
	v_mul_lo_u32 v5, s2, v2
	v_mul_hi_u32 v5, v2, v5
	v_add_u32_e32 v2, v2, v5
	v_mul_hi_u32 v2, v3, v2
	v_mul_lo_u32 v5, v2, s3
	v_sub_u32_e32 v3, v3, v5
	v_add_u32_e32 v5, 1, v2
	v_cmp_le_u32_e32 vcc, s3, v3
	v_cndmask_b32_e32 v2, v2, v5, vcc
	v_subrev_u32_e32 v5, s3, v3
	v_cndmask_b32_e32 v3, v3, v5, vcc
	v_add_u32_e32 v5, 1, v2
	v_cmp_le_u32_e32 vcc, s3, v3
	s_mul_i32 s20, s18, s16
	v_ashrrev_i32_e32 v1, 31, v1
	v_cndmask_b32_e32 v2, v2, v5, vcc
	v_xor_b32_e32 v2, v2, v1
	s_mul_hi_i32 s21, s20, 34
	s_mul_i32 s22, s20, 34
	v_sub_u32_e32 v1, v2, v1
	v_mov_b32_e32 v2, s22
	v_mov_b32_e32 v3, s21
	s_lshl_b32 s0, s18, 3
	v_mad_u64_u32 v[2:3], s[22:23], v67, 34, v[2:3]
	v_add_u32_e32 v7, s0, v4
	v_mad_u64_u32 v[4:5], s[22:23], v4, 34, v[2:3]
	v_cmp_gt_i32_e64 s[2:3], s8, v1
	v_mul_lo_u32 v93, v1, s9
	v_add_co_u32_e32 v1, vcc, v4, v6
	v_addc_co_u32_e32 v4, vcc, 0, v5, vcc
	v_mov_b32_e32 v57, s5
	v_add_co_u32_e32 v1, vcc, s4, v1
	v_addc_co_u32_e32 v4, vcc, v4, v57, vcc
	v_add_co_u32_e32 v24, vcc, 2, v1
	v_addc_co_u32_e32 v1, vcc, 0, v4, vcc
	v_mad_u64_u32 v[4:5], s[22:23], v7, 34, v[2:3]
	v_add_co_u32_e32 v4, vcc, v4, v6
	v_addc_co_u32_e32 v5, vcc, 0, v5, vcc
	v_add_co_u32_e32 v4, vcc, s4, v4
	v_addc_co_u32_e32 v5, vcc, v5, v57, vcc
	v_add_u32_e32 v8, s0, v7
	v_add_co_u32_e32 v26, vcc, 2, v4
	v_addc_co_u32_e32 v25, vcc, 0, v5, vcc
	v_mad_u64_u32 v[4:5], s[22:23], v8, 34, v[2:3]
	v_add_co_u32_e32 v4, vcc, v4, v6
	v_addc_co_u32_e32 v5, vcc, 0, v5, vcc
	v_add_co_u32_e32 v4, vcc, s4, v4
	v_addc_co_u32_e32 v5, vcc, v5, v57, vcc
	v_add_u32_e32 v9, s0, v8
	;; [unrolled: 8-line block ×14, first 2 shown]
	v_add_co_u32_e32 v56, vcc, 2, v4
	v_addc_co_u32_e32 v55, vcc, 0, v5, vcc
	v_mad_u64_u32 v[2:3], s[22:23], v21, 34, v[2:3]
	v_add_co_u32_e32 v2, vcc, v2, v6
	v_addc_co_u32_e32 v3, vcc, 0, v3, vcc
	v_add_co_u32_e32 v2, vcc, s4, v2
	v_addc_co_u32_e32 v3, vcc, v3, v57, vcc
	;; [unrolled: 2-line block ×3, first 2 shown]
	v_mad_u64_u32 v[2:3], s[22:23], v39, 34, 0
	v_mad_i64_i32 v[2:3], s[22:23], s20, 34, v[2:3]
	v_mad_u64_u32 v[2:3], s[22:23], v38, 34, v[2:3]
	v_lshl_add_u32 v50, s18, 6, v39
	v_mov_b32_e32 v4, s5
	v_add_co_u32_e32 v60, vcc, s4, v2
	v_addc_co_u32_e32 v59, vcc, v4, v3, vcc
	v_mad_u64_u32 v[2:3], s[22:23], v50, 34, 0
	v_mad_i64_i32 v[2:3], s[20:21], s20, 34, v[2:3]
	v_mad_u64_u32 v[2:3], s[20:21], v38, 34, v[2:3]
	v_add_co_u32_e32 v62, vcc, s4, v2
	v_mov_b32_e32 v50, 0
	s_ashr_i32 s19, s14, 31
	v_add_u32_e32 v69, 0x420, v68
	v_add_u32_e32 v70, 0x840, v68
	;; [unrolled: 1-line block ×15, first 2 shown]
	v_cmp_gt_u32_e64 s[0:1], 4, v66
	v_mul_u32_u24_e32 v88, 0x84, v66
	v_addc_co_u32_e32 v61, vcc, v4, v3, vcc
	v_add_u32_e32 v94, v51, v64
	v_add_u32_e32 v95, v65, v95
	s_mov_b32 s20, 0
	v_mov_b32_e32 v51, v50
	v_mov_b32_e32 v38, v50
	;; [unrolled: 1-line block ×3, first 2 shown]
	s_branch .LBB225_6
.LBB225_4:                              ;   in Loop: Header=BB225_6 Depth=1
	s_or_b64 exec, exec, s[4:5]
	s_waitcnt lgkmcnt(0)
	s_barrier
	ds_read_b128 v[2:5], v87 offset:20032
	ds_read2_b32 v[64:65], v88 offset1:1
	ds_read_b128 v[18:21], v84 offset:19008
	ds_read_b128 v[14:17], v84 offset:19024
	;; [unrolled: 1-line block ×4, first 2 shown]
	ds_read2_b32 v[98:99], v88 offset0:2 offset1:3
	v_mov_b32_e32 v96, 0
	s_waitcnt lgkmcnt(4)
	v_dot4c_i32_i8_e32 v96, v64, v18
	v_dot4c_i32_i8_e32 v96, v65, v19
	ds_read2_b32 v[64:65], v88 offset0:4 offset1:5
	ds_read2_b32 v[100:101], v88 offset0:6 offset1:7
	;; [unrolled: 1-line block ×3, first 2 shown]
	s_waitcnt lgkmcnt(3)
	v_dot4c_i32_i8_e32 v96, v98, v20
	v_dot4c_i32_i8_e32 v96, v99, v21
	s_waitcnt lgkmcnt(2)
	v_dot4c_i32_i8_e32 v96, v64, v14
	v_add_u32_e32 v64, 0x1080, v88
	ds_read2_b32 v[98:99], v64 offset1:1
	v_mov_b32_e32 v97, 0
	v_dot4c_i32_i8_e32 v96, v65, v15
	ds_read2_b32 v[64:65], v92 offset0:2 offset1:3
	s_waitcnt lgkmcnt(3)
	v_dot4c_i32_i8_e32 v96, v100, v16
	s_waitcnt lgkmcnt(1)
	v_dot4c_i32_i8_e32 v97, v98, v18
	v_add_u32_e32 v98, 0x1088, v88
	v_dot4c_i32_i8_e32 v97, v99, v19
	ds_read2_b32 v[98:99], v98 offset1:1
	v_add_u32_e32 v100, 0x1090, v88
	v_add_u32_e32 v104, 0x1098, v88
	;; [unrolled: 1-line block ×3, first 2 shown]
	v_dot4c_i32_i8_e32 v96, v101, v17
	ds_read2_b32 v[100:101], v100 offset1:1
	ds_read2_b32 v[104:105], v104 offset1:1
	;; [unrolled: 1-line block ×3, first 2 shown]
	s_waitcnt lgkmcnt(3)
	v_dot4c_i32_i8_e32 v97, v98, v20
	v_dot4c_i32_i8_e32 v97, v99, v21
	s_waitcnt lgkmcnt(2)
	v_dot4c_i32_i8_e32 v97, v100, v14
	v_dot4c_i32_i8_e32 v97, v101, v15
	v_mov_b32_e32 v112, 0
	s_waitcnt lgkmcnt(1)
	v_dot4c_i32_i8_e32 v97, v104, v16
	s_waitcnt lgkmcnt(0)
	v_dot4c_i32_i8_e32 v112, v106, v18
	v_add_u32_e32 v98, 0x2108, v88
	v_add_u32_e32 v100, 0x2110, v88
	;; [unrolled: 1-line block ×4, first 2 shown]
	v_dot4c_i32_i8_e32 v97, v105, v17
	v_dot4c_i32_i8_e32 v112, v107, v19
	ds_read2_b32 v[98:99], v98 offset1:1
	ds_read2_b32 v[100:101], v100 offset1:1
	;; [unrolled: 1-line block ×4, first 2 shown]
	v_mov_b32_e32 v113, 0
	v_mov_b32_e32 v114, 0
	v_dot4c_i32_i8_e32 v114, v102, v10
	s_waitcnt lgkmcnt(3)
	v_dot4c_i32_i8_e32 v112, v98, v20
	s_waitcnt lgkmcnt(0)
	v_dot4c_i32_i8_e32 v113, v106, v18
	v_add_u32_e32 v18, 0x3188, v88
	v_dot4c_i32_i8_e32 v112, v99, v21
	v_dot4c_i32_i8_e32 v113, v107, v19
	ds_read2_b32 v[18:19], v18 offset1:1
	v_dot4c_i32_i8_e32 v112, v100, v14
	v_dot4c_i32_i8_e32 v112, v101, v15
	;; [unrolled: 1-line block ×3, first 2 shown]
	v_add_u32_e32 v98, 0x3190, v88
	v_add_u32_e32 v100, 0x3198, v88
	;; [unrolled: 1-line block ×3, first 2 shown]
	v_dot4c_i32_i8_e32 v112, v105, v17
	ds_read2_b32 v[98:99], v98 offset1:1
	ds_read2_b32 v[100:101], v100 offset1:1
	;; [unrolled: 1-line block ×3, first 2 shown]
	s_waitcnt lgkmcnt(3)
	v_dot4c_i32_i8_e32 v113, v18, v20
	v_dot4c_i32_i8_e32 v113, v19, v21
	s_waitcnt lgkmcnt(2)
	v_dot4c_i32_i8_e32 v113, v98, v14
	v_dot4c_i32_i8_e32 v113, v99, v15
	ds_read2_b32 v[14:15], v88 offset0:10 offset1:11
	s_waitcnt lgkmcnt(2)
	v_dot4c_i32_i8_e32 v113, v100, v16
	v_dot4c_i32_i8_e32 v113, v101, v17
	;; [unrolled: 1-line block ×3, first 2 shown]
	ds_read2_b32 v[16:17], v88 offset0:12 offset1:13
	ds_read2_b32 v[18:19], v88 offset0:14 offset1:15
	;; [unrolled: 1-line block ×3, first 2 shown]
	s_waitcnt lgkmcnt(3)
	v_dot4c_i32_i8_e32 v114, v14, v12
	v_add_u32_e32 v14, 0x10a8, v88
	v_dot4c_i32_i8_e32 v114, v15, v13
	ds_read2_b32 v[14:15], v14 offset1:1
	s_waitcnt lgkmcnt(3)
	v_dot4c_i32_i8_e32 v114, v16, v6
	v_dot4c_i32_i8_e32 v114, v17, v7
	v_mov_b32_e32 v115, 0
	s_waitcnt lgkmcnt(2)
	v_dot4c_i32_i8_e32 v114, v18, v8
	v_dot4c_i32_i8_e32 v115, v104, v10
	v_add_u32_e32 v16, 0x10b0, v88
	v_add_u32_e32 v18, 0x10b8, v88
	;; [unrolled: 1-line block ×3, first 2 shown]
	v_dot4c_i32_i8_e32 v114, v19, v9
	v_dot4c_i32_i8_e32 v115, v105, v11
	ds_read2_b32 v[16:17], v16 offset1:1
	ds_read2_b32 v[18:19], v18 offset1:1
	;; [unrolled: 1-line block ×3, first 2 shown]
	s_waitcnt lgkmcnt(3)
	v_dot4c_i32_i8_e32 v115, v14, v12
	v_dot4c_i32_i8_e32 v115, v15, v13
	s_waitcnt lgkmcnt(2)
	v_dot4c_i32_i8_e32 v115, v16, v6
	v_dot4c_i32_i8_e32 v115, v17, v7
	v_mov_b32_e32 v116, 0
	s_waitcnt lgkmcnt(1)
	v_dot4c_i32_i8_e32 v115, v18, v8
	s_waitcnt lgkmcnt(0)
	v_dot4c_i32_i8_e32 v116, v98, v10
	v_add_u32_e32 v14, 0x2128, v88
	v_add_u32_e32 v16, 0x2130, v88
	v_add_u32_e32 v18, 0x2138, v88
	v_add_u32_e32 v98, 0x31a0, v88
	v_dot4c_i32_i8_e32 v115, v19, v9
	v_dot4c_i32_i8_e32 v116, v99, v11
	ds_read2_b32 v[14:15], v14 offset1:1
	ds_read2_b32 v[16:17], v16 offset1:1
	;; [unrolled: 1-line block ×4, first 2 shown]
	v_mov_b32_e32 v117, 0
	v_mov_b32_e32 v118, 0
	v_mov_b32_e32 v119, 0
	s_waitcnt lgkmcnt(3)
	v_dot4c_i32_i8_e32 v116, v14, v12
	s_waitcnt lgkmcnt(0)
	v_dot4c_i32_i8_e32 v117, v98, v10
	v_add_u32_e32 v10, 0x31a8, v88
	v_dot4c_i32_i8_e32 v116, v15, v13
	v_dot4c_i32_i8_e32 v117, v99, v11
	ds_read2_b32 v[10:11], v10 offset1:1
	v_dot4c_i32_i8_e32 v116, v16, v6
	v_dot4c_i32_i8_e32 v116, v17, v7
	;; [unrolled: 1-line block ×3, first 2 shown]
	v_add_u32_e32 v14, 0x31b0, v88
	v_add_u32_e32 v16, 0x31b8, v88
	v_add_u32_e32 v18, 0x10c0, v88
	v_dot4c_i32_i8_e32 v116, v19, v9
	ds_read2_b32 v[14:15], v14 offset1:1
	ds_read2_b32 v[16:17], v16 offset1:1
	;; [unrolled: 1-line block ×3, first 2 shown]
	s_waitcnt lgkmcnt(3)
	v_dot4c_i32_i8_e32 v117, v10, v12
	v_dot4c_i32_i8_e32 v117, v11, v13
	s_waitcnt lgkmcnt(2)
	v_dot4c_i32_i8_e32 v117, v14, v6
	v_dot4c_i32_i8_e32 v117, v15, v7
	;; [unrolled: 3-line block ×3, first 2 shown]
	ds_read_b128 v[8:11], v84 offset:19072
	ds_read_b128 v[12:15], v84 offset:19088
	ds_read2_b32 v[6:7], v91 offset1:1
	ds_read2_b32 v[16:17], v90 offset0:2 offset1:3
	ds_read2_b32 v[98:99], v90 offset1:1
	ds_read2_b32 v[100:101], v89 offset0:2 offset1:3
	ds_read2_b32 v[102:103], v88 offset0:18 offset1:19
	s_waitcnt lgkmcnt(6)
	v_dot4c_i32_i8_e32 v118, v20, v8
	v_dot4c_i32_i8_e32 v118, v21, v9
	ds_read2_b32 v[20:21], v88 offset0:20 offset1:21
	ds_read2_b32 v[104:105], v88 offset0:22 offset1:23
	ds_read2_b32 v[106:107], v88 offset0:24 offset1:25
	v_dot4c_i32_i8_e32 v119, v18, v8
	s_waitcnt lgkmcnt(3)
	v_dot4c_i32_i8_e32 v118, v102, v10
	v_add_u32_e32 v18, 0x10c8, v88
	v_dot4c_i32_i8_e32 v118, v103, v11
	v_dot4c_i32_i8_e32 v119, v19, v9
	ds_read2_b32 v[18:19], v18 offset1:1
	s_waitcnt lgkmcnt(3)
	v_dot4c_i32_i8_e32 v118, v20, v12
	v_dot4c_i32_i8_e32 v118, v21, v13
	s_waitcnt lgkmcnt(2)
	v_dot4c_i32_i8_e32 v118, v104, v14
	v_add_u32_e32 v20, 0x10d0, v88
	v_add_u32_e32 v102, 0x10d8, v88
	;; [unrolled: 1-line block ×3, first 2 shown]
	v_dot4c_i32_i8_e32 v118, v105, v15
	ds_read2_b32 v[20:21], v20 offset1:1
	ds_read2_b32 v[102:103], v102 offset1:1
	;; [unrolled: 1-line block ×3, first 2 shown]
	s_waitcnt lgkmcnt(3)
	v_dot4c_i32_i8_e32 v119, v18, v10
	v_dot4c_i32_i8_e32 v119, v19, v11
	s_waitcnt lgkmcnt(2)
	v_dot4c_i32_i8_e32 v119, v20, v12
	v_dot4c_i32_i8_e32 v119, v21, v13
	v_mov_b32_e32 v120, 0
	s_waitcnt lgkmcnt(1)
	v_dot4c_i32_i8_e32 v119, v102, v14
	s_waitcnt lgkmcnt(0)
	v_dot4c_i32_i8_e32 v120, v104, v8
	v_add_u32_e32 v102, 0x2148, v88
	v_add_u32_e32 v104, 0x2150, v88
	;; [unrolled: 1-line block ×4, first 2 shown]
	v_dot4c_i32_i8_e32 v119, v103, v15
	ds_read2_b32 v[18:19], v92 offset1:1
	ds_read2_b32 v[20:21], v91 offset0:2 offset1:3
	v_dot4c_i32_i8_e32 v120, v105, v9
	ds_read2_b32 v[102:103], v102 offset1:1
	ds_read2_b32 v[104:105], v104 offset1:1
	;; [unrolled: 1-line block ×4, first 2 shown]
	v_mov_b32_e32 v121, 0
	v_mov_b32_e32 v122, 0
	v_mov_b32_e32 v123, 0
	s_waitcnt lgkmcnt(3)
	v_dot4c_i32_i8_e32 v120, v102, v10
	s_waitcnt lgkmcnt(0)
	v_dot4c_i32_i8_e32 v121, v110, v8
	v_add_u32_e32 v8, 0x31c8, v88
	v_dot4c_i32_i8_e32 v120, v103, v11
	v_dot4c_i32_i8_e32 v121, v111, v9
	ds_read2_b32 v[8:9], v8 offset1:1
	v_dot4c_i32_i8_e32 v120, v104, v12
	v_dot4c_i32_i8_e32 v120, v105, v13
	;; [unrolled: 1-line block ×3, first 2 shown]
	v_add_u32_e32 v102, 0x31d0, v88
	v_add_u32_e32 v104, 0x31d8, v88
	;; [unrolled: 1-line block ×3, first 2 shown]
	v_dot4c_i32_i8_e32 v120, v109, v15
	ds_read2_b32 v[102:103], v102 offset1:1
	ds_read2_b32 v[104:105], v104 offset1:1
	;; [unrolled: 1-line block ×3, first 2 shown]
	s_waitcnt lgkmcnt(3)
	v_dot4c_i32_i8_e32 v121, v8, v10
	v_dot4c_i32_i8_e32 v121, v9, v11
	ds_read_b128 v[8:11], v84 offset:19104
	s_waitcnt lgkmcnt(3)
	v_dot4c_i32_i8_e32 v121, v102, v12
	v_dot4c_i32_i8_e32 v121, v103, v13
	ds_read2_b32 v[102:103], v88 offset0:26 offset1:27
	s_waitcnt lgkmcnt(3)
	v_dot4c_i32_i8_e32 v121, v104, v14
	v_dot4c_i32_i8_e32 v121, v105, v15
	ds_read_b128 v[12:15], v84 offset:19120
	s_waitcnt lgkmcnt(2)
	v_dot4c_i32_i8_e32 v122, v106, v8
	v_dot4c_i32_i8_e32 v122, v107, v9
	ds_read2_b32 v[104:105], v88 offset0:28 offset1:29
	ds_read2_b32 v[106:107], v89 offset1:1
	ds_read2_b32 v[110:111], v88 offset0:30 offset1:31
	s_waitcnt lgkmcnt(4)
	v_dot4c_i32_i8_e32 v122, v102, v10
	v_add_u32_e32 v102, 0x10e8, v88
	v_dot4c_i32_i8_e32 v122, v103, v11
	ds_read2_b32 v[102:103], v102 offset1:1
	s_waitcnt lgkmcnt(3)
	v_dot4c_i32_i8_e32 v122, v104, v12
	v_dot4c_i32_i8_e32 v122, v105, v13
	s_waitcnt lgkmcnt(1)
	v_dot4c_i32_i8_e32 v122, v110, v14
	v_dot4c_i32_i8_e32 v123, v108, v8
	v_add_u32_e32 v104, 0x10f0, v88
	v_add_u32_e32 v108, 0x10f8, v88
	;; [unrolled: 1-line block ×3, first 2 shown]
	v_dot4c_i32_i8_e32 v122, v111, v15
	v_dot4c_i32_i8_e32 v123, v109, v9
	ds_read2_b32 v[104:105], v104 offset1:1
	ds_read2_b32 v[108:109], v108 offset1:1
	;; [unrolled: 1-line block ×3, first 2 shown]
	s_waitcnt lgkmcnt(3)
	v_dot4c_i32_i8_e32 v123, v102, v10
	v_dot4c_i32_i8_e32 v123, v103, v11
	s_waitcnt lgkmcnt(2)
	v_dot4c_i32_i8_e32 v123, v104, v12
	v_cvt_f32_i32_e32 v97, v97
	v_cvt_f32_i32_e32 v96, v96
	v_dot4c_i32_i8_e32 v123, v105, v13
	v_cvt_f32_i32_e32 v105, v115
	v_cvt_f32_i32_e32 v104, v114
	v_mov_b32_e32 v102, v106
	v_mov_b32_e32 v103, v98
	v_pk_mul_f32 v[102:103], v[2:3], v[102:103] op_sel_hi:[0,1]
	v_mov_b32_e32 v98, v107
	v_pk_fma_f32 v[50:51], v[102:103], v[96:97], v[50:51]
	v_pk_mul_f32 v[96:97], v[2:3], v[98:99] op_sel:[1,0]
	v_pk_fma_f32 v[50:51], v[96:97], v[104:105], v[50:51]
	v_cvt_f32_i32_e32 v97, v119
	v_cvt_f32_i32_e32 v96, v118
	s_waitcnt lgkmcnt(1)
	v_dot4c_i32_i8_e32 v123, v108, v14
	v_mov_b32_e32 v98, v100
	v_mov_b32_e32 v99, v16
	v_dot4c_i32_i8_e32 v123, v109, v15
	v_pk_mul_f32 v[98:99], v[4:5], v[98:99] op_sel_hi:[0,1]
	v_pk_fma_f32 v[50:51], v[98:99], v[96:97], v[50:51]
	v_cvt_f32_i32_e32 v96, v122
	v_cvt_f32_i32_e32 v97, v123
	v_mov_b32_e32 v98, v5
	v_mov_b32_e32 v16, v101
	v_pk_mul_f32 v[16:17], v[98:99], v[16:17] op_sel_hi:[0,1]
	v_add_u32_e32 v5, 0x2168, v88
	v_pk_fma_f32 v[50:51], v[16:17], v[96:97], v[50:51]
	ds_read2_b32 v[16:17], v5 offset1:1
	v_mov_b32_e32 v99, 0
	s_waitcnt lgkmcnt(1)
	v_dot4c_i32_i8_e32 v99, v110, v8
	v_add_u32_e32 v96, 0x2170, v88
	v_add_u32_e32 v100, 0x2178, v88
	v_dot4c_i32_i8_e32 v99, v111, v9
	v_add_u32_e32 v5, 0x31e0, v88
	ds_read2_b32 v[96:97], v96 offset1:1
	ds_read2_b32 v[100:101], v100 offset1:1
	;; [unrolled: 1-line block ×3, first 2 shown]
	s_waitcnt lgkmcnt(3)
	v_dot4c_i32_i8_e32 v99, v16, v10
	v_dot4c_i32_i8_e32 v99, v17, v11
	s_waitcnt lgkmcnt(2)
	v_dot4c_i32_i8_e32 v99, v96, v12
	v_dot4c_i32_i8_e32 v99, v97, v13
	s_waitcnt lgkmcnt(1)
	v_dot4c_i32_i8_e32 v99, v100, v14
	v_mov_b32_e32 v100, 0
	s_waitcnt lgkmcnt(0)
	v_dot4c_i32_i8_e32 v100, v102, v8
	v_add_u32_e32 v5, 0x31e8, v88
	v_dot4c_i32_i8_e32 v100, v103, v9
	ds_read2_b32 v[8:9], v5 offset1:1
	v_add_u32_e32 v5, 0x31f0, v88
	ds_read2_b32 v[16:17], v5 offset1:1
	v_add_u32_e32 v5, 0x31f8, v88
	ds_read2_b32 v[96:97], v5 offset1:1
	s_waitcnt lgkmcnt(2)
	v_dot4c_i32_i8_e32 v100, v8, v10
	v_dot4c_i32_i8_e32 v100, v9, v11
	s_waitcnt lgkmcnt(1)
	v_dot4c_i32_i8_e32 v100, v16, v12
	v_cvt_f32_i32_e32 v11, v113
	v_cvt_f32_i32_e32 v10, v112
	v_dot4c_i32_i8_e32 v100, v17, v13
	v_cvt_f32_i32_e32 v13, v117
	v_cvt_f32_i32_e32 v12, v116
	v_mov_b32_e32 v8, v6
	v_mov_b32_e32 v9, v18
	v_pk_mul_f32 v[8:9], v[2:3], v[8:9] op_sel_hi:[0,1]
	v_mov_b32_e32 v18, v7
	s_waitcnt lgkmcnt(0)
	v_dot4c_i32_i8_e32 v100, v96, v14
	v_pk_fma_f32 v[8:9], v[8:9], v[10:11], v[38:39]
	v_pk_mul_f32 v[2:3], v[2:3], v[18:19] op_sel:[1,0]
	v_dot4c_i32_i8_e32 v99, v101, v15
	v_dot4c_i32_i8_e32 v100, v97, v15
	v_pk_fma_f32 v[2:3], v[2:3], v[12:13], v[8:9]
	v_mov_b32_e32 v6, v20
	v_mov_b32_e32 v7, v64
	v_cvt_f32_i32_e32 v9, v121
	v_cvt_f32_i32_e32 v8, v120
	v_pk_mul_f32 v[4:5], v[4:5], v[6:7] op_sel_hi:[0,1]
	v_cvt_f32_i32_e32 v7, v100
	v_cvt_f32_i32_e32 v6, v99
	v_mov_b32_e32 v64, v21
	v_pk_fma_f32 v[2:3], v[4:5], v[8:9], v[2:3]
	v_pk_mul_f32 v[4:5], v[98:99], v[64:65] op_sel_hi:[0,1]
	v_pk_fma_f32 v[38:39], v[4:5], v[6:7], v[2:3]
	s_barrier
.LBB225_5:                              ;   in Loop: Header=BB225_6 Depth=1
	v_add_co_u32_e32 v24, vcc, 0x88, v24
	v_addc_co_u32_e32 v1, vcc, 0, v1, vcc
	v_add_co_u32_e32 v26, vcc, 0x88, v26
	v_addc_co_u32_e32 v25, vcc, 0, v25, vcc
	;; [unrolled: 2-line block ×17, first 2 shown]
	s_add_i32 s20, s20, 4
	s_addk_i32 s17, 0x80
	v_add_co_u32_e32 v62, vcc, 0x88, v62
	v_add_u32_e32 v66, 4, v66
	v_add_u32_e32 v67, 4, v67
	s_cmp_ge_i32 s20, s18
	v_addc_co_u32_e32 v61, vcc, 0, v61, vcc
	s_cbranch_scc1 .LBB225_12
.LBB225_6:                              ; =>This Inner Loop Header: Depth=1
	v_mov_b32_e32 v6, s19
	v_add_co_u32_e32 v2, vcc, s14, v24
	v_addc_co_u32_e32 v3, vcc, v1, v6, vcc
	global_load_dword v7, v[2:3], off
	v_add_co_u32_e32 v2, vcc, s14, v26
	v_addc_co_u32_e32 v3, vcc, v25, v6, vcc
	global_load_dword v8, v[2:3], off
	;; [unrolled: 3-line block ×15, first 2 shown]
	v_add_co_u32_e32 v2, vcc, s14, v58
	v_addc_co_u32_e32 v3, vcc, v57, v6, vcc
	v_add_co_u32_e32 v4, vcc, s14, v60
	v_addc_co_u32_e32 v5, vcc, v59, v6, vcc
	global_load_ushort v64, v[4:5], off
	v_add_co_u32_e32 v4, vcc, s14, v62
	v_addc_co_u32_e32 v5, vcc, v61, v6, vcc
	global_load_ushort v6, v[4:5], off
	global_load_dword v65, v[2:3], off
	s_cmp_lt_i32 s17, s15
	s_waitcnt vmcnt(17)
	ds_write_b32 v68, v7
	s_waitcnt vmcnt(16)
	ds_write_b32 v69, v8
	;; [unrolled: 2-line block ×15, first 2 shown]
	s_waitcnt vmcnt(2)
	v_cvt_f32_f16_e32 v2, v64
	s_waitcnt vmcnt(0)
	ds_write_b32 v83, v65
	ds_write_b32 v94, v2
	v_cvt_f32_f16_e32 v3, v6
	ds_write_b32 v95, v3
	s_cbranch_scc0 .LBB225_5
; %bb.7:                                ;   in Loop: Header=BB225_6 Depth=1
	v_cmp_gt_i32_e32 vcc, s9, v67
	s_and_b64 s[22:23], s[2:3], vcc
	s_and_saveexec_b64 s[4:5], s[22:23]
	s_cbranch_execz .LBB225_9
; %bb.8:                                ;   in Loop: Header=BB225_6 Depth=1
	v_add_u32_e32 v2, v93, v67
	v_mad_i64_i32 v[2:3], s[22:23], v2, 36, v[22:23]
	global_load_dword v2, v[2:3], off offset:4
	s_waitcnt vmcnt(0)
	ds_write_b32 v85, v2
.LBB225_9:                              ;   in Loop: Header=BB225_6 Depth=1
	s_or_b64 exec, exec, s[4:5]
	v_cmp_gt_i32_e32 vcc, s9, v66
	s_and_b64 s[4:5], s[2:3], vcc
	s_and_b64 s[22:23], s[0:1], s[4:5]
	s_and_saveexec_b64 s[4:5], s[22:23]
	s_cbranch_execz .LBB225_4
; %bb.10:                               ;   in Loop: Header=BB225_6 Depth=1
	v_add_u32_e32 v2, v93, v66
	v_mad_i64_i32 v[2:3], s[22:23], v2, 36, s[6:7]
	global_load_dword v2, v[2:3], off
	s_waitcnt vmcnt(0)
	v_cvt_f32_f16_e32 v2, v2
	ds_write_b32 v86, v2
	s_branch .LBB225_4
.LBB225_11:
	v_mov_b32_e32 v38, v39
	v_mov_b32_e32 v51, v39
	v_mov_b32_e32 v50, v39
.LBB225_12:
	s_mul_i32 s0, s11, s8
	s_waitcnt vmcnt(0)
	v_cmp_gt_i32_e32 vcc, s0, v63
	s_and_saveexec_b64 s[0:1], vcc
	s_cbranch_execz .LBB225_21
; %bb.13:
	v_and_b32_e32 v0, 0x3ff, v0
	v_add_u32_e32 v1, s16, v0
	v_mul_lo_u32 v0, v63, s10
	v_cmp_gt_u32_e32 vcc, s10, v1
	s_and_saveexec_b64 s[0:1], vcc
	s_cbranch_execz .LBB225_15
; %bb.14:
	v_bfe_u32 v2, v50, 16, 1
	s_movk_i32 s2, 0x7fff
	v_add3_u32 v2, v50, v2, s2
	v_lshrrev_b32_e32 v2, 16, v2
	v_mov_b32_e32 v3, 0x7fc0
	v_cmp_o_f32_e32 vcc, v50, v50
	v_cndmask_b32_e32 v4, v3, v2, vcc
	v_add_u32_e32 v2, v0, v1
	v_mov_b32_e32 v3, 0
	v_lshlrev_b64 v[2:3], 1, v[2:3]
	v_mov_b32_e32 v5, s13
	v_add_co_u32_e32 v2, vcc, s12, v2
	v_addc_co_u32_e32 v3, vcc, v5, v3, vcc
	global_store_short v[2:3], v4, off
.LBB225_15:
	s_or_b64 exec, exec, s[0:1]
	v_add_u32_e32 v2, 32, v1
	v_cmp_gt_u32_e32 vcc, s10, v2
	s_and_saveexec_b64 s[0:1], vcc
	s_cbranch_execz .LBB225_17
; %bb.16:
	v_bfe_u32 v3, v51, 16, 1
	s_movk_i32 s2, 0x7fff
	v_add3_u32 v3, v51, v3, s2
	v_lshrrev_b32_e32 v3, 16, v3
	v_mov_b32_e32 v4, 0x7fc0
	v_cmp_o_f32_e32 vcc, v51, v51
	v_cndmask_b32_e32 v4, v4, v3, vcc
	v_add_u32_e32 v2, v0, v2
	v_mov_b32_e32 v3, 0
	v_lshlrev_b64 v[2:3], 1, v[2:3]
	v_mov_b32_e32 v5, s13
	v_add_co_u32_e32 v2, vcc, s12, v2
	v_addc_co_u32_e32 v3, vcc, v5, v3, vcc
	global_store_short v[2:3], v4, off
.LBB225_17:
	s_or_b64 exec, exec, s[0:1]
	v_add_u32_e32 v2, 64, v1
	;; [unrolled: 21-line block ×3, first 2 shown]
	v_cmp_gt_u32_e32 vcc, s10, v1
	s_and_b64 exec, exec, vcc
	s_cbranch_execz .LBB225_21
; %bb.20:
	v_bfe_u32 v2, v39, 16, 1
	s_movk_i32 s0, 0x7fff
	v_add3_u32 v2, v39, v2, s0
	v_add_u32_e32 v0, v0, v1
	v_mov_b32_e32 v1, 0
	v_lshrrev_b32_e32 v2, 16, v2
	v_mov_b32_e32 v3, 0x7fc0
	v_cmp_o_f32_e32 vcc, v39, v39
	v_lshlrev_b64 v[0:1], 1, v[0:1]
	v_cndmask_b32_e32 v2, v3, v2, vcc
	v_mov_b32_e32 v3, s13
	v_add_co_u32_e32 v0, vcc, s12, v0
	v_addc_co_u32_e32 v1, vcc, v3, v1, vcc
	global_store_short v[0:1], v2, off
.LBB225_21:
	s_endpgm
	.section	.rodata,"a",@progbits
	.p2align	6, 0x0
	.amdhsa_kernel _ZL8moe_q8_0IN3c108BFloat16ELb0EEvPKvS3_PT_PKiS7_S7_iiiiiii
		.amdhsa_group_segment_fixed_size 20160
		.amdhsa_private_segment_fixed_size 0
		.amdhsa_kernarg_size 76
		.amdhsa_user_sgpr_count 6
		.amdhsa_user_sgpr_private_segment_buffer 1
		.amdhsa_user_sgpr_dispatch_ptr 0
		.amdhsa_user_sgpr_queue_ptr 0
		.amdhsa_user_sgpr_kernarg_segment_ptr 1
		.amdhsa_user_sgpr_dispatch_id 0
		.amdhsa_user_sgpr_flat_scratch_init 0
		.amdhsa_user_sgpr_kernarg_preload_length 0
		.amdhsa_user_sgpr_kernarg_preload_offset 0
		.amdhsa_user_sgpr_private_segment_size 0
		.amdhsa_uses_dynamic_stack 0
		.amdhsa_system_sgpr_private_segment_wavefront_offset 0
		.amdhsa_system_sgpr_workgroup_id_x 1
		.amdhsa_system_sgpr_workgroup_id_y 1
		.amdhsa_system_sgpr_workgroup_id_z 0
		.amdhsa_system_sgpr_workgroup_info 0
		.amdhsa_system_vgpr_workitem_id 1
		.amdhsa_next_free_vgpr 124
		.amdhsa_next_free_sgpr 24
		.amdhsa_accum_offset 124
		.amdhsa_reserve_vcc 1
		.amdhsa_reserve_flat_scratch 0
		.amdhsa_float_round_mode_32 0
		.amdhsa_float_round_mode_16_64 0
		.amdhsa_float_denorm_mode_32 3
		.amdhsa_float_denorm_mode_16_64 3
		.amdhsa_dx10_clamp 1
		.amdhsa_ieee_mode 1
		.amdhsa_fp16_overflow 0
		.amdhsa_tg_split 0
		.amdhsa_exception_fp_ieee_invalid_op 0
		.amdhsa_exception_fp_denorm_src 0
		.amdhsa_exception_fp_ieee_div_zero 0
		.amdhsa_exception_fp_ieee_overflow 0
		.amdhsa_exception_fp_ieee_underflow 0
		.amdhsa_exception_fp_ieee_inexact 0
		.amdhsa_exception_int_div_zero 0
	.end_amdhsa_kernel
	.section	.text._ZL8moe_q8_0IN3c108BFloat16ELb0EEvPKvS3_PT_PKiS7_S7_iiiiiii,"axG",@progbits,_ZL8moe_q8_0IN3c108BFloat16ELb0EEvPKvS3_PT_PKiS7_S7_iiiiiii,comdat
.Lfunc_end225:
	.size	_ZL8moe_q8_0IN3c108BFloat16ELb0EEvPKvS3_PT_PKiS7_S7_iiiiiii, .Lfunc_end225-_ZL8moe_q8_0IN3c108BFloat16ELb0EEvPKvS3_PT_PKiS7_S7_iiiiiii
                                        ; -- End function
	.section	.AMDGPU.csdata,"",@progbits
; Kernel info:
; codeLenInByte = 4912
; NumSgprs: 28
; NumVgprs: 124
; NumAgprs: 0
; TotalNumVgprs: 124
; ScratchSize: 0
; MemoryBound: 0
; FloatMode: 240
; IeeeMode: 1
; LDSByteSize: 20160 bytes/workgroup (compile time only)
; SGPRBlocks: 3
; VGPRBlocks: 15
; NumSGPRsForWavesPerEU: 28
; NumVGPRsForWavesPerEU: 124
; AccumOffset: 124
; Occupancy: 3
; WaveLimiterHint : 1
; COMPUTE_PGM_RSRC2:SCRATCH_EN: 0
; COMPUTE_PGM_RSRC2:USER_SGPR: 6
; COMPUTE_PGM_RSRC2:TRAP_HANDLER: 0
; COMPUTE_PGM_RSRC2:TGID_X_EN: 1
; COMPUTE_PGM_RSRC2:TGID_Y_EN: 1
; COMPUTE_PGM_RSRC2:TGID_Z_EN: 0
; COMPUTE_PGM_RSRC2:TIDIG_COMP_CNT: 1
; COMPUTE_PGM_RSRC3_GFX90A:ACCUM_OFFSET: 30
; COMPUTE_PGM_RSRC3_GFX90A:TG_SPLIT: 0
	.section	.text._ZL8moe_q8_0IN3c108BFloat16ELb1EEvPKvS3_PT_PKiS7_S7_iiiiiii,"axG",@progbits,_ZL8moe_q8_0IN3c108BFloat16ELb1EEvPKvS3_PT_PKiS7_S7_iiiiiii,comdat
	.globl	_ZL8moe_q8_0IN3c108BFloat16ELb1EEvPKvS3_PT_PKiS7_S7_iiiiiii ; -- Begin function _ZL8moe_q8_0IN3c108BFloat16ELb1EEvPKvS3_PT_PKiS7_S7_iiiiiii
	.p2align	8
	.type	_ZL8moe_q8_0IN3c108BFloat16ELb1EEvPKvS3_PT_PKiS7_S7_iiiiiii,@function
_ZL8moe_q8_0IN3c108BFloat16ELb1EEvPKvS3_PT_PKiS7_S7_iiiiiii: ; @_ZL8moe_q8_0IN3c108BFloat16ELb1EEvPKvS3_PT_PKiS7_S7_iiiiiii
; %bb.0:
	s_load_dwordx4 s[0:3], s[4:5], 0x18
	s_mov_b32 s8, s7
	s_mov_b32 s9, 0
	s_lshl_b64 s[10:11], s[8:9], 2
	s_waitcnt lgkmcnt(0)
	s_add_u32 s2, s2, s10
	s_addc_u32 s3, s3, s11
	s_load_dword s2, s[2:3], 0x0
	s_waitcnt lgkmcnt(0)
	s_cmpk_gt_u32 s2, 0xff
	s_cbranch_scc1 .LBB226_21
; %bb.1:
	s_load_dwordx2 s[10:11], s[4:5], 0x28
	s_lshl_b32 s3, s8, 3
	s_waitcnt lgkmcnt(0)
	s_load_dword s7, s[10:11], 0x0
	s_waitcnt lgkmcnt(0)
	s_cmp_gt_u32 s3, s7
	s_cbranch_scc1 .LBB226_21
; %bb.2:
	v_bfe_u32 v1, v0, 10, 10
	v_add_u32_e32 v70, s3, v1
	v_mov_b32_e32 v71, 0
	v_lshlrev_b64 v[2:3], 2, v[70:71]
	v_mov_b32_e32 v4, s1
	v_add_co_u32_e32 v2, vcc, s0, v2
	v_addc_co_u32_e32 v3, vcc, v4, v3, vcc
	global_load_dword v59, v[2:3], off
	s_load_dwordx8 s[8:15], s[4:5], 0x30
	s_load_dwordx2 s[16:17], s[4:5], 0x10
	s_waitcnt lgkmcnt(0)
	s_lshl_b32 s15, s6, 7
	s_mov_b32 s18, 0
	s_cmp_lt_i32 s9, 32
	s_cbranch_scc1 .LBB226_11
; %bb.3:
	s_ashr_i32 s0, s9, 31
	s_lshr_b32 s0, s0, 27
	s_add_i32 s0, s9, s0
	s_ashr_i32 s19, s0, 5
	s_ashr_i32 s0, s12, 31
	s_lshr_b32 s0, s0, 27
	s_add_i32 s0, s12, s0
	s_ashr_i32 s12, s0, 5
	s_not_b32 s0, s15
	s_mul_i32 s8, s2, s8
	s_add_i32 s2, s0, s10
	v_and_b32_e32 v61, 0x3ff, v0
	v_lshlrev_b32_e32 v2, 2, v61
	v_min_i32_e32 v3, s2, v1
	s_movk_i32 s3, 0x84
	v_mul_lo_u32 v4, v3, s19
	v_mad_u64_u32 v[22:23], s[0:1], v3, s3, v[2:3]
	v_add_u32_e32 v3, 8, v1
	v_min_i32_e32 v3, s2, v3
	v_mul_lo_u32 v7, v3, s19
	v_mad_u64_u32 v[24:25], s[0:1], v3, s3, v[2:3]
	v_add_u32_e32 v3, 16, v1
	v_min_i32_e32 v3, s2, v3
	v_mul_lo_u32 v8, v3, s19
	v_mad_u64_u32 v[26:27], s[0:1], v3, s3, v[2:3]
	v_add_u32_e32 v3, 24, v1
	v_min_i32_e32 v3, s2, v3
	v_mul_lo_u32 v9, v3, s19
	v_mad_u64_u32 v[28:29], s[0:1], v3, s3, v[2:3]
	v_add_u32_e32 v3, 32, v1
	v_min_i32_e32 v3, s2, v3
	v_mul_lo_u32 v10, v3, s19
	v_mad_u64_u32 v[30:31], s[0:1], v3, s3, v[2:3]
	v_add_u32_e32 v3, 40, v1
	v_min_i32_e32 v3, s2, v3
	v_mul_lo_u32 v11, v3, s19
	v_mad_u64_u32 v[32:33], s[0:1], v3, s3, v[2:3]
	v_add_u32_e32 v3, 48, v1
	v_min_i32_e32 v3, s2, v3
	v_mul_lo_u32 v12, v3, s19
	v_mad_u64_u32 v[34:35], s[0:1], v3, s3, v[2:3]
	v_add_u32_e32 v3, 56, v1
	v_min_i32_e32 v3, s2, v3
	v_mul_lo_u32 v13, v3, s19
	v_mad_u64_u32 v[36:37], s[0:1], v3, s3, v[2:3]
	v_add_u32_e32 v3, 64, v1
	v_min_i32_e32 v3, s2, v3
	v_mul_lo_u32 v14, v3, s19
	v_mad_u64_u32 v[38:39], s[0:1], v3, s3, v[2:3]
	v_add_u32_e32 v3, 0x48, v1
	v_min_i32_e32 v3, s2, v3
	v_mul_lo_u32 v15, v3, s19
	v_mad_u64_u32 v[40:41], s[0:1], v3, s3, v[2:3]
	v_add_u32_e32 v3, 0x50, v1
	v_min_i32_e32 v3, s2, v3
	v_mul_lo_u32 v16, v3, s19
	v_mad_u64_u32 v[42:43], s[0:1], v3, s3, v[2:3]
	v_add_u32_e32 v3, 0x58, v1
	v_min_i32_e32 v3, s2, v3
	v_mul_lo_u32 v17, v3, s19
	v_mad_u64_u32 v[44:45], s[0:1], v3, s3, v[2:3]
	v_add_u32_e32 v3, 0x60, v1
	v_min_i32_e32 v3, s2, v3
	v_mul_lo_u32 v18, v3, s19
	v_mad_u64_u32 v[46:47], s[0:1], v3, s3, v[2:3]
	v_add_u32_e32 v3, 0x68, v1
	v_min_i32_e32 v3, s2, v3
	v_mul_lo_u32 v19, v3, s19
	v_mad_u64_u32 v[48:49], s[0:1], v3, s3, v[2:3]
	v_add_u32_e32 v3, 0x70, v1
	v_min_i32_e32 v3, s2, v3
	v_mul_lo_u32 v20, v3, s19
	v_mad_u64_u32 v[50:51], s[0:1], v3, s3, v[2:3]
	v_add_u32_e32 v3, 0x78, v1
	v_min_i32_e32 v3, s2, v3
	v_and_b32_e32 v6, 28, v2
	v_mad_u64_u32 v[52:53], s[0:1], v3, s3, v[2:3]
	v_lshrrev_b32_e32 v2, 2, v61
	v_lshl_add_u32 v2, v1, 3, v2
	v_mul_lo_u32 v21, v3, s19
	v_min_i32_e32 v3, s2, v2
	v_ashrrev_i32_e32 v5, 31, v3
	v_add_u32_e32 v2, 64, v2
	v_lshrrev_b32_e32 v5, 29, v5
	v_min_i32_e32 v2, s2, v2
	s_load_dwordx4 s[4:7], s[4:5], 0x0
	v_mul_lo_u32 v53, v3, s19
	v_add_u32_e32 v5, v3, v5
	v_lshlrev_b32_e32 v71, 4, v3
	v_ashrrev_i32_e32 v3, 31, v2
	v_lshrrev_b32_e32 v3, 29, v3
	v_add_u32_e32 v3, v2, v3
	v_and_b32_e32 v57, 3, v61
	v_ashrrev_i32_e32 v3, 3, v3
	v_lshlrev_b32_e32 v23, 2, v57
	s_movk_i32 s3, 0x4200
	v_mul_lo_u32 v82, v2, s19
	v_lshlrev_b32_e32 v3, 2, v3
	v_lshlrev_b32_e32 v91, 4, v2
	v_and_b32_e32 v2, 31, v61
	v_lshlrev_b32_e32 v65, 7, v1
	v_add3_u32 v83, v3, v23, s3
	s_waitcnt lgkmcnt(0)
	v_mov_b32_e32 v3, s7
	v_add_co_u32_e32 v54, vcc, s6, v6
	v_lshl_or_b32 v2, v2, 2, v65
	v_lshrrev_b32_e32 v63, 3, v61
	v_addc_co_u32_e32 v55, vcc, 0, v3, vcc
	v_add_u32_e32 v67, 0x4a40, v2
	v_lshl_add_u32 v2, v1, 2, v61
	v_mov_b32_e32 v3, 0x4e40
	v_lshl_add_u32 v69, v2, 2, v3
	v_lshlrev_b32_e32 v73, 4, v1
	v_lshlrev_b32_e32 v1, 2, v63
	;; [unrolled: 1-line block ×3, first 2 shown]
	v_add3_u32 v77, v2, v1, s3
	v_add_u32_e32 v1, 32, v61
	v_lshrrev_b32_e32 v2, 1, v1
	v_and_b32_e32 v2, 0xfc, v2
	v_lshlrev_b32_e32 v1, 4, v1
	v_add3_u32 v79, v1, v2, s3
	v_add_u32_e32 v1, 64, v61
	v_lshrrev_b32_e32 v2, 1, v1
	v_and_b32_e32 v2, 0xfc, v2
	v_lshlrev_b32_e32 v1, 4, v1
	s_abs_i32 s2, s14
	v_add3_u32 v81, v1, v2, s3
	v_cvt_f32_u32_e32 v2, s2
	v_add_u32_e32 v1, 0x60, v61
	v_ashrrev_i32_e32 v5, 3, v5
	v_lshrrev_b32_e32 v3, 1, v1
	v_rcp_iflag_f32_e32 v2, v2
	v_lshlrev_b32_e32 v5, 2, v5
	v_and_b32_e32 v3, 0xfc, v3
	v_lshlrev_b32_e32 v1, 4, v1
	v_mul_f32_e32 v2, 0x4f7ffffe, v2
	v_cvt_u32_f32_e32 v2, v2
	v_add3_u32 v70, v5, v23, s3
	v_add3_u32 v85, v1, v3, s3
	s_sub_i32 s3, 0, s2
	v_mul_lo_u32 v5, s3, v2
	s_waitcnt vmcnt(0)
	v_sub_u32_e32 v3, 0, v59
	v_mul_hi_u32 v5, v2, v5
	v_max_i32_e32 v3, v59, v3
	v_add_u32_e32 v2, v2, v5
	v_mul_hi_u32 v2, v3, v2
	v_mul_lo_u32 v5, v2, s2
	v_sub_u32_e32 v3, v3, v5
	v_add_u32_e32 v5, 1, v2
	v_cmp_le_u32_e32 vcc, s2, v3
	v_cndmask_b32_e32 v2, v2, v5, vcc
	v_subrev_u32_e32 v5, s2, v3
	v_cndmask_b32_e32 v3, v3, v5, vcc
	v_xor_b32_e32 v1, s14, v59
	v_add_u32_e32 v5, 1, v2
	v_cmp_le_u32_e32 vcc, s2, v3
	s_mul_i32 s21, s19, s15
	v_ashrrev_i32_e32 v1, 31, v1
	v_cndmask_b32_e32 v2, v2, v5, vcc
	v_xor_b32_e32 v2, v2, v1
	s_mul_hi_i32 s10, s21, 34
	s_mul_i32 s22, s21, 34
	v_sub_u32_e32 v1, v2, v1
	v_mov_b32_e32 v2, s22
	v_mov_b32_e32 v3, s10
	v_mad_u64_u32 v[2:3], s[22:23], v63, 34, v[2:3]
	v_mad_i64_i32 v[4:5], s[22:23], v4, 34, v[2:3]
	v_cmp_gt_i32_e64 s[2:3], s11, v1
	v_mul_lo_u32 v87, v1, s12
	v_add_co_u32_e32 v1, vcc, v4, v6
	v_addc_co_u32_e32 v4, vcc, 0, v5, vcc
	v_mov_b32_e32 v51, s5
	v_add_co_u32_e32 v1, vcc, s4, v1
	v_addc_co_u32_e32 v4, vcc, v4, v51, vcc
	v_add_co_u32_e32 v56, vcc, 2, v1
	v_addc_co_u32_e32 v1, vcc, 0, v4, vcc
	v_mad_i64_i32 v[4:5], s[22:23], v7, 34, v[2:3]
	v_add_co_u32_e32 v4, vcc, v4, v6
	v_addc_co_u32_e32 v5, vcc, 0, v5, vcc
	v_add_co_u32_e32 v4, vcc, s4, v4
	v_addc_co_u32_e32 v5, vcc, v5, v51, vcc
	v_add_co_u32_e32 v58, vcc, 2, v4
	v_addc_co_u32_e32 v23, vcc, 0, v5, vcc
	v_mad_i64_i32 v[4:5], s[22:23], v8, 34, v[2:3]
	v_add_co_u32_e32 v4, vcc, v4, v6
	v_addc_co_u32_e32 v5, vcc, 0, v5, vcc
	;; [unrolled: 7-line block ×15, first 2 shown]
	v_add_co_u32_e32 v2, vcc, s4, v2
	v_addc_co_u32_e32 v3, vcc, v3, v51, vcc
	v_add_co_u32_e32 v90, vcc, 2, v2
	v_addc_co_u32_e32 v51, vcc, 0, v3, vcc
	v_mad_i64_i32 v[2:3], s[22:23], v53, 34, 0
	v_mad_i64_i32 v[2:3], s[22:23], s21, 34, v[2:3]
	v_mad_u64_u32 v[2:3], s[22:23], v57, 34, v[2:3]
	v_mov_b32_e32 v4, s5
	v_add_co_u32_e32 v92, vcc, s4, v2
	v_addc_co_u32_e32 v53, vcc, v4, v3, vcc
	v_mad_i64_i32 v[2:3], s[22:23], v82, 34, 0
	v_mad_i64_i32 v[2:3], s[22:23], s21, 34, v[2:3]
	v_mad_u64_u32 v[2:3], s[22:23], v57, 34, v[2:3]
	v_add_co_u32_e32 v94, vcc, s4, v2
	v_mov_b32_e32 v82, 0
	s_ashr_i32 s20, s8, 31
	v_cmp_gt_u32_e64 s[0:1], 4, v61
	v_mul_u32_u24_e32 v75, 0x84, v61
	v_addc_co_u32_e32 v57, vcc, v4, v3, vcc
	v_add_u32_e32 v89, v70, v71
	v_add_u32_e32 v91, v83, v91
	s_mov_b32 s10, 0
	v_mov_b32_e32 v83, v82
	v_mov_b32_e32 v70, v82
	;; [unrolled: 1-line block ×3, first 2 shown]
	s_branch .LBB226_6
.LBB226_4:                              ;   in Loop: Header=BB226_6 Depth=1
	s_or_b64 exec, exec, s[4:5]
	s_waitcnt lgkmcnt(0)
	s_barrier
	ds_read_b128 v[2:5], v73 offset:20032
	ds_read2_b32 v[96:97], v75 offset1:1
	ds_read_b128 v[18:21], v65 offset:19008
	ds_read_b128 v[14:17], v65 offset:19024
	;; [unrolled: 1-line block ×4, first 2 shown]
	ds_read2_b32 v[98:99], v75 offset0:2 offset1:3
	v_mov_b32_e32 v93, 0
	s_waitcnt lgkmcnt(4)
	v_dot4c_i32_i8_e32 v93, v96, v18
	v_dot4c_i32_i8_e32 v93, v97, v19
	v_add_u32_e32 v95, 0x1080, v75
	s_waitcnt lgkmcnt(0)
	v_dot4c_i32_i8_e32 v93, v98, v20
	ds_read2_b32 v[96:97], v75 offset0:4 offset1:5
	ds_read2_b32 v[100:101], v75 offset0:6 offset1:7
	;; [unrolled: 1-line block ×3, first 2 shown]
	v_dot4c_i32_i8_e32 v93, v99, v21
	ds_read2_b32 v[98:99], v95 offset1:1
	s_waitcnt lgkmcnt(3)
	v_dot4c_i32_i8_e32 v93, v96, v14
	v_dot4c_i32_i8_e32 v93, v97, v15
	ds_read2_b32 v[96:97], v85 offset0:2 offset1:3
	v_mov_b32_e32 v95, 0
	s_waitcnt lgkmcnt(1)
	v_dot4c_i32_i8_e32 v95, v98, v18
	v_add_u32_e32 v98, 0x1088, v75
	v_dot4c_i32_i8_e32 v95, v99, v19
	ds_read2_b32 v[98:99], v98 offset1:1
	v_dot4c_i32_i8_e32 v93, v100, v16
	v_add_u32_e32 v100, 0x1090, v75
	v_add_u32_e32 v104, 0x1098, v75
	;; [unrolled: 1-line block ×3, first 2 shown]
	v_dot4c_i32_i8_e32 v93, v101, v17
	ds_read2_b32 v[100:101], v100 offset1:1
	ds_read2_b32 v[104:105], v104 offset1:1
	;; [unrolled: 1-line block ×3, first 2 shown]
	s_waitcnt lgkmcnt(3)
	v_dot4c_i32_i8_e32 v95, v98, v20
	v_dot4c_i32_i8_e32 v95, v99, v21
	s_waitcnt lgkmcnt(2)
	v_dot4c_i32_i8_e32 v95, v100, v14
	v_dot4c_i32_i8_e32 v95, v101, v15
	v_mov_b32_e32 v112, 0
	s_waitcnt lgkmcnt(1)
	v_dot4c_i32_i8_e32 v95, v104, v16
	s_waitcnt lgkmcnt(0)
	v_dot4c_i32_i8_e32 v112, v106, v18
	v_add_u32_e32 v98, 0x2108, v75
	v_add_u32_e32 v100, 0x2110, v75
	;; [unrolled: 1-line block ×4, first 2 shown]
	v_dot4c_i32_i8_e32 v95, v105, v17
	v_dot4c_i32_i8_e32 v112, v107, v19
	ds_read2_b32 v[98:99], v98 offset1:1
	ds_read2_b32 v[100:101], v100 offset1:1
	;; [unrolled: 1-line block ×4, first 2 shown]
	v_mov_b32_e32 v113, 0
	v_mov_b32_e32 v114, 0
	v_dot4c_i32_i8_e32 v114, v102, v10
	s_waitcnt lgkmcnt(3)
	v_dot4c_i32_i8_e32 v112, v98, v20
	s_waitcnt lgkmcnt(0)
	v_dot4c_i32_i8_e32 v113, v106, v18
	v_add_u32_e32 v18, 0x3188, v75
	v_dot4c_i32_i8_e32 v112, v99, v21
	v_dot4c_i32_i8_e32 v113, v107, v19
	ds_read2_b32 v[18:19], v18 offset1:1
	v_dot4c_i32_i8_e32 v112, v100, v14
	v_dot4c_i32_i8_e32 v112, v101, v15
	;; [unrolled: 1-line block ×3, first 2 shown]
	v_add_u32_e32 v98, 0x3190, v75
	v_add_u32_e32 v100, 0x3198, v75
	;; [unrolled: 1-line block ×3, first 2 shown]
	v_dot4c_i32_i8_e32 v112, v105, v17
	ds_read2_b32 v[98:99], v98 offset1:1
	ds_read2_b32 v[100:101], v100 offset1:1
	;; [unrolled: 1-line block ×3, first 2 shown]
	s_waitcnt lgkmcnt(3)
	v_dot4c_i32_i8_e32 v113, v18, v20
	v_dot4c_i32_i8_e32 v113, v19, v21
	s_waitcnt lgkmcnt(2)
	v_dot4c_i32_i8_e32 v113, v98, v14
	v_dot4c_i32_i8_e32 v113, v99, v15
	ds_read2_b32 v[14:15], v75 offset0:10 offset1:11
	s_waitcnt lgkmcnt(2)
	v_dot4c_i32_i8_e32 v113, v100, v16
	v_dot4c_i32_i8_e32 v113, v101, v17
	;; [unrolled: 1-line block ×3, first 2 shown]
	ds_read2_b32 v[16:17], v75 offset0:12 offset1:13
	ds_read2_b32 v[18:19], v75 offset0:14 offset1:15
	ds_read2_b32 v[20:21], v75 offset0:16 offset1:17
	s_waitcnt lgkmcnt(3)
	v_dot4c_i32_i8_e32 v114, v14, v12
	v_add_u32_e32 v14, 0x10a8, v75
	v_dot4c_i32_i8_e32 v114, v15, v13
	ds_read2_b32 v[14:15], v14 offset1:1
	s_waitcnt lgkmcnt(3)
	v_dot4c_i32_i8_e32 v114, v16, v6
	v_dot4c_i32_i8_e32 v114, v17, v7
	v_mov_b32_e32 v115, 0
	s_waitcnt lgkmcnt(2)
	v_dot4c_i32_i8_e32 v114, v18, v8
	v_dot4c_i32_i8_e32 v115, v104, v10
	v_add_u32_e32 v16, 0x10b0, v75
	v_add_u32_e32 v18, 0x10b8, v75
	;; [unrolled: 1-line block ×3, first 2 shown]
	v_dot4c_i32_i8_e32 v114, v19, v9
	v_dot4c_i32_i8_e32 v115, v105, v11
	ds_read2_b32 v[16:17], v16 offset1:1
	ds_read2_b32 v[18:19], v18 offset1:1
	;; [unrolled: 1-line block ×3, first 2 shown]
	s_waitcnt lgkmcnt(3)
	v_dot4c_i32_i8_e32 v115, v14, v12
	v_dot4c_i32_i8_e32 v115, v15, v13
	s_waitcnt lgkmcnt(2)
	v_dot4c_i32_i8_e32 v115, v16, v6
	v_dot4c_i32_i8_e32 v115, v17, v7
	v_mov_b32_e32 v116, 0
	s_waitcnt lgkmcnt(1)
	v_dot4c_i32_i8_e32 v115, v18, v8
	s_waitcnt lgkmcnt(0)
	v_dot4c_i32_i8_e32 v116, v98, v10
	v_add_u32_e32 v14, 0x2128, v75
	v_add_u32_e32 v16, 0x2130, v75
	;; [unrolled: 1-line block ×4, first 2 shown]
	v_dot4c_i32_i8_e32 v115, v19, v9
	v_dot4c_i32_i8_e32 v116, v99, v11
	ds_read2_b32 v[14:15], v14 offset1:1
	ds_read2_b32 v[16:17], v16 offset1:1
	;; [unrolled: 1-line block ×4, first 2 shown]
	v_mov_b32_e32 v117, 0
	v_mov_b32_e32 v118, 0
	;; [unrolled: 1-line block ×3, first 2 shown]
	s_waitcnt lgkmcnt(3)
	v_dot4c_i32_i8_e32 v116, v14, v12
	s_waitcnt lgkmcnt(0)
	v_dot4c_i32_i8_e32 v117, v98, v10
	v_add_u32_e32 v10, 0x31a8, v75
	v_dot4c_i32_i8_e32 v116, v15, v13
	v_dot4c_i32_i8_e32 v117, v99, v11
	ds_read2_b32 v[10:11], v10 offset1:1
	v_dot4c_i32_i8_e32 v116, v16, v6
	v_dot4c_i32_i8_e32 v116, v17, v7
	;; [unrolled: 1-line block ×3, first 2 shown]
	v_add_u32_e32 v14, 0x31b0, v75
	v_add_u32_e32 v16, 0x31b8, v75
	;; [unrolled: 1-line block ×3, first 2 shown]
	v_dot4c_i32_i8_e32 v116, v19, v9
	ds_read2_b32 v[14:15], v14 offset1:1
	ds_read2_b32 v[16:17], v16 offset1:1
	;; [unrolled: 1-line block ×3, first 2 shown]
	s_waitcnt lgkmcnt(3)
	v_dot4c_i32_i8_e32 v117, v10, v12
	v_dot4c_i32_i8_e32 v117, v11, v13
	s_waitcnt lgkmcnt(2)
	v_dot4c_i32_i8_e32 v117, v14, v6
	v_dot4c_i32_i8_e32 v117, v15, v7
	;; [unrolled: 3-line block ×3, first 2 shown]
	ds_read_b128 v[8:11], v65 offset:19072
	ds_read_b128 v[12:15], v65 offset:19088
	ds_read2_b32 v[6:7], v81 offset1:1
	ds_read2_b32 v[16:17], v79 offset0:2 offset1:3
	ds_read2_b32 v[98:99], v79 offset1:1
	ds_read2_b32 v[100:101], v77 offset0:2 offset1:3
	ds_read2_b32 v[102:103], v75 offset0:18 offset1:19
	s_waitcnt lgkmcnt(6)
	v_dot4c_i32_i8_e32 v118, v20, v8
	v_dot4c_i32_i8_e32 v118, v21, v9
	ds_read2_b32 v[20:21], v75 offset0:20 offset1:21
	ds_read2_b32 v[104:105], v75 offset0:22 offset1:23
	;; [unrolled: 1-line block ×3, first 2 shown]
	v_dot4c_i32_i8_e32 v119, v18, v8
	s_waitcnt lgkmcnt(3)
	v_dot4c_i32_i8_e32 v118, v102, v10
	v_add_u32_e32 v18, 0x10c8, v75
	v_dot4c_i32_i8_e32 v118, v103, v11
	v_dot4c_i32_i8_e32 v119, v19, v9
	ds_read2_b32 v[18:19], v18 offset1:1
	s_waitcnt lgkmcnt(3)
	v_dot4c_i32_i8_e32 v118, v20, v12
	v_dot4c_i32_i8_e32 v118, v21, v13
	s_waitcnt lgkmcnt(2)
	v_dot4c_i32_i8_e32 v118, v104, v14
	v_add_u32_e32 v20, 0x10d0, v75
	v_add_u32_e32 v102, 0x10d8, v75
	;; [unrolled: 1-line block ×3, first 2 shown]
	v_dot4c_i32_i8_e32 v118, v105, v15
	ds_read2_b32 v[20:21], v20 offset1:1
	ds_read2_b32 v[102:103], v102 offset1:1
	;; [unrolled: 1-line block ×3, first 2 shown]
	s_waitcnt lgkmcnt(3)
	v_dot4c_i32_i8_e32 v119, v18, v10
	v_dot4c_i32_i8_e32 v119, v19, v11
	s_waitcnt lgkmcnt(2)
	v_dot4c_i32_i8_e32 v119, v20, v12
	v_dot4c_i32_i8_e32 v119, v21, v13
	v_mov_b32_e32 v120, 0
	s_waitcnt lgkmcnt(1)
	v_dot4c_i32_i8_e32 v119, v102, v14
	s_waitcnt lgkmcnt(0)
	v_dot4c_i32_i8_e32 v120, v104, v8
	v_add_u32_e32 v102, 0x2148, v75
	v_add_u32_e32 v104, 0x2150, v75
	;; [unrolled: 1-line block ×4, first 2 shown]
	v_dot4c_i32_i8_e32 v119, v103, v15
	ds_read2_b32 v[18:19], v85 offset1:1
	ds_read2_b32 v[20:21], v81 offset0:2 offset1:3
	v_dot4c_i32_i8_e32 v120, v105, v9
	ds_read2_b32 v[102:103], v102 offset1:1
	ds_read2_b32 v[104:105], v104 offset1:1
	;; [unrolled: 1-line block ×4, first 2 shown]
	v_mov_b32_e32 v121, 0
	v_mov_b32_e32 v122, 0
	v_mov_b32_e32 v123, 0
	s_waitcnt lgkmcnt(3)
	v_dot4c_i32_i8_e32 v120, v102, v10
	s_waitcnt lgkmcnt(0)
	v_dot4c_i32_i8_e32 v121, v110, v8
	v_add_u32_e32 v8, 0x31c8, v75
	v_dot4c_i32_i8_e32 v120, v103, v11
	v_dot4c_i32_i8_e32 v121, v111, v9
	ds_read2_b32 v[8:9], v8 offset1:1
	v_dot4c_i32_i8_e32 v120, v104, v12
	v_dot4c_i32_i8_e32 v120, v105, v13
	;; [unrolled: 1-line block ×3, first 2 shown]
	v_add_u32_e32 v102, 0x31d0, v75
	v_add_u32_e32 v104, 0x31d8, v75
	;; [unrolled: 1-line block ×3, first 2 shown]
	v_dot4c_i32_i8_e32 v120, v109, v15
	ds_read2_b32 v[102:103], v102 offset1:1
	ds_read2_b32 v[104:105], v104 offset1:1
	;; [unrolled: 1-line block ×3, first 2 shown]
	s_waitcnt lgkmcnt(3)
	v_dot4c_i32_i8_e32 v121, v8, v10
	v_dot4c_i32_i8_e32 v121, v9, v11
	ds_read_b128 v[8:11], v65 offset:19104
	s_waitcnt lgkmcnt(3)
	v_dot4c_i32_i8_e32 v121, v102, v12
	v_dot4c_i32_i8_e32 v121, v103, v13
	ds_read2_b32 v[102:103], v75 offset0:26 offset1:27
	s_waitcnt lgkmcnt(3)
	v_dot4c_i32_i8_e32 v121, v104, v14
	v_dot4c_i32_i8_e32 v121, v105, v15
	ds_read_b128 v[12:15], v65 offset:19120
	s_waitcnt lgkmcnt(2)
	v_dot4c_i32_i8_e32 v122, v106, v8
	v_dot4c_i32_i8_e32 v122, v107, v9
	ds_read2_b32 v[104:105], v75 offset0:28 offset1:29
	ds_read2_b32 v[106:107], v77 offset1:1
	ds_read2_b32 v[110:111], v75 offset0:30 offset1:31
	s_waitcnt lgkmcnt(4)
	v_dot4c_i32_i8_e32 v122, v102, v10
	v_add_u32_e32 v102, 0x10e8, v75
	v_dot4c_i32_i8_e32 v122, v103, v11
	ds_read2_b32 v[102:103], v102 offset1:1
	s_waitcnt lgkmcnt(3)
	v_dot4c_i32_i8_e32 v122, v104, v12
	v_dot4c_i32_i8_e32 v122, v105, v13
	s_waitcnt lgkmcnt(1)
	v_dot4c_i32_i8_e32 v122, v110, v14
	v_dot4c_i32_i8_e32 v123, v108, v8
	v_add_u32_e32 v104, 0x10f0, v75
	v_add_u32_e32 v108, 0x10f8, v75
	;; [unrolled: 1-line block ×3, first 2 shown]
	v_dot4c_i32_i8_e32 v122, v111, v15
	v_dot4c_i32_i8_e32 v123, v109, v9
	ds_read2_b32 v[104:105], v104 offset1:1
	ds_read2_b32 v[108:109], v108 offset1:1
	;; [unrolled: 1-line block ×3, first 2 shown]
	s_waitcnt lgkmcnt(3)
	v_dot4c_i32_i8_e32 v123, v102, v10
	v_dot4c_i32_i8_e32 v123, v103, v11
	s_waitcnt lgkmcnt(2)
	v_dot4c_i32_i8_e32 v123, v104, v12
	v_dot4c_i32_i8_e32 v123, v105, v13
	s_waitcnt lgkmcnt(1)
	v_dot4c_i32_i8_e32 v123, v108, v14
	v_cvt_f32_i32_e32 v105, v95
	v_cvt_f32_i32_e32 v104, v93
	v_dot4c_i32_i8_e32 v123, v109, v15
	v_cvt_f32_i32_e32 v109, v115
	v_cvt_f32_i32_e32 v108, v114
	v_mov_b32_e32 v102, v106
	v_mov_b32_e32 v103, v98
	v_pk_mul_f32 v[102:103], v[2:3], v[102:103] op_sel_hi:[0,1]
	v_mov_b32_e32 v98, v107
	v_pk_fma_f32 v[82:83], v[102:103], v[104:105], v[82:83]
	v_pk_mul_f32 v[98:99], v[2:3], v[98:99] op_sel:[1,0]
	v_pk_fma_f32 v[82:83], v[98:99], v[108:109], v[82:83]
	v_cvt_f32_i32_e32 v99, v119
	v_cvt_f32_i32_e32 v98, v118
	v_mov_b32_e32 v102, v100
	v_mov_b32_e32 v103, v16
	v_pk_mul_f32 v[102:103], v[4:5], v[102:103] op_sel_hi:[0,1]
	v_pk_fma_f32 v[82:83], v[102:103], v[98:99], v[82:83]
	v_cvt_f32_i32_e32 v99, v123
	v_cvt_f32_i32_e32 v98, v122
	v_mov_b32_e32 v100, v5
	v_mov_b32_e32 v16, v101
	v_pk_mul_f32 v[16:17], v[100:101], v[16:17] op_sel_hi:[0,1]
	v_add_u32_e32 v5, 0x2168, v75
	v_add_u32_e32 v95, 0x2170, v75
	v_pk_fma_f32 v[82:83], v[16:17], v[98:99], v[82:83]
	v_add_u32_e32 v101, 0x2178, v75
	ds_read2_b32 v[16:17], v5 offset1:1
	v_add_u32_e32 v5, 0x31e0, v75
	ds_read2_b32 v[98:99], v95 offset1:1
	ds_read2_b32 v[102:103], v101 offset1:1
	;; [unrolled: 1-line block ×3, first 2 shown]
	v_mov_b32_e32 v93, 0
	v_mov_b32_e32 v95, 0
	s_waitcnt lgkmcnt(4)
	v_dot4c_i32_i8_e32 v93, v110, v8
	v_add_u32_e32 v5, 0x31e8, v75
	s_waitcnt lgkmcnt(0)
	v_dot4c_i32_i8_e32 v95, v104, v8
	v_dot4c_i32_i8_e32 v93, v111, v9
	;; [unrolled: 1-line block ×3, first 2 shown]
	ds_read2_b32 v[8:9], v5 offset1:1
	v_dot4c_i32_i8_e32 v93, v16, v10
	v_add_u32_e32 v5, 0x31f0, v75
	v_dot4c_i32_i8_e32 v93, v17, v11
	ds_read2_b32 v[16:17], v5 offset1:1
	v_dot4c_i32_i8_e32 v93, v98, v12
	v_add_u32_e32 v5, 0x31f8, v75
	s_waitcnt lgkmcnt(1)
	v_dot4c_i32_i8_e32 v95, v8, v10
	v_dot4c_i32_i8_e32 v93, v99, v13
	ds_read2_b32 v[98:99], v5 offset1:1
	v_dot4c_i32_i8_e32 v95, v9, v11
	s_waitcnt lgkmcnt(1)
	v_dot4c_i32_i8_e32 v95, v16, v12
	v_cvt_f32_i32_e32 v11, v113
	v_cvt_f32_i32_e32 v10, v112
	v_dot4c_i32_i8_e32 v95, v17, v13
	v_cvt_f32_i32_e32 v13, v117
	v_cvt_f32_i32_e32 v12, v116
	v_mov_b32_e32 v8, v6
	v_mov_b32_e32 v9, v18
	v_pk_mul_f32 v[8:9], v[2:3], v[8:9] op_sel_hi:[0,1]
	v_mov_b32_e32 v18, v7
	v_dot4c_i32_i8_e32 v93, v102, v14
	s_waitcnt lgkmcnt(0)
	v_dot4c_i32_i8_e32 v95, v98, v14
	v_pk_fma_f32 v[8:9], v[8:9], v[10:11], v[70:71]
	v_pk_mul_f32 v[2:3], v[2:3], v[18:19] op_sel:[1,0]
	v_dot4c_i32_i8_e32 v93, v103, v15
	v_dot4c_i32_i8_e32 v95, v99, v15
	v_pk_fma_f32 v[2:3], v[2:3], v[12:13], v[8:9]
	v_mov_b32_e32 v6, v20
	v_mov_b32_e32 v7, v96
	v_cvt_f32_i32_e32 v9, v121
	v_cvt_f32_i32_e32 v8, v120
	v_pk_mul_f32 v[4:5], v[4:5], v[6:7] op_sel_hi:[0,1]
	v_cvt_f32_i32_e32 v7, v95
	v_cvt_f32_i32_e32 v6, v93
	v_mov_b32_e32 v96, v21
	v_pk_fma_f32 v[2:3], v[4:5], v[8:9], v[2:3]
	v_pk_mul_f32 v[4:5], v[100:101], v[96:97] op_sel_hi:[0,1]
	v_pk_fma_f32 v[70:71], v[4:5], v[6:7], v[2:3]
	s_barrier
.LBB226_5:                              ;   in Loop: Header=BB226_6 Depth=1
	v_add_co_u32_e32 v56, vcc, 0x88, v56
	v_addc_co_u32_e32 v1, vcc, 0, v1, vcc
	v_add_co_u32_e32 v58, vcc, 0x88, v58
	v_addc_co_u32_e32 v23, vcc, 0, v23, vcc
	;; [unrolled: 2-line block ×17, first 2 shown]
	s_add_i32 s10, s10, 4
	s_addk_i32 s18, 0x80
	v_add_co_u32_e32 v94, vcc, 0x88, v94
	v_add_u32_e32 v61, 4, v61
	v_add_u32_e32 v63, 4, v63
	s_cmp_ge_i32 s10, s19
	v_addc_co_u32_e32 v57, vcc, 0, v57, vcc
	s_cbranch_scc1 .LBB226_12
.LBB226_6:                              ; =>This Inner Loop Header: Depth=1
	v_mov_b32_e32 v6, s20
	v_add_co_u32_e32 v2, vcc, s8, v56
	v_addc_co_u32_e32 v3, vcc, v1, v6, vcc
	global_load_dword v7, v[2:3], off
	v_add_co_u32_e32 v2, vcc, s8, v58
	v_addc_co_u32_e32 v3, vcc, v23, v6, vcc
	global_load_dword v8, v[2:3], off
	v_add_co_u32_e32 v2, vcc, s8, v60
	v_addc_co_u32_e32 v3, vcc, v25, v6, vcc
	global_load_dword v9, v[2:3], off
	v_add_co_u32_e32 v2, vcc, s8, v62
	v_addc_co_u32_e32 v3, vcc, v27, v6, vcc
	global_load_dword v10, v[2:3], off
	v_add_co_u32_e32 v2, vcc, s8, v64
	v_addc_co_u32_e32 v3, vcc, v29, v6, vcc
	global_load_dword v11, v[2:3], off
	v_add_co_u32_e32 v2, vcc, s8, v66
	v_addc_co_u32_e32 v3, vcc, v31, v6, vcc
	global_load_dword v12, v[2:3], off
	v_add_co_u32_e32 v2, vcc, s8, v68
	v_addc_co_u32_e32 v3, vcc, v33, v6, vcc
	global_load_dword v13, v[2:3], off
	v_add_co_u32_e32 v2, vcc, s8, v72
	v_addc_co_u32_e32 v3, vcc, v35, v6, vcc
	global_load_dword v14, v[2:3], off
	v_add_co_u32_e32 v2, vcc, s8, v74
	v_addc_co_u32_e32 v3, vcc, v37, v6, vcc
	global_load_dword v15, v[2:3], off
	v_add_co_u32_e32 v2, vcc, s8, v76
	v_addc_co_u32_e32 v3, vcc, v39, v6, vcc
	global_load_dword v16, v[2:3], off
	v_add_co_u32_e32 v2, vcc, s8, v78
	v_addc_co_u32_e32 v3, vcc, v41, v6, vcc
	global_load_dword v17, v[2:3], off
	v_add_co_u32_e32 v2, vcc, s8, v80
	v_addc_co_u32_e32 v3, vcc, v43, v6, vcc
	global_load_dword v18, v[2:3], off
	v_add_co_u32_e32 v2, vcc, s8, v84
	v_addc_co_u32_e32 v3, vcc, v45, v6, vcc
	global_load_dword v19, v[2:3], off
	v_add_co_u32_e32 v2, vcc, s8, v86
	v_addc_co_u32_e32 v3, vcc, v47, v6, vcc
	global_load_dword v20, v[2:3], off
	v_add_co_u32_e32 v2, vcc, s8, v88
	v_addc_co_u32_e32 v3, vcc, v49, v6, vcc
	global_load_dword v21, v[2:3], off
	v_add_co_u32_e32 v2, vcc, s8, v90
	v_addc_co_u32_e32 v3, vcc, v51, v6, vcc
	v_add_co_u32_e32 v4, vcc, s8, v92
	v_addc_co_u32_e32 v5, vcc, v53, v6, vcc
	global_load_ushort v93, v[4:5], off
	v_add_co_u32_e32 v4, vcc, s8, v94
	v_addc_co_u32_e32 v5, vcc, v57, v6, vcc
	global_load_ushort v6, v[4:5], off
	global_load_dword v95, v[2:3], off
	s_cmp_lt_i32 s18, s9
	s_waitcnt vmcnt(17)
	ds_write_b32 v22, v7
	s_waitcnt vmcnt(16)
	ds_write_b32 v24, v8
	;; [unrolled: 2-line block ×15, first 2 shown]
	s_waitcnt vmcnt(2)
	v_cvt_f32_f16_e32 v2, v93
	s_waitcnt vmcnt(0)
	ds_write_b32 v52, v95
	ds_write_b32 v89, v2
	v_cvt_f32_f16_e32 v3, v6
	ds_write_b32 v91, v3
	s_cbranch_scc0 .LBB226_5
; %bb.7:                                ;   in Loop: Header=BB226_6 Depth=1
	v_cmp_gt_i32_e32 vcc, s12, v63
	s_and_b64 s[22:23], s[2:3], vcc
	s_and_saveexec_b64 s[4:5], s[22:23]
	s_cbranch_execz .LBB226_9
; %bb.8:                                ;   in Loop: Header=BB226_6 Depth=1
	v_add_u32_e32 v2, v87, v63
	v_mad_i64_i32 v[2:3], s[22:23], v2, 36, v[54:55]
	global_load_dword v2, v[2:3], off offset:4
	s_waitcnt vmcnt(0)
	ds_write_b32 v67, v2
.LBB226_9:                              ;   in Loop: Header=BB226_6 Depth=1
	s_or_b64 exec, exec, s[4:5]
	v_cmp_gt_i32_e32 vcc, s12, v61
	s_and_b64 s[4:5], s[2:3], vcc
	s_and_b64 s[22:23], s[0:1], s[4:5]
	s_and_saveexec_b64 s[4:5], s[22:23]
	s_cbranch_execz .LBB226_4
; %bb.10:                               ;   in Loop: Header=BB226_6 Depth=1
	v_add_u32_e32 v2, v87, v61
	v_mad_i64_i32 v[2:3], s[22:23], v2, 36, s[6:7]
	global_load_dword v2, v[2:3], off
	s_waitcnt vmcnt(0)
	v_cvt_f32_f16_e32 v2, v2
	ds_write_b32 v69, v2
	s_branch .LBB226_4
.LBB226_11:
	v_mov_b32_e32 v70, v71
	v_mov_b32_e32 v83, v71
	;; [unrolled: 1-line block ×3, first 2 shown]
.LBB226_12:
	s_mul_i32 s0, s14, s11
	s_waitcnt vmcnt(0)
	v_cmp_gt_i32_e32 vcc, s0, v59
	s_and_saveexec_b64 s[0:1], vcc
	s_cbranch_execz .LBB226_21
; %bb.13:
	v_and_b32_e32 v0, 0x3ff, v0
	v_add_u32_e32 v1, s15, v0
	v_mul_lo_u32 v0, v59, s13
	v_cmp_gt_u32_e32 vcc, s13, v1
	s_and_saveexec_b64 s[0:1], vcc
	s_cbranch_execz .LBB226_15
; %bb.14:
	v_bfe_u32 v2, v82, 16, 1
	s_movk_i32 s2, 0x7fff
	v_add3_u32 v2, v82, v2, s2
	v_lshrrev_b32_e32 v2, 16, v2
	v_mov_b32_e32 v3, 0x7fc0
	v_cmp_o_f32_e32 vcc, v82, v82
	v_cndmask_b32_e32 v4, v3, v2, vcc
	v_add_u32_e32 v2, v0, v1
	v_mov_b32_e32 v3, 0
	v_lshlrev_b64 v[2:3], 1, v[2:3]
	v_mov_b32_e32 v5, s17
	v_add_co_u32_e32 v2, vcc, s16, v2
	v_addc_co_u32_e32 v3, vcc, v5, v3, vcc
	global_store_short v[2:3], v4, off
.LBB226_15:
	s_or_b64 exec, exec, s[0:1]
	v_add_u32_e32 v2, 32, v1
	v_cmp_gt_u32_e32 vcc, s13, v2
	s_and_saveexec_b64 s[0:1], vcc
	s_cbranch_execz .LBB226_17
; %bb.16:
	v_bfe_u32 v3, v83, 16, 1
	s_movk_i32 s2, 0x7fff
	v_add3_u32 v3, v83, v3, s2
	v_lshrrev_b32_e32 v3, 16, v3
	v_mov_b32_e32 v4, 0x7fc0
	v_cmp_o_f32_e32 vcc, v83, v83
	v_cndmask_b32_e32 v4, v4, v3, vcc
	v_add_u32_e32 v2, v0, v2
	v_mov_b32_e32 v3, 0
	v_lshlrev_b64 v[2:3], 1, v[2:3]
	v_mov_b32_e32 v5, s17
	v_add_co_u32_e32 v2, vcc, s16, v2
	v_addc_co_u32_e32 v3, vcc, v5, v3, vcc
	global_store_short v[2:3], v4, off
.LBB226_17:
	s_or_b64 exec, exec, s[0:1]
	v_add_u32_e32 v2, 64, v1
	;; [unrolled: 21-line block ×3, first 2 shown]
	v_cmp_gt_u32_e32 vcc, s13, v1
	s_and_b64 exec, exec, vcc
	s_cbranch_execz .LBB226_21
; %bb.20:
	v_bfe_u32 v2, v71, 16, 1
	s_movk_i32 s0, 0x7fff
	v_add3_u32 v2, v71, v2, s0
	v_add_u32_e32 v0, v0, v1
	v_mov_b32_e32 v1, 0
	v_lshrrev_b32_e32 v2, 16, v2
	v_mov_b32_e32 v3, 0x7fc0
	v_cmp_o_f32_e32 vcc, v71, v71
	v_lshlrev_b64 v[0:1], 1, v[0:1]
	v_cndmask_b32_e32 v2, v3, v2, vcc
	v_mov_b32_e32 v3, s17
	v_add_co_u32_e32 v0, vcc, s16, v0
	v_addc_co_u32_e32 v1, vcc, v3, v1, vcc
	global_store_short v[0:1], v2, off
.LBB226_21:
	s_endpgm
	.section	.rodata,"a",@progbits
	.p2align	6, 0x0
	.amdhsa_kernel _ZL8moe_q8_0IN3c108BFloat16ELb1EEvPKvS3_PT_PKiS7_S7_iiiiiii
		.amdhsa_group_segment_fixed_size 20160
		.amdhsa_private_segment_fixed_size 0
		.amdhsa_kernarg_size 76
		.amdhsa_user_sgpr_count 6
		.amdhsa_user_sgpr_private_segment_buffer 1
		.amdhsa_user_sgpr_dispatch_ptr 0
		.amdhsa_user_sgpr_queue_ptr 0
		.amdhsa_user_sgpr_kernarg_segment_ptr 1
		.amdhsa_user_sgpr_dispatch_id 0
		.amdhsa_user_sgpr_flat_scratch_init 0
		.amdhsa_user_sgpr_kernarg_preload_length 0
		.amdhsa_user_sgpr_kernarg_preload_offset 0
		.amdhsa_user_sgpr_private_segment_size 0
		.amdhsa_uses_dynamic_stack 0
		.amdhsa_system_sgpr_private_segment_wavefront_offset 0
		.amdhsa_system_sgpr_workgroup_id_x 1
		.amdhsa_system_sgpr_workgroup_id_y 1
		.amdhsa_system_sgpr_workgroup_id_z 0
		.amdhsa_system_sgpr_workgroup_info 0
		.amdhsa_system_vgpr_workitem_id 1
		.amdhsa_next_free_vgpr 124
		.amdhsa_next_free_sgpr 24
		.amdhsa_accum_offset 124
		.amdhsa_reserve_vcc 1
		.amdhsa_reserve_flat_scratch 0
		.amdhsa_float_round_mode_32 0
		.amdhsa_float_round_mode_16_64 0
		.amdhsa_float_denorm_mode_32 3
		.amdhsa_float_denorm_mode_16_64 3
		.amdhsa_dx10_clamp 1
		.amdhsa_ieee_mode 1
		.amdhsa_fp16_overflow 0
		.amdhsa_tg_split 0
		.amdhsa_exception_fp_ieee_invalid_op 0
		.amdhsa_exception_fp_denorm_src 0
		.amdhsa_exception_fp_ieee_div_zero 0
		.amdhsa_exception_fp_ieee_overflow 0
		.amdhsa_exception_fp_ieee_underflow 0
		.amdhsa_exception_fp_ieee_inexact 0
		.amdhsa_exception_int_div_zero 0
	.end_amdhsa_kernel
	.section	.text._ZL8moe_q8_0IN3c108BFloat16ELb1EEvPKvS3_PT_PKiS7_S7_iiiiiii,"axG",@progbits,_ZL8moe_q8_0IN3c108BFloat16ELb1EEvPKvS3_PT_PKiS7_S7_iiiiiii,comdat
.Lfunc_end226:
	.size	_ZL8moe_q8_0IN3c108BFloat16ELb1EEvPKvS3_PT_PKiS7_S7_iiiiiii, .Lfunc_end226-_ZL8moe_q8_0IN3c108BFloat16ELb1EEvPKvS3_PT_PKiS7_S7_iiiiiii
                                        ; -- End function
	.section	.AMDGPU.csdata,"",@progbits
; Kernel info:
; codeLenInByte = 5124
; NumSgprs: 28
; NumVgprs: 124
; NumAgprs: 0
; TotalNumVgprs: 124
; ScratchSize: 0
; MemoryBound: 0
; FloatMode: 240
; IeeeMode: 1
; LDSByteSize: 20160 bytes/workgroup (compile time only)
; SGPRBlocks: 3
; VGPRBlocks: 15
; NumSGPRsForWavesPerEU: 28
; NumVGPRsForWavesPerEU: 124
; AccumOffset: 124
; Occupancy: 3
; WaveLimiterHint : 1
; COMPUTE_PGM_RSRC2:SCRATCH_EN: 0
; COMPUTE_PGM_RSRC2:USER_SGPR: 6
; COMPUTE_PGM_RSRC2:TRAP_HANDLER: 0
; COMPUTE_PGM_RSRC2:TGID_X_EN: 1
; COMPUTE_PGM_RSRC2:TGID_Y_EN: 1
; COMPUTE_PGM_RSRC2:TGID_Z_EN: 0
; COMPUTE_PGM_RSRC2:TIDIG_COMP_CNT: 1
; COMPUTE_PGM_RSRC3_GFX90A:ACCUM_OFFSET: 30
; COMPUTE_PGM_RSRC3_GFX90A:TG_SPLIT: 0
	.section	.text._ZL8moe_q2_KIN3c108BFloat16ELb0EEvPKvS3_PT_PKiS7_S7_iiiiiii,"axG",@progbits,_ZL8moe_q2_KIN3c108BFloat16ELb0EEvPKvS3_PT_PKiS7_S7_iiiiiii,comdat
	.globl	_ZL8moe_q2_KIN3c108BFloat16ELb0EEvPKvS3_PT_PKiS7_S7_iiiiiii ; -- Begin function _ZL8moe_q2_KIN3c108BFloat16ELb0EEvPKvS3_PT_PKiS7_S7_iiiiiii
	.p2align	8
	.type	_ZL8moe_q2_KIN3c108BFloat16ELb0EEvPKvS3_PT_PKiS7_S7_iiiiiii,@function
_ZL8moe_q2_KIN3c108BFloat16ELb0EEvPKvS3_PT_PKiS7_S7_iiiiiii: ; @_ZL8moe_q2_KIN3c108BFloat16ELb0EEvPKvS3_PT_PKiS7_S7_iiiiiii
; %bb.0:
	s_load_dwordx4 s[0:3], s[4:5], 0x18
	s_mov_b32 s8, s7
	s_mov_b32 s9, 0
	s_lshl_b64 s[10:11], s[8:9], 2
	s_waitcnt lgkmcnt(0)
	s_add_u32 s2, s2, s10
	s_addc_u32 s3, s3, s11
	s_load_dword s2, s[2:3], 0x0
	s_waitcnt lgkmcnt(0)
	s_cmpk_gt_u32 s2, 0xff
	s_cbranch_scc1 .LBB227_47
; %bb.1:
	s_load_dwordx2 s[10:11], s[4:5], 0x28
	s_lshl_b32 s3, s8, 3
	s_waitcnt lgkmcnt(0)
	s_load_dword s7, s[10:11], 0x0
	s_waitcnt lgkmcnt(0)
	s_cmp_gt_u32 s3, s7
	s_cbranch_scc1 .LBB227_47
; %bb.2:
	v_bfe_u32 v1, v0, 10, 10
	v_add_u32_e32 v2, s3, v1
	v_mov_b32_e32 v3, 0
	v_lshlrev_b64 v[2:3], 2, v[2:3]
	v_mov_b32_e32 v4, s1
	v_add_co_u32_e32 v2, vcc, s0, v2
	v_addc_co_u32_e32 v3, vcc, v4, v3, vcc
	global_load_dword v11, v[2:3], off
	s_load_dwordx2 s[12:13], s[4:5], 0x10
	s_load_dwordx2 s[14:15], s[4:5], 0x30
	s_load_dwordx4 s[8:11], s[4:5], 0x3c
	s_mov_b32 s16, 0
	s_lshl_b32 s24, s6, 7
	s_mov_b32 s17, s16
	s_waitcnt lgkmcnt(0)
	s_cmpk_lt_i32 s15, 0x100
	v_pk_mov_b32 v[62:63], s[16:17], s[16:17] op_sel:[0,1]
	v_pk_mov_b32 v[66:67], s[16:17], s[16:17] op_sel:[0,1]
	s_cbranch_scc1 .LBB227_38
; %bb.3:
	s_ashr_i32 s0, s15, 31
	s_lshr_b32 s0, s0, 24
	s_load_dwordx4 s[4:7], s[4:5], 0x0
	s_add_i32 s0, s15, s0
	s_ashr_i32 s25, s0, 8
	s_ashr_i32 s0, s9, 31
	s_lshr_b32 s0, s0, 27
	s_add_i32 s0, s9, s0
	s_mul_i32 s2, s2, s14
	s_ashr_i32 s9, s0, 5
	s_ashr_i32 s0, s2, 31
	s_waitcnt lgkmcnt(0)
	s_add_u32 s1, s4, s2
	s_mul_i32 s2, s25, s24
	s_addc_u32 s0, s5, s0
	s_mul_hi_i32 s3, s2, 0x54
	s_mulk_i32 s2, 0x54
	s_add_u32 s26, s1, s2
	s_addc_u32 s27, s0, s3
	s_lshl_b32 s1, s25, 3
	v_mov_b32_e32 v3, s1
	v_mad_i32_i24 v16, s25, v1, v3
	v_add_u32_e32 v18, s1, v16
	v_add_u32_e32 v20, s1, v18
	;; [unrolled: 1-line block ×9, first 2 shown]
	v_and_b32_e32 v13, 0x3ff, v0
	v_add_u32_e32 v36, s1, v34
	v_add_u32_e32 v38, s1, v36
	v_lshlrev_b32_e32 v3, 4, v1
	v_lshrrev_b32_e32 v4, 1, v13
	v_add_u32_e32 v40, s1, v38
	v_and_b32_e32 v46, 1, v13
	v_add_u32_e32 v4, v4, v3
	v_add_u32_e32 v42, s1, v40
	v_and_b32_e32 v5, 0x7f, v4
	v_lshlrev_b32_e32 v6, 2, v46
	v_lshrrev_b32_e32 v4, 2, v4
	v_add_u32_e32 v44, s1, v42
	v_mul_i32_i24_e32 v48, s25, v5
	v_lshl_or_b32 v5, v5, 3, v6
	v_and_b32_e32 v4, 28, v4
	s_movk_i32 s1, 0x5280
	v_add3_u32 v47, v5, v4, s1
	v_lshlrev_b32_e32 v4, 2, v1
	v_lshrrev_b32_e32 v49, 3, v13
	v_add_u32_e32 v5, v49, v4
	s_lshl_b32 s3, s25, 5
	v_and_b32_e32 v6, 7, v13
	v_add_u32_e32 v9, 32, v5
	v_mov_b32_e32 v51, s3
	v_cmp_lt_u32_e32 vcc, 3, v6
	v_lshlrev_b32_e32 v6, 2, v6
	s_movk_i32 s2, 0x4200
	v_mad_i32_i24 v56, s25, v5, v51
	v_and_b32_e32 v51, 0x3ffc, v9
	v_lshlrev_b32_e32 v2, 2, v13
	s_movk_i32 s0, 0x84
	v_mul_i32_i24_e32 v54, s25, v5
	v_and_b32_e32 v7, 0x1ffc, v5
	v_lshlrev_b32_e32 v8, 5, v5
	v_add3_u32 v62, v51, v6, s2
	v_add_u32_e32 v51, 64, v5
	v_add_u32_e32 v5, 0x60, v5
	v_and_b32_e32 v12, 60, v2
	v_mad_u32_u24 v15, v1, s0, v2
	v_and_b32_e32 v52, 12, v2
	v_and_b32_e32 v53, 0x3ffc, v51
	v_lshlrev_b32_e32 v70, 5, v51
	v_and_b32_e32 v51, 0x3ffc, v5
	v_and_b32_e32 v2, 28, v2
	v_cndmask_b32_e64 v50, 0, 1, vcc
	v_add3_u32 v7, v7, v6, s2
	v_add3_u32 v63, v53, v6, s2
	;; [unrolled: 1-line block ×3, first 2 shown]
	v_and_b32_e32 v51, 31, v13
	v_add_co_u32_e32 v64, vcc, s6, v2
	v_lshlrev_b32_e32 v2, 7, v1
	v_mul_i32_i24_e32 v14, s25, v1
	v_lshl_or_b32 v1, v51, 2, v2
	v_lshrrev_b32_e32 v10, 4, v13
	v_mov_b32_e32 v53, s7
	v_add_u32_e32 v51, 0x56a0, v1
	v_or_b32_e32 v1, v4, v13
	v_mov_b32_e32 v4, 0x5aa0
	v_addc_co_u32_e32 v65, vcc, 0, v53, vcc
	v_lshl_add_u32 v53, v1, 2, v4
	v_lshlrev_b32_e32 v1, 3, v13
	v_lshlrev_b32_e32 v57, 2, v10
	v_add_u32_e32 v4, 32, v13
	v_add3_u32 v57, v57, v1, s1
	v_mov_b32_e32 v1, 0x1080
	v_mad_u32_u24 v59, v13, s0, v1
	v_lshrrev_b32_e32 v1, 2, v4
	v_lshlrev_b32_e32 v61, 3, v4
	v_and_b32_e32 v1, 0x7c, v1
	v_add_u32_e32 v66, 64, v13
	v_add3_u32 v61, v61, v1, s1
	v_mov_b32_e32 v1, 0x2100
	v_mad_u32_u24 v69, v13, s0, v1
	v_lshrrev_b32_e32 v1, 2, v66
	v_lshlrev_b32_e32 v67, 3, v66
	v_and_b32_e32 v1, 0x7c, v1
	s_abs_i32 s2, s11
	v_add3_u32 v71, v67, v1, s1
	v_cvt_f32_u32_e32 v67, s2
	v_add_u32_e32 v77, 0x60, v13
	v_mov_b32_e32 v1, 0x3180
	v_mad_u32_u24 v72, v13, s0, v1
	v_lshrrev_b32_e32 v1, 2, v77
	v_lshlrev_b32_e32 v68, 3, v77
	v_and_b32_e32 v1, 0x7c, v1
	v_add3_u32 v73, v68, v1, s1
	v_rcp_iflag_f32_e32 v1, v67
	s_sub_i32 s0, 0, s2
	s_waitcnt vmcnt(0)
	v_sub_u32_e32 v68, 0, v11
	v_max_i32_e32 v68, v11, v68
	v_mul_f32_e32 v1, 0x4f7ffffe, v1
	v_cvt_u32_f32_e32 v1, v1
	v_xor_b32_e32 v67, s11, v11
	s_add_u32 s4, s6, 0x90
	v_ashrrev_i32_e32 v67, 31, v67
	v_mul_lo_u32 v78, s0, v1
	v_mul_hi_u32 v78, v1, v78
	v_add_u32_e32 v1, v1, v78
	v_mul_hi_u32 v1, v68, v1
	v_mul_lo_u32 v78, v1, s2
	v_sub_u32_e32 v68, v68, v78
	v_add_u32_e32 v78, 1, v1
	v_cmp_le_u32_e64 s[0:1], s2, v68
	v_cndmask_b32_e64 v1, v1, v78, s[0:1]
	v_subrev_u32_e32 v78, s2, v68
	v_cndmask_b32_e64 v68, v68, v78, s[0:1]
	v_add_u32_e32 v78, 1, v1
	v_cmp_le_u32_e64 s[0:1], s2, v68
	v_cndmask_b32_e64 v1, v1, v78, s[0:1]
	s_addc_u32 s5, s7, 0
	v_xor_b32_e32 v1, v1, v67
	s_add_u32 s18, s6, 0x120
	v_sub_u32_e32 v1, v1, v67
	s_addc_u32 s19, s7, 0
	v_lshlrev_b32_e32 v9, 5, v9
	v_add_u32_e32 v58, s3, v56
	v_lshlrev_b32_e32 v5, 5, v5
	v_lshrrev_b32_e32 v75, 3, v66
	v_lshrrev_b32_e32 v76, 3, v77
	v_mul_lo_u32 v68, v1, s9
	s_add_u32 s20, s6, 0x1b0
	v_and_b32_e32 v77, 0x1fc, v77
	v_lshlrev_b32_e32 v78, 5, v13
	v_and_b32_e32 v79, 0x1fc, v66
	v_and_b32_e32 v80, 0x1fc, v4
	;; [unrolled: 1-line block ×3, first 2 shown]
	v_pk_mov_b32 v[66:67], s[16:17], s[16:17] op_sel:[0,1]
	s_movk_i32 s14, 0x54
	v_add_u32_e32 v17, 0x420, v15
	v_add_u32_e32 v19, 0x840, v15
	;; [unrolled: 1-line block ×16, first 2 shown]
	v_cmp_gt_u32_e32 vcc, 4, v13
	v_mul_u32_u24_e32 v55, 0x84, v13
	v_lshrrev_b32_e32 v74, 3, v4
	v_cmp_gt_i32_e64 s[0:1], s8, v1
	v_ashrrev_i32_e32 v1, 31, v68
	s_addc_u32 s21, s7, 0
	v_add_u32_e32 v82, 0x56a0, v2
	v_add_u32_e32 v83, 0x5aa0, v3
	;; [unrolled: 1-line block ×14, first 2 shown]
	s_mov_b32 s17, 0x1010101
	v_mov_b32_e32 v96, 4
	v_mov_b32_e32 v97, 15
	v_pk_mov_b32 v[62:63], v[66:67], v[66:67] op_sel:[0,1]
	s_branch .LBB227_5
.LBB227_4:                              ;   in Loop: Header=BB227_5 Depth=1
	s_add_i32 s16, s16, 2
	s_cmp_ge_i32 s16, s25
	s_cbranch_scc1 .LBB227_38
.LBB227_5:                              ; =>This Loop Header: Depth=1
                                        ;     Child Loop BB227_12 Depth 2
                                        ;     Child Loop BB227_20 Depth 2
	;; [unrolled: 1-line block ×4, first 2 shown]
	s_mul_i32 s2, s16, 0x54
	s_mul_hi_u32 s3, s16, 0x54
	s_add_u32 s2, s26, s2
	s_addc_u32 s3, s27, s3
	v_pk_mov_b32 v[2:3], s[2:3], s[2:3] op_sel:[0,1]
	v_mad_u64_u32 v[4:5], s[2:3], v10, s14, v[2:3]
	v_add_co_u32_e64 v4, s[2:3], v4, v12
	v_addc_co_u32_e64 v5, s[2:3], 0, v5, s[2:3]
	v_add_co_u32_e64 v4, s[2:3], 16, v4
	v_addc_co_u32_e64 v5, s[2:3], 0, v5, s[2:3]
	v_mad_u64_u32 v[6:7], s[2:3], v14, s14, v[4:5]
	v_mad_u64_u32 v[8:9], s[2:3], v16, s14, v[4:5]
	;; [unrolled: 1-line block ×8, first 2 shown]
	global_load_dword v70, v[6:7], off
	global_load_dword v110, v[8:9], off
	;; [unrolled: 1-line block ×8, first 2 shown]
	v_mad_u64_u32 v[6:7], s[2:3], v30, s14, v[4:5]
	v_mad_u64_u32 v[8:9], s[2:3], v32, s14, v[4:5]
	v_mad_u64_u32 v[98:99], s[2:3], v34, s14, v[4:5]
	v_mad_u64_u32 v[100:101], s[2:3], v36, s14, v[4:5]
	v_mad_u64_u32 v[102:103], s[2:3], v38, s14, v[4:5]
	v_mad_u64_u32 v[104:105], s[2:3], v40, s14, v[4:5]
	v_mad_u64_u32 v[106:107], s[2:3], v42, s14, v[4:5]
	v_mad_u64_u32 v[4:5], s[2:3], v44, s14, v[4:5]
	global_load_dword v108, v[6:7], off
	global_load_dword v109, v[8:9], off
	;; [unrolled: 1-line block ×8, first 2 shown]
	v_mad_u64_u32 v[4:5], s[2:3], v48, s14, v[2:3]
	v_mad_u64_u32 v[4:5], s[2:3], v46, s14, v[4:5]
	v_mad_u64_u32 v[2:3], s[2:3], v50, s14, v[2:3]
	v_add_co_u32_e64 v2, s[2:3], v2, v52
	v_addc_co_u32_e64 v3, s[2:3], 0, v3, s[2:3]
	v_mad_u64_u32 v[6:7], s[2:3], v54, s14, v[2:3]
	v_mad_u64_u32 v[8:9], s[2:3], v56, s14, v[2:3]
	;; [unrolled: 1-line block ×4, first 2 shown]
	global_load_dword v100, v[4:5], off offset:80
	global_load_dword v101, v[6:7], off
	global_load_dword v102, v[8:9], off
	;; [unrolled: 1-line block ×3, first 2 shown]
	s_lshl_b32 s29, s16, 8
	global_load_dword v2, v[2:3], off
	s_cmp_lt_i32 s29, s15
	s_waitcnt vmcnt(20)
	ds_write_b32 v15, v70
	s_waitcnt vmcnt(19)
	ds_write_b32 v17, v110
	;; [unrolled: 2-line block ×21, first 2 shown]
	s_cbranch_scc0 .LBB227_4
; %bb.6:                                ;   in Loop: Header=BB227_5 Depth=1
	s_lshl_b32 s28, s16, 3
	v_add_u32_e32 v2, s28, v49
	v_cmp_gt_i32_e64 s[2:3], s9, v2
	s_and_b64 s[22:23], s[0:1], s[2:3]
	s_and_saveexec_b64 s[2:3], s[22:23]
	s_cbranch_execz .LBB227_8
; %bb.7:                                ;   in Loop: Header=BB227_5 Depth=1
	v_add_u32_e32 v2, v68, v2
	v_mad_i64_i32 v[2:3], s[22:23], v2, 36, v[64:65]
	global_load_dword v2, v[2:3], off offset:4
	s_waitcnt vmcnt(0)
	ds_write_b32 v51, v2
.LBB227_8:                              ;   in Loop: Header=BB227_5 Depth=1
	s_or_b64 exec, exec, s[2:3]
	s_and_saveexec_b64 s[22:23], vcc
	s_cbranch_execz .LBB227_11
; %bb.9:                                ;   in Loop: Header=BB227_5 Depth=1
	v_or_b32_e32 v2, s28, v13
	v_cmp_gt_i32_e64 s[2:3], s9, v2
	s_and_b64 s[2:3], s[0:1], s[2:3]
	s_and_b64 exec, exec, s[2:3]
	s_cbranch_execz .LBB227_11
; %bb.10:                               ;   in Loop: Header=BB227_5 Depth=1
	v_add_u32_e32 v2, v68, v2
	v_mad_i64_i32 v[2:3], s[2:3], v2, 36, s[6:7]
	global_load_dword v2, v[2:3], off
	s_waitcnt vmcnt(0)
	v_cvt_f32_f16_e32 v2, v2
	ds_write_b32 v53, v2
.LBB227_11:                             ;   in Loop: Header=BB227_5 Depth=1
	s_or_b64 exec, exec, s[22:23]
	s_mov_b32 s2, 0
	s_mov_b32 s3, -2
	v_mov_b32_e32 v98, v83
	v_mov_b32_e32 v99, v82
	s_waitcnt lgkmcnt(0)
	s_barrier
.LBB227_12:                             ;   Parent Loop BB227_5 Depth=1
                                        ; =>  This Inner Loop Header: Depth=2
	s_and_b32 s23, s2, -16
	s_add_i32 s22, s3, 2
	v_add_u32_e32 v100, s23, v78
	s_and_b32 s23, s22, 0x3ffffff8
	s_lshr_b32 s30, s22, 2
	s_lshl_b32 s23, s23, 2
	s_and_b32 s30, s30, 0x3ffffffc
	v_add3_u32 v112, v81, s3, v100
	v_add3_u32 v116, v80, s3, v100
	;; [unrolled: 1-line block ×4, first 2 shown]
	v_add_u32_e32 v106, s23, v55
	v_add_u32_e32 v113, s30, v57
	;; [unrolled: 1-line block ×8, first 2 shown]
	ds_read_b32 v70, v98
	ds_read_b128 v[6:9], v99
	ds_read_b128 v[2:5], v99 offset:16
	ds_read2_b32 v[100:101], v106 offset1:1
	ds_read2_b32 v[102:103], v106 offset0:2 offset1:3
	ds_read2_b32 v[104:105], v106 offset0:4 offset1:5
	ds_read2_b32 v[106:107], v106 offset0:6 offset1:7
	ds_read2_b32 v[108:109], v114 offset1:1
	ds_read2_b32 v[110:111], v114 offset0:2 offset1:3
	ds_read_b32 v146, v113
	ds_read_u16 v147, v112 offset:16898
	ds_read2_b32 v[112:113], v114 offset0:4 offset1:5
	ds_read2_b32 v[114:115], v114 offset0:6 offset1:7
	ds_read_b32 v148, v117
	ds_read_u16 v149, v116 offset:17922
	ds_read2_b32 v[116:117], v122 offset1:1
	ds_read2_b32 v[118:119], v122 offset0:2 offset1:3
	ds_read2_b32 v[120:121], v122 offset0:4 offset1:5
	;; [unrolled: 1-line block ×3, first 2 shown]
	ds_read2_b32 v[124:125], v130 offset1:1
	ds_read2_b32 v[126:127], v130 offset0:2 offset1:3
	ds_read_b32 v150, v129
	ds_read_u16 v151, v128 offset:18946
	ds_read2_b32 v[128:129], v130 offset0:4 offset1:5
	ds_read2_b32 v[130:131], v130 offset0:6 offset1:7
	ds_read_b32 v145, v145
	ds_read_u16 v144, v144 offset:19970
	s_waitcnt lgkmcnt(14)
	v_ashrrev_i32_e32 v152, s22, v100
	v_ashrrev_i32_e32 v153, s22, v101
	;; [unrolled: 1-line block ×8, first 2 shown]
	v_bfe_u32 v160, v147, 4, 4
	v_lshrrev_b32_sdwa v162, v96, v147 dst_sel:DWORD dst_unused:UNUSED_PAD src0_sel:DWORD src1_sel:BYTE_1
	s_waitcnt lgkmcnt(12)
	v_bfe_u32 v163, v149, 4, 4
	v_lshrrev_b32_sdwa v165, v96, v149 dst_sel:DWORD dst_unused:UNUSED_PAD src0_sel:DWORD src1_sel:BYTE_1
	v_cvt_f32_f16_e32 v100, v146
	v_cvt_f32_f16_sdwa v102, v146 dst_sel:DWORD dst_unused:UNUSED_PAD src0_sel:WORD_1
	s_waitcnt lgkmcnt(4)
	v_bfe_u32 v146, v151, 4, 4
	s_waitcnt lgkmcnt(0)
	v_bfe_u32 v167, v144, 4, 4
	v_mov_b32_e32 v133, 0
	v_mov_b32_e32 v136, 0
	;; [unrolled: 1-line block ×4, first 2 shown]
	v_cvt_f32_f16_e32 v105, v145
	v_cvt_f32_f16_e32 v104, v150
	v_cvt_f32_f16_sdwa v107, v145 dst_sel:DWORD dst_unused:UNUSED_PAD src0_sel:WORD_1
	v_cvt_f32_f16_sdwa v106, v150 dst_sel:DWORD dst_unused:UNUSED_PAD src0_sel:WORD_1
	v_and_b32_e32 v145, 0x3030303, v152
	v_and_b32_e32 v150, 0x3030303, v153
	;; [unrolled: 1-line block ×8, first 2 shown]
	v_mul_lo_u32 v158, v160, s17
	v_mul_lo_u32 v159, v162, s17
	;; [unrolled: 1-line block ×6, first 2 shown]
	v_ashrrev_i32_e32 v108, s22, v108
	v_ashrrev_i32_e32 v124, s22, v124
	v_dot4c_i32_i8_e32 v133, v158, v6
	v_dot4c_i32_i8_e32 v136, v160, v6
	;; [unrolled: 1-line block ×4, first 2 shown]
	v_mov_b32_e32 v135, 0
	v_mov_b32_e32 v141, 0
	v_ashrrev_i32_e32 v109, s22, v109
	v_ashrrev_i32_e32 v112, s22, v112
	;; [unrolled: 1-line block ×5, first 2 shown]
	v_and_b32_e32 v108, 0x3030303, v108
	v_and_b32_e32 v124, 0x3030303, v124
	v_dot4c_i32_i8_e32 v133, v158, v7
	v_dot4c_i32_i8_e32 v136, v160, v7
	v_dot4c_i32_i8_e32 v139, v146, v7
	v_dot4c_i32_i8_e32 v142, v165, v7
	v_mov_b32_e32 v132, 0
	v_mov_b32_e32 v137, 0
	;; [unrolled: 1-line block ×4, first 2 shown]
	v_ashrrev_i32_e32 v110, s22, v110
	v_ashrrev_i32_e32 v113, s22, v113
	;; [unrolled: 1-line block ×4, first 2 shown]
	v_lshrrev_b32_sdwa v166, v96, v151 dst_sel:DWORD dst_unused:UNUSED_PAD src0_sel:DWORD src1_sel:BYTE_1
	v_ashrrev_i32_e32 v126, s22, v126
	v_ashrrev_i32_e32 v129, s22, v129
	v_lshrrev_b32_sdwa v169, v96, v144 dst_sel:DWORD dst_unused:UNUSED_PAD src0_sel:DWORD src1_sel:BYTE_1
	v_and_b32_e32 v109, 0x3030303, v109
	v_and_b32_e32 v112, 0x3030303, v112
	;; [unrolled: 1-line block ×5, first 2 shown]
	v_dot4c_i32_i8_e32 v135, v108, v6
	v_dot4c_i32_i8_e32 v141, v124, v6
	;; [unrolled: 1-line block ×6, first 2 shown]
	v_mov_b32_e32 v134, 0
	v_mov_b32_e32 v140, 0
	v_ashrrev_i32_e32 v111, s22, v111
	v_ashrrev_i32_e32 v114, s22, v114
	;; [unrolled: 1-line block ×6, first 2 shown]
	v_and_b32_e32 v110, 0x3030303, v110
	v_and_b32_e32 v113, 0x3030303, v113
	;; [unrolled: 1-line block ×4, first 2 shown]
	v_mul_lo_u32 v163, v166, s17
	v_and_b32_e32 v126, 0x3030303, v126
	v_and_b32_e32 v129, 0x3030303, v129
	v_mul_lo_u32 v166, v169, s17
	v_dot4c_i32_i8_e32 v132, v145, v6
	v_dot4c_i32_i8_e32 v137, v112, v2
	;; [unrolled: 1-line block ×10, first 2 shown]
	v_ashrrev_i32_e32 v115, s22, v115
	v_ashrrev_i32_e32 v119, s22, v119
	;; [unrolled: 1-line block ×4, first 2 shown]
	v_and_b32_e32 v111, 0x3030303, v111
	v_and_b32_e32 v114, 0x3030303, v114
	;; [unrolled: 1-line block ×6, first 2 shown]
	v_dot4c_i32_i8_e32 v134, v154, v2
	v_dot4c_i32_i8_e32 v140, v120, v2
	;; [unrolled: 1-line block ×12, first 2 shown]
	v_and_b32_e32 v164, 15, v149
	v_ashrrev_i32_e32 v123, s22, v123
	v_and_b32_e32 v168, 15, v144
	v_and_b32_e32 v115, 0x3030303, v115
	v_and_b32_e32 v119, 0x3030303, v119
	v_and_b32_e32 v122, 0x3030303, v122
	v_and_b32_e32 v131, 0x3030303, v131
	v_dot4c_i32_i8_e32 v134, v155, v3
	v_dot4c_i32_i8_e32 v140, v121, v3
	;; [unrolled: 1-line block ×12, first 2 shown]
	s_add_i32 s2, s2, 2
	v_and_b32_e32 v161, 15, v147
	v_and_b32_sdwa v149, v149, v97 dst_sel:DWORD dst_unused:UNUSED_PAD src0_sel:BYTE_1 src1_sel:DWORD
	v_cvt_f32_f16_e32 v101, v148
	v_cvt_f32_f16_sdwa v103, v148 dst_sel:DWORD dst_unused:UNUSED_PAD src0_sel:WORD_1
	v_and_b32_e32 v148, 15, v151
	v_and_b32_sdwa v144, v144, v97 dst_sel:DWORD dst_unused:UNUSED_PAD src0_sel:BYTE_1 src1_sel:DWORD
	v_and_b32_e32 v123, 0x3030303, v123
	v_dot4c_i32_i8_e32 v134, v156, v4
	v_dot4c_i32_i8_e32 v140, v122, v4
	;; [unrolled: 1-line block ×6, first 2 shown]
	v_mul_lo_u32 v8, v164, v135
	v_mul_lo_u32 v110, v168, v141
	v_dot4c_i32_i8_e32 v133, v159, v4
	v_dot4c_i32_i8_e32 v136, v162, v4
	;; [unrolled: 1-line block ×4, first 2 shown]
	s_mov_b32 s3, s22
	s_cmp_lt_u32 s22, 6
	v_and_b32_sdwa v147, v147, v97 dst_sel:DWORD dst_unused:UNUSED_PAD src0_sel:BYTE_1 src1_sel:DWORD
	v_and_b32_sdwa v151, v151, v97 dst_sel:DWORD dst_unused:UNUSED_PAD src0_sel:BYTE_1 src1_sel:DWORD
	v_dot4c_i32_i8_e32 v134, v157, v5
	v_dot4c_i32_i8_e32 v140, v123, v5
	v_mul_lo_u32 v6, v161, v132
	v_mul_lo_u32 v108, v148, v138
	v_mad_u64_u32 v[8:9], s[22:23], v149, v137, v[8:9]
	v_mad_u64_u32 v[2:3], s[22:23], v144, v143, v[110:111]
	v_dot4c_i32_i8_e32 v133, v159, v5
	v_dot4c_i32_i8_e32 v136, v162, v5
	;; [unrolled: 1-line block ×4, first 2 shown]
	v_mad_u64_u32 v[6:7], s[22:23], v147, v134, v[6:7]
	v_mad_u64_u32 v[108:109], s[22:23], v151, v140, v[108:109]
	v_cvt_f32_i32_e32 v9, v2
	v_cvt_f32_i32_e32 v3, v136
	;; [unrolled: 1-line block ×8, first 2 shown]
	v_pk_mul_f32 v[2:3], v[102:103], v[2:3]
	v_pk_mul_f32 v[4:5], v[106:107], v[4:5]
	v_pk_fma_f32 v[2:3], v[6:7], v[100:101], v[2:3] neg_lo:[0,0,1] neg_hi:[0,0,1]
	v_pk_fma_f32 v[4:5], v[8:9], v[104:105], v[4:5] neg_lo:[0,0,1] neg_hi:[0,0,1]
	v_add_u32_e32 v99, 32, v99
	v_add_u32_e32 v98, 4, v98
	v_pk_fma_f32 v[66:67], v[70:71], v[2:3], v[66:67] op_sel_hi:[0,1,1]
	v_pk_fma_f32 v[62:63], v[70:71], v[4:5], v[62:63] op_sel_hi:[0,1,1]
	s_cbranch_scc1 .LBB227_12
; %bb.13:                               ;   in Loop: Header=BB227_5 Depth=1
	s_or_b32 s2, s29, 0x80
	s_cmp_ge_i32 s2, s15
	s_barrier
	s_cbranch_scc1 .LBB227_4
; %bb.14:                               ;   in Loop: Header=BB227_5 Depth=1
	v_add_u32_e32 v2, s28, v74
	v_cmp_gt_i32_e64 s[2:3], s9, v2
	s_and_b64 s[22:23], s[0:1], s[2:3]
	s_and_saveexec_b64 s[2:3], s[22:23]
	s_cbranch_execz .LBB227_16
; %bb.15:                               ;   in Loop: Header=BB227_5 Depth=1
	v_add_u32_e32 v2, v68, v2
	v_mad_i64_i32 v[2:3], s[22:23], v2, 36, v[64:65]
	global_load_dword v2, v[2:3], off offset:4
	s_waitcnt vmcnt(0)
	ds_write_b32 v51, v2
.LBB227_16:                             ;   in Loop: Header=BB227_5 Depth=1
	s_or_b64 exec, exec, s[2:3]
	s_and_saveexec_b64 s[22:23], vcc
	s_cbranch_execz .LBB227_19
; %bb.17:                               ;   in Loop: Header=BB227_5 Depth=1
	v_or_b32_e32 v2, s28, v13
	v_or_b32_e32 v3, 4, v2
	v_cmp_gt_i32_e64 s[2:3], s9, v3
	s_and_b64 s[2:3], s[0:1], s[2:3]
	s_and_b64 exec, exec, s[2:3]
	s_cbranch_execz .LBB227_19
; %bb.18:                               ;   in Loop: Header=BB227_5 Depth=1
	v_ashrrev_i32_e32 v3, 31, v2
	v_add_co_u32_e64 v2, s[2:3], v68, v2
	v_addc_co_u32_e64 v4, s[2:3], v1, v3, s[2:3]
	v_mad_u64_u32 v[2:3], s[2:3], v2, 36, s[4:5]
	v_mad_i32_i24 v3, v4, 36, v3
	global_load_dword v2, v[2:3], off
	s_waitcnt vmcnt(0)
	v_cvt_f32_f16_e32 v2, v2
	ds_write_b32 v53, v2
.LBB227_19:                             ;   in Loop: Header=BB227_5 Depth=1
	s_or_b64 exec, exec, s[22:23]
	s_mov_b32 s2, 8
	s_mov_b32 s3, 0
	v_mov_b32_e32 v98, v82
	v_mov_b32_e32 v99, v83
	s_waitcnt lgkmcnt(0)
	s_barrier
.LBB227_20:                             ;   Parent Loop BB227_5 Depth=1
                                        ; =>  This Inner Loop Header: Depth=2
	s_add_i32 s22, s3, 8
	s_and_b32 s23, s2, -16
	v_add_u32_e32 v100, s3, v78
	s_and_b32 s30, s22, 0x3ffffff8
	s_lshr_b32 s31, s22, 2
	v_add3_u32 v112, v87, s23, v100
	v_add3_u32 v116, v86, s23, v100
	v_add3_u32 v128, v85, s23, v100
	v_add3_u32 v144, v84, s23, v100
	s_lshl_b32 s23, s30, 2
	s_and_b32 s30, s31, 0x3ffffffc
	v_add_u32_e32 v106, s23, v55
	v_add_u32_e32 v113, s30, v57
	;; [unrolled: 1-line block ×8, first 2 shown]
	ds_read_b32 v70, v99
	ds_read_b128 v[6:9], v98
	ds_read_b128 v[2:5], v98 offset:16
	ds_read2_b32 v[100:101], v106 offset1:1
	ds_read2_b32 v[102:103], v106 offset0:2 offset1:3
	ds_read2_b32 v[104:105], v106 offset0:4 offset1:5
	;; [unrolled: 1-line block ×3, first 2 shown]
	ds_read2_b32 v[108:109], v114 offset1:1
	ds_read2_b32 v[110:111], v114 offset0:2 offset1:3
	ds_read_b32 v146, v113
	ds_read_u16 v147, v112
	ds_read2_b32 v[112:113], v114 offset0:4 offset1:5
	ds_read2_b32 v[114:115], v114 offset0:6 offset1:7
	ds_read_b32 v148, v117
	ds_read_u16 v149, v116
	ds_read2_b32 v[116:117], v122 offset1:1
	ds_read2_b32 v[118:119], v122 offset0:2 offset1:3
	ds_read2_b32 v[120:121], v122 offset0:4 offset1:5
	;; [unrolled: 1-line block ×3, first 2 shown]
	ds_read2_b32 v[124:125], v130 offset1:1
	ds_read2_b32 v[126:127], v130 offset0:2 offset1:3
	ds_read_b32 v150, v129
	ds_read_u16 v151, v128
	ds_read2_b32 v[128:129], v130 offset0:4 offset1:5
	ds_read2_b32 v[130:131], v130 offset0:6 offset1:7
	ds_read_b32 v145, v145
	ds_read_u16 v144, v144
	s_waitcnt lgkmcnt(14)
	v_ashrrev_i32_e32 v152, s3, v100
	v_ashrrev_i32_e32 v153, s3, v101
	;; [unrolled: 1-line block ×8, first 2 shown]
	v_bfe_u32 v160, v147, 4, 4
	v_lshrrev_b32_sdwa v162, v96, v147 dst_sel:DWORD dst_unused:UNUSED_PAD src0_sel:DWORD src1_sel:BYTE_1
	s_waitcnt lgkmcnt(12)
	v_bfe_u32 v163, v149, 4, 4
	v_lshrrev_b32_sdwa v165, v96, v149 dst_sel:DWORD dst_unused:UNUSED_PAD src0_sel:DWORD src1_sel:BYTE_1
	v_cvt_f32_f16_e32 v100, v146
	v_cvt_f32_f16_sdwa v102, v146 dst_sel:DWORD dst_unused:UNUSED_PAD src0_sel:WORD_1
	s_waitcnt lgkmcnt(4)
	v_bfe_u32 v146, v151, 4, 4
	s_waitcnt lgkmcnt(0)
	v_bfe_u32 v167, v144, 4, 4
	v_mov_b32_e32 v133, 0
	v_mov_b32_e32 v136, 0
	;; [unrolled: 1-line block ×4, first 2 shown]
	v_cvt_f32_f16_e32 v105, v145
	v_cvt_f32_f16_e32 v104, v150
	v_cvt_f32_f16_sdwa v107, v145 dst_sel:DWORD dst_unused:UNUSED_PAD src0_sel:WORD_1
	v_cvt_f32_f16_sdwa v106, v150 dst_sel:DWORD dst_unused:UNUSED_PAD src0_sel:WORD_1
	v_and_b32_e32 v145, 0x3030303, v152
	v_and_b32_e32 v150, 0x3030303, v153
	;; [unrolled: 1-line block ×8, first 2 shown]
	v_mul_lo_u32 v158, v160, s17
	v_mul_lo_u32 v159, v162, s17
	;; [unrolled: 1-line block ×6, first 2 shown]
	v_ashrrev_i32_e32 v108, s3, v108
	v_dot4c_i32_i8_e32 v133, v158, v6
	v_dot4c_i32_i8_e32 v136, v160, v6
	;; [unrolled: 1-line block ×4, first 2 shown]
	v_mov_b32_e32 v132, 0
	v_mov_b32_e32 v135, 0
	v_ashrrev_i32_e32 v109, s3, v109
	v_ashrrev_i32_e32 v112, s3, v112
	;; [unrolled: 1-line block ×4, first 2 shown]
	v_and_b32_e32 v108, 0x3030303, v108
	v_dot4c_i32_i8_e32 v133, v158, v7
	v_dot4c_i32_i8_e32 v136, v160, v7
	;; [unrolled: 1-line block ×4, first 2 shown]
	v_mov_b32_e32 v134, 0
	v_mov_b32_e32 v137, 0
	v_mov_b32_e32 v138, 0
	v_mov_b32_e32 v141, 0
	v_ashrrev_i32_e32 v110, s3, v110
	v_ashrrev_i32_e32 v113, s3, v113
	;; [unrolled: 1-line block ×4, first 2 shown]
	v_lshrrev_b32_sdwa v166, v96, v151 dst_sel:DWORD dst_unused:UNUSED_PAD src0_sel:DWORD src1_sel:BYTE_1
	v_ashrrev_i32_e32 v125, s3, v125
	v_ashrrev_i32_e32 v128, s3, v128
	v_lshrrev_b32_sdwa v169, v96, v144 dst_sel:DWORD dst_unused:UNUSED_PAD src0_sel:DWORD src1_sel:BYTE_1
	v_and_b32_e32 v109, 0x3030303, v109
	v_and_b32_e32 v112, 0x3030303, v112
	;; [unrolled: 1-line block ×4, first 2 shown]
	v_dot4c_i32_i8_e32 v132, v145, v6
	v_dot4c_i32_i8_e32 v135, v108, v6
	;; [unrolled: 1-line block ×6, first 2 shown]
	v_mov_b32_e32 v140, 0
	v_mov_b32_e32 v143, 0
	v_ashrrev_i32_e32 v111, s3, v111
	v_ashrrev_i32_e32 v114, s3, v114
	;; [unrolled: 1-line block ×6, first 2 shown]
	v_and_b32_e32 v110, 0x3030303, v110
	v_and_b32_e32 v113, 0x3030303, v113
	;; [unrolled: 1-line block ×4, first 2 shown]
	v_mul_lo_u32 v163, v166, s17
	v_and_b32_e32 v125, 0x3030303, v125
	v_and_b32_e32 v128, 0x3030303, v128
	v_mul_lo_u32 v166, v169, s17
	v_dot4c_i32_i8_e32 v134, v154, v2
	v_dot4c_i32_i8_e32 v137, v112, v2
	;; [unrolled: 1-line block ×10, first 2 shown]
	v_ashrrev_i32_e32 v115, s3, v115
	v_ashrrev_i32_e32 v119, s3, v119
	;; [unrolled: 1-line block ×5, first 2 shown]
	v_and_b32_e32 v111, 0x3030303, v111
	v_and_b32_e32 v114, 0x3030303, v114
	;; [unrolled: 1-line block ×6, first 2 shown]
	v_dot4c_i32_i8_e32 v140, v120, v2
	v_dot4c_i32_i8_e32 v143, v128, v2
	;; [unrolled: 1-line block ×12, first 2 shown]
	v_and_b32_e32 v161, 15, v147
	v_and_b32_e32 v164, 15, v149
	v_ashrrev_i32_e32 v123, s3, v123
	v_ashrrev_i32_e32 v131, s3, v131
	v_and_b32_e32 v115, 0x3030303, v115
	v_and_b32_e32 v119, 0x3030303, v119
	;; [unrolled: 1-line block ×5, first 2 shown]
	v_dot4c_i32_i8_e32 v140, v121, v3
	v_dot4c_i32_i8_e32 v143, v129, v3
	v_dot4c_i32_i8_e32 v134, v156, v4
	v_dot4c_i32_i8_e32 v137, v114, v4
	v_dot4c_i32_i8_e32 v138, v118, v8
	v_dot4c_i32_i8_e32 v141, v126, v8
	v_dot4c_i32_i8_e32 v132, v153, v9
	v_dot4c_i32_i8_e32 v135, v111, v9
	v_dot4c_i32_i8_e32 v133, v159, v3
	v_dot4c_i32_i8_e32 v136, v162, v3
	v_dot4c_i32_i8_e32 v139, v163, v3
	v_dot4c_i32_i8_e32 v142, v166, v3
	s_add_i32 s2, s2, 2
	v_and_b32_sdwa v147, v147, v97 dst_sel:DWORD dst_unused:UNUSED_PAD src0_sel:BYTE_1 src1_sel:DWORD
	v_and_b32_sdwa v149, v149, v97 dst_sel:DWORD dst_unused:UNUSED_PAD src0_sel:BYTE_1 src1_sel:DWORD
	v_cvt_f32_f16_e32 v101, v148
	v_cvt_f32_f16_sdwa v103, v148 dst_sel:DWORD dst_unused:UNUSED_PAD src0_sel:WORD_1
	v_and_b32_e32 v148, 15, v151
	v_and_b32_e32 v168, 15, v144
	s_add_i32 s3, s3, 2
	v_and_b32_e32 v123, 0x3030303, v123
	v_and_b32_e32 v131, 0x3030303, v131
	v_dot4c_i32_i8_e32 v140, v122, v4
	v_dot4c_i32_i8_e32 v143, v130, v4
	;; [unrolled: 1-line block ×6, first 2 shown]
	v_mul_lo_u32 v6, v161, v132
	v_mul_lo_u32 v8, v164, v135
	v_dot4c_i32_i8_e32 v133, v159, v4
	v_dot4c_i32_i8_e32 v136, v162, v4
	;; [unrolled: 1-line block ×4, first 2 shown]
	v_and_b32_sdwa v151, v151, v97 dst_sel:DWORD dst_unused:UNUSED_PAD src0_sel:BYTE_1 src1_sel:DWORD
	v_and_b32_sdwa v144, v144, v97 dst_sel:DWORD dst_unused:UNUSED_PAD src0_sel:BYTE_1 src1_sel:DWORD
	s_cmp_lt_u32 s22, 14
	v_dot4c_i32_i8_e32 v140, v123, v5
	v_dot4c_i32_i8_e32 v143, v131, v5
	v_mul_lo_u32 v108, v148, v138
	v_mul_lo_u32 v110, v168, v141
	v_mad_u64_u32 v[6:7], s[22:23], v147, v134, v[6:7]
	v_mad_u64_u32 v[8:9], s[22:23], v149, v137, v[8:9]
	v_dot4c_i32_i8_e32 v133, v159, v5
	v_dot4c_i32_i8_e32 v136, v162, v5
	v_dot4c_i32_i8_e32 v139, v163, v5
	v_dot4c_i32_i8_e32 v142, v166, v5
	v_mad_u64_u32 v[2:3], s[22:23], v151, v140, v[108:109]
	v_mad_u64_u32 v[108:109], s[22:23], v144, v143, v[110:111]
	v_cvt_f32_i32_e32 v7, v8
	v_cvt_f32_i32_e32 v5, v136
	;; [unrolled: 1-line block ×8, first 2 shown]
	v_pk_mul_f32 v[4:5], v[102:103], v[4:5]
	v_pk_mul_f32 v[8:9], v[106:107], v[8:9]
	v_pk_fma_f32 v[4:5], v[100:101], v[6:7], v[4:5] neg_lo:[0,0,1] neg_hi:[0,0,1]
	v_pk_fma_f32 v[2:3], v[104:105], v[2:3], v[8:9] neg_lo:[0,0,1] neg_hi:[0,0,1]
	v_add_u32_e32 v99, 4, v99
	v_add_u32_e32 v98, 32, v98
	v_pk_fma_f32 v[66:67], v[70:71], v[4:5], v[66:67] op_sel_hi:[0,1,1]
	v_pk_fma_f32 v[62:63], v[70:71], v[2:3], v[62:63] op_sel_hi:[0,1,1]
	s_cbranch_scc1 .LBB227_20
; %bb.21:                               ;   in Loop: Header=BB227_5 Depth=1
	s_or_b32 s2, s29, 0x100
	s_cmp_ge_i32 s2, s15
	s_barrier
	s_cbranch_scc1 .LBB227_4
; %bb.22:                               ;   in Loop: Header=BB227_5 Depth=1
	v_add_u32_e32 v2, s28, v75
	v_cmp_gt_i32_e64 s[2:3], s9, v2
	s_and_b64 s[22:23], s[0:1], s[2:3]
	s_and_saveexec_b64 s[2:3], s[22:23]
	s_cbranch_execz .LBB227_24
; %bb.23:                               ;   in Loop: Header=BB227_5 Depth=1
	v_add_u32_e32 v2, v68, v2
	v_mad_i64_i32 v[2:3], s[22:23], v2, 36, v[64:65]
	global_load_dword v2, v[2:3], off offset:4
	s_waitcnt vmcnt(0)
	ds_write_b32 v51, v2
.LBB227_24:                             ;   in Loop: Header=BB227_5 Depth=1
	s_or_b64 exec, exec, s[2:3]
	s_and_saveexec_b64 s[22:23], vcc
	s_cbranch_execz .LBB227_27
; %bb.25:                               ;   in Loop: Header=BB227_5 Depth=1
	v_or_b32_e32 v2, s28, v13
	v_or_b32_e32 v3, 8, v2
	v_cmp_gt_i32_e64 s[2:3], s9, v3
	s_and_b64 s[2:3], s[0:1], s[2:3]
	s_and_b64 exec, exec, s[2:3]
	s_cbranch_execz .LBB227_27
; %bb.26:                               ;   in Loop: Header=BB227_5 Depth=1
	v_ashrrev_i32_e32 v3, 31, v2
	v_add_co_u32_e64 v2, s[2:3], v68, v2
	v_addc_co_u32_e64 v4, s[2:3], v1, v3, s[2:3]
	v_mad_u64_u32 v[2:3], s[2:3], v2, 36, s[18:19]
	v_mad_i32_i24 v3, v4, 36, v3
	global_load_dword v2, v[2:3], off
	s_waitcnt vmcnt(0)
	v_cvt_f32_f16_e32 v2, v2
	ds_write_b32 v53, v2
.LBB227_27:                             ;   in Loop: Header=BB227_5 Depth=1
	s_or_b64 exec, exec, s[22:23]
	s_mov_b32 s2, 16
	s_mov_b32 s3, 14
	v_mov_b32_e32 v98, v82
	v_mov_b32_e32 v99, v83
	s_waitcnt lgkmcnt(0)
	s_barrier
.LBB227_28:                             ;   Parent Loop BB227_5 Depth=1
                                        ; =>  This Inner Loop Header: Depth=2
	s_add_i32 s23, s3, 2
	s_and_b32 s30, s2, -16
	s_and_b32 s31, s23, 0x3ffffff8
	s_lshr_b32 s33, s23, 2
	s_add_i32 s30, s3, s30
	s_lshl_b32 s31, s31, 2
	s_and_b32 s33, s33, 0x3ffffffc
	v_add_u32_e32 v112, s30, v91
	v_add_u32_e32 v116, s30, v90
	;; [unrolled: 1-line block ×12, first 2 shown]
	ds_read_b32 v70, v99
	ds_read_b128 v[6:9], v98
	ds_read_b128 v[2:5], v98 offset:16
	ds_read2_b32 v[100:101], v106 offset1:1
	ds_read2_b32 v[102:103], v106 offset0:2 offset1:3
	ds_read2_b32 v[104:105], v106 offset0:4 offset1:5
	;; [unrolled: 1-line block ×3, first 2 shown]
	ds_read2_b32 v[108:109], v114 offset1:1
	ds_read2_b32 v[110:111], v114 offset0:2 offset1:3
	ds_read_b32 v146, v113
	ds_read_u16 v147, v112 offset:16882
	ds_read2_b32 v[112:113], v114 offset0:4 offset1:5
	ds_read2_b32 v[114:115], v114 offset0:6 offset1:7
	ds_read_b32 v148, v117
	ds_read_u16 v149, v116 offset:17906
	ds_read2_b32 v[116:117], v122 offset1:1
	ds_read2_b32 v[118:119], v122 offset0:2 offset1:3
	ds_read2_b32 v[120:121], v122 offset0:4 offset1:5
	;; [unrolled: 1-line block ×3, first 2 shown]
	ds_read2_b32 v[124:125], v130 offset1:1
	ds_read2_b32 v[126:127], v130 offset0:2 offset1:3
	ds_read_b32 v150, v129
	ds_read_u16 v151, v128 offset:18930
	ds_read2_b32 v[128:129], v130 offset0:4 offset1:5
	ds_read2_b32 v[130:131], v130 offset0:6 offset1:7
	ds_read_b32 v145, v145
	ds_read_u16 v144, v144 offset:19954
	s_add_i32 s22, s3, -14
	s_waitcnt lgkmcnt(14)
	v_ashrrev_i32_e32 v152, s22, v100
	v_ashrrev_i32_e32 v154, s22, v102
	;; [unrolled: 1-line block ×4, first 2 shown]
	v_bfe_u32 v160, v147, 4, 4
	s_waitcnt lgkmcnt(12)
	v_bfe_u32 v162, v149, 4, 4
	v_cvt_f32_f16_e32 v100, v146
	v_cvt_f32_f16_sdwa v102, v146 dst_sel:DWORD dst_unused:UNUSED_PAD src0_sel:WORD_1
	s_waitcnt lgkmcnt(4)
	v_bfe_u32 v146, v151, 4, 4
	s_waitcnt lgkmcnt(0)
	v_bfe_u32 v166, v144, 4, 4
	v_mov_b32_e32 v133, 0
	v_mov_b32_e32 v136, 0
	;; [unrolled: 1-line block ×4, first 2 shown]
	v_ashrrev_i32_e32 v157, s22, v105
	v_ashrrev_i32_e32 v159, s22, v107
	v_cvt_f32_f16_e32 v105, v145
	v_cvt_f32_f16_sdwa v107, v145 dst_sel:DWORD dst_unused:UNUSED_PAD src0_sel:WORD_1
	v_and_b32_e32 v145, 0x3030303, v152
	v_and_b32_e32 v152, 0x3030303, v154
	;; [unrolled: 1-line block ×4, first 2 shown]
	v_mul_lo_u32 v158, v160, s17
	v_mul_lo_u32 v160, v162, s17
	;; [unrolled: 1-line block ×4, first 2 shown]
	v_ashrrev_i32_e32 v108, s22, v108
	v_dot4c_i32_i8_e32 v133, v158, v6
	v_dot4c_i32_i8_e32 v136, v160, v6
	;; [unrolled: 1-line block ×4, first 2 shown]
	v_mov_b32_e32 v132, 0
	v_mov_b32_e32 v135, 0
	v_ashrrev_i32_e32 v153, s22, v101
	v_ashrrev_i32_e32 v109, s22, v109
	;; [unrolled: 1-line block ×5, first 2 shown]
	v_and_b32_e32 v108, 0x3030303, v108
	v_dot4c_i32_i8_e32 v133, v158, v7
	v_dot4c_i32_i8_e32 v136, v160, v7
	;; [unrolled: 1-line block ×4, first 2 shown]
	v_mov_b32_e32 v134, 0
	v_mov_b32_e32 v137, 0
	;; [unrolled: 1-line block ×4, first 2 shown]
	v_ashrrev_i32_e32 v155, s22, v103
	v_lshrrev_b32_sdwa v161, v96, v147 dst_sel:DWORD dst_unused:UNUSED_PAD src0_sel:DWORD src1_sel:BYTE_1
	v_ashrrev_i32_e32 v110, s22, v110
	v_ashrrev_i32_e32 v113, s22, v113
	v_lshrrev_b32_sdwa v163, v96, v149 dst_sel:DWORD dst_unused:UNUSED_PAD src0_sel:DWORD src1_sel:BYTE_1
	v_cvt_f32_f16_e32 v101, v148
	v_cvt_f32_f16_sdwa v103, v148 dst_sel:DWORD dst_unused:UNUSED_PAD src0_sel:WORD_1
	v_ashrrev_i32_e32 v117, s22, v117
	v_ashrrev_i32_e32 v120, s22, v120
	v_lshrrev_b32_sdwa v148, v96, v151 dst_sel:DWORD dst_unused:UNUSED_PAD src0_sel:DWORD src1_sel:BYTE_1
	v_ashrrev_i32_e32 v125, s22, v125
	v_ashrrev_i32_e32 v128, s22, v128
	v_lshrrev_b32_sdwa v167, v96, v144 dst_sel:DWORD dst_unused:UNUSED_PAD src0_sel:DWORD src1_sel:BYTE_1
	v_cvt_f32_f16_e32 v104, v150
	v_cvt_f32_f16_sdwa v106, v150 dst_sel:DWORD dst_unused:UNUSED_PAD src0_sel:WORD_1
	v_and_b32_e32 v150, 0x3030303, v153
	v_and_b32_e32 v109, 0x3030303, v109
	v_and_b32_e32 v112, 0x3030303, v112
	v_and_b32_e32 v116, 0x3030303, v116
	v_and_b32_e32 v124, 0x3030303, v124
	v_dot4c_i32_i8_e32 v132, v145, v6
	v_dot4c_i32_i8_e32 v135, v108, v6
	;; [unrolled: 1-line block ×6, first 2 shown]
	v_mov_b32_e32 v140, 0
	v_mov_b32_e32 v143, 0
	v_ashrrev_i32_e32 v111, s22, v111
	v_ashrrev_i32_e32 v114, s22, v114
	;; [unrolled: 1-line block ×6, first 2 shown]
	v_and_b32_e32 v153, 0x3030303, v155
	v_and_b32_e32 v155, 0x3030303, v157
	;; [unrolled: 1-line block ×3, first 2 shown]
	v_mul_lo_u32 v159, v161, s17
	v_and_b32_e32 v110, 0x3030303, v110
	v_and_b32_e32 v113, 0x3030303, v113
	v_mul_lo_u32 v161, v163, s17
	v_and_b32_e32 v117, 0x3030303, v117
	v_and_b32_e32 v120, 0x3030303, v120
	;; [unrolled: 3-line block ×3, first 2 shown]
	v_mul_lo_u32 v163, v167, s17
	v_dot4c_i32_i8_e32 v134, v154, v2
	v_dot4c_i32_i8_e32 v137, v112, v2
	;; [unrolled: 1-line block ×10, first 2 shown]
	v_ashrrev_i32_e32 v115, s22, v115
	v_ashrrev_i32_e32 v119, s22, v119
	;; [unrolled: 1-line block ×5, first 2 shown]
	v_and_b32_e32 v111, 0x3030303, v111
	v_and_b32_e32 v114, 0x3030303, v114
	;; [unrolled: 1-line block ×6, first 2 shown]
	v_dot4c_i32_i8_e32 v140, v120, v2
	v_dot4c_i32_i8_e32 v143, v128, v2
	;; [unrolled: 1-line block ×12, first 2 shown]
	v_and_b32_e32 v164, 15, v147
	v_and_b32_e32 v165, 15, v149
	v_ashrrev_i32_e32 v123, s22, v123
	v_ashrrev_i32_e32 v131, s22, v131
	v_and_b32_e32 v115, 0x3030303, v115
	v_and_b32_e32 v119, 0x3030303, v119
	;; [unrolled: 1-line block ×5, first 2 shown]
	v_dot4c_i32_i8_e32 v140, v121, v3
	v_dot4c_i32_i8_e32 v143, v129, v3
	;; [unrolled: 1-line block ×12, first 2 shown]
	s_add_i32 s2, s2, 2
	v_and_b32_sdwa v149, v149, v97 dst_sel:DWORD dst_unused:UNUSED_PAD src0_sel:BYTE_1 src1_sel:DWORD
	v_and_b32_sdwa v147, v147, v97 dst_sel:DWORD dst_unused:UNUSED_PAD src0_sel:BYTE_1 src1_sel:DWORD
	v_and_b32_e32 v168, 15, v151
	v_and_b32_e32 v169, 15, v144
	;; [unrolled: 1-line block ×4, first 2 shown]
	v_dot4c_i32_i8_e32 v140, v122, v4
	v_dot4c_i32_i8_e32 v143, v130, v4
	;; [unrolled: 1-line block ×6, first 2 shown]
	v_mul_lo_u32 v6, v165, v135
	v_mul_lo_u32 v8, v164, v132
	v_dot4c_i32_i8_e32 v133, v159, v4
	v_dot4c_i32_i8_e32 v136, v161, v4
	;; [unrolled: 1-line block ×4, first 2 shown]
	s_mov_b32 s3, s23
	s_cmp_lt_u32 s23, 22
	v_and_b32_sdwa v144, v144, v97 dst_sel:DWORD dst_unused:UNUSED_PAD src0_sel:BYTE_1 src1_sel:DWORD
	v_and_b32_sdwa v151, v151, v97 dst_sel:DWORD dst_unused:UNUSED_PAD src0_sel:BYTE_1 src1_sel:DWORD
	v_dot4c_i32_i8_e32 v140, v123, v5
	v_dot4c_i32_i8_e32 v143, v131, v5
	v_mul_lo_u32 v2, v169, v141
	v_mul_lo_u32 v108, v168, v138
	v_mad_u64_u32 v[8:9], s[22:23], v147, v134, v[8:9]
	v_mad_u64_u32 v[6:7], s[22:23], v149, v137, v[6:7]
	v_dot4c_i32_i8_e32 v133, v159, v5
	v_dot4c_i32_i8_e32 v136, v161, v5
	;; [unrolled: 1-line block ×4, first 2 shown]
	v_mad_u64_u32 v[108:109], s[22:23], v151, v140, v[108:109]
	v_mad_u64_u32 v[2:3], s[22:23], v144, v143, v[2:3]
	v_cvt_f32_i32_e32 v7, v6
	v_cvt_f32_i32_e32 v6, v8
	;; [unrolled: 1-line block ×8, first 2 shown]
	v_pk_mul_f32 v[4:5], v[102:103], v[4:5]
	v_pk_mul_f32 v[8:9], v[106:107], v[8:9]
	v_pk_fma_f32 v[4:5], v[100:101], v[6:7], v[4:5] neg_lo:[0,0,1] neg_hi:[0,0,1]
	v_pk_fma_f32 v[2:3], v[104:105], v[2:3], v[8:9] neg_lo:[0,0,1] neg_hi:[0,0,1]
	v_add_u32_e32 v99, 4, v99
	v_add_u32_e32 v98, 32, v98
	v_pk_fma_f32 v[66:67], v[70:71], v[4:5], v[66:67] op_sel_hi:[0,1,1]
	v_pk_fma_f32 v[62:63], v[70:71], v[2:3], v[62:63] op_sel_hi:[0,1,1]
	s_cbranch_scc1 .LBB227_28
; %bb.29:                               ;   in Loop: Header=BB227_5 Depth=1
	s_or_b32 s2, s29, 0x180
	s_cmp_ge_i32 s2, s15
	s_barrier
	s_cbranch_scc1 .LBB227_4
; %bb.30:                               ;   in Loop: Header=BB227_5 Depth=1
	v_add_u32_e32 v2, s28, v76
	v_cmp_gt_i32_e64 s[2:3], s9, v2
	s_and_b64 s[22:23], s[0:1], s[2:3]
	s_and_saveexec_b64 s[2:3], s[22:23]
	s_cbranch_execz .LBB227_32
; %bb.31:                               ;   in Loop: Header=BB227_5 Depth=1
	v_add_u32_e32 v2, v68, v2
	v_mad_i64_i32 v[2:3], s[22:23], v2, 36, v[64:65]
	global_load_dword v2, v[2:3], off offset:4
	s_waitcnt vmcnt(0)
	ds_write_b32 v51, v2
.LBB227_32:                             ;   in Loop: Header=BB227_5 Depth=1
	s_or_b64 exec, exec, s[2:3]
	s_and_saveexec_b64 s[22:23], vcc
	s_cbranch_execz .LBB227_35
; %bb.33:                               ;   in Loop: Header=BB227_5 Depth=1
	v_or_b32_e32 v2, s28, v13
	v_or_b32_e32 v3, 12, v2
	v_cmp_gt_i32_e64 s[2:3], s9, v3
	s_and_b64 s[2:3], s[0:1], s[2:3]
	s_and_b64 exec, exec, s[2:3]
	s_cbranch_execz .LBB227_35
; %bb.34:                               ;   in Loop: Header=BB227_5 Depth=1
	v_ashrrev_i32_e32 v3, 31, v2
	v_add_co_u32_e64 v2, s[2:3], v68, v2
	v_addc_co_u32_e64 v4, s[2:3], v1, v3, s[2:3]
	v_mad_u64_u32 v[2:3], s[2:3], v2, 36, s[20:21]
	v_mad_i32_i24 v3, v4, 36, v3
	global_load_dword v2, v[2:3], off
	s_waitcnt vmcnt(0)
	v_cvt_f32_f16_e32 v2, v2
	ds_write_b32 v53, v2
.LBB227_35:                             ;   in Loop: Header=BB227_5 Depth=1
	s_or_b64 exec, exec, s[22:23]
	s_mov_b32 s2, 24
	s_mov_b32 s3, 22
	v_mov_b32_e32 v98, v82
	v_mov_b32_e32 v99, v83
	s_waitcnt lgkmcnt(0)
	s_barrier
.LBB227_36:                             ;   Parent Loop BB227_5 Depth=1
                                        ; =>  This Inner Loop Header: Depth=2
	s_add_i32 s23, s3, 2
	s_and_b32 s28, s2, -16
	s_and_b32 s29, s23, 0x3ffffff8
	s_lshr_b32 s30, s23, 2
	s_add_i32 s28, s3, s28
	s_lshl_b32 s29, s29, 2
	s_and_b32 s30, s30, 0x3ffffffc
	v_add_u32_e32 v112, s28, v91
	v_add_u32_e32 v116, s28, v90
	;; [unrolled: 1-line block ×12, first 2 shown]
	ds_read_b32 v70, v99
	ds_read_b128 v[6:9], v98
	ds_read_b128 v[2:5], v98 offset:16
	ds_read2_b32 v[100:101], v106 offset1:1
	ds_read2_b32 v[102:103], v106 offset0:2 offset1:3
	ds_read2_b32 v[104:105], v106 offset0:4 offset1:5
	;; [unrolled: 1-line block ×3, first 2 shown]
	ds_read2_b32 v[108:109], v114 offset1:1
	ds_read2_b32 v[110:111], v114 offset0:2 offset1:3
	ds_read_b32 v146, v113
	ds_read_u16 v147, v112 offset:16882
	ds_read2_b32 v[112:113], v114 offset0:4 offset1:5
	ds_read2_b32 v[114:115], v114 offset0:6 offset1:7
	ds_read_b32 v148, v117
	ds_read_u16 v149, v116 offset:17906
	ds_read2_b32 v[116:117], v122 offset1:1
	ds_read2_b32 v[118:119], v122 offset0:2 offset1:3
	ds_read2_b32 v[120:121], v122 offset0:4 offset1:5
	;; [unrolled: 1-line block ×3, first 2 shown]
	ds_read2_b32 v[124:125], v130 offset1:1
	ds_read2_b32 v[126:127], v130 offset0:2 offset1:3
	ds_read_b32 v150, v129
	ds_read_u16 v151, v128 offset:18930
	ds_read2_b32 v[128:129], v130 offset0:4 offset1:5
	ds_read2_b32 v[130:131], v130 offset0:6 offset1:7
	ds_read_b32 v145, v145
	ds_read_u16 v144, v144 offset:19954
	s_sub_i32 s22, s3, 22
	s_waitcnt lgkmcnt(14)
	v_ashrrev_i32_e32 v152, s22, v100
	v_ashrrev_i32_e32 v154, s22, v102
	;; [unrolled: 1-line block ×4, first 2 shown]
	v_bfe_u32 v160, v147, 4, 4
	s_waitcnt lgkmcnt(12)
	v_bfe_u32 v162, v149, 4, 4
	v_cvt_f32_f16_e32 v100, v146
	v_cvt_f32_f16_sdwa v102, v146 dst_sel:DWORD dst_unused:UNUSED_PAD src0_sel:WORD_1
	s_waitcnt lgkmcnt(4)
	v_bfe_u32 v146, v151, 4, 4
	s_waitcnt lgkmcnt(0)
	v_bfe_u32 v166, v144, 4, 4
	v_mov_b32_e32 v136, 0
	v_mov_b32_e32 v137, 0
	;; [unrolled: 1-line block ×4, first 2 shown]
	v_ashrrev_i32_e32 v157, s22, v105
	v_ashrrev_i32_e32 v159, s22, v107
	v_cvt_f32_f16_e32 v105, v145
	v_cvt_f32_f16_sdwa v107, v145 dst_sel:DWORD dst_unused:UNUSED_PAD src0_sel:WORD_1
	v_and_b32_e32 v145, 0x3030303, v152
	v_and_b32_e32 v152, 0x3030303, v154
	;; [unrolled: 1-line block ×4, first 2 shown]
	v_mul_lo_u32 v158, v160, s17
	v_mul_lo_u32 v160, v162, s17
	;; [unrolled: 1-line block ×4, first 2 shown]
	v_ashrrev_i32_e32 v108, s22, v108
	v_dot4c_i32_i8_e32 v136, v158, v6
	v_dot4c_i32_i8_e32 v137, v160, v6
	v_dot4c_i32_i8_e32 v142, v146, v6
	v_dot4c_i32_i8_e32 v143, v162, v6
	v_mov_b32_e32 v132, 0
	v_mov_b32_e32 v134, 0
	v_ashrrev_i32_e32 v153, s22, v101
	v_ashrrev_i32_e32 v109, s22, v109
	v_ashrrev_i32_e32 v112, s22, v112
	v_ashrrev_i32_e32 v116, s22, v116
	v_ashrrev_i32_e32 v124, s22, v124
	v_and_b32_e32 v108, 0x3030303, v108
	v_dot4c_i32_i8_e32 v136, v158, v7
	v_dot4c_i32_i8_e32 v137, v160, v7
	;; [unrolled: 1-line block ×4, first 2 shown]
	v_mov_b32_e32 v133, 0
	v_mov_b32_e32 v135, 0
	;; [unrolled: 1-line block ×4, first 2 shown]
	v_ashrrev_i32_e32 v155, s22, v103
	v_ashrrev_i32_e32 v110, s22, v110
	;; [unrolled: 1-line block ×3, first 2 shown]
	v_lshrrev_b32_sdwa v161, v96, v147 dst_sel:DWORD dst_unused:UNUSED_PAD src0_sel:DWORD src1_sel:BYTE_1
	v_lshrrev_b32_sdwa v165, v96, v149 dst_sel:DWORD dst_unused:UNUSED_PAD src0_sel:DWORD src1_sel:BYTE_1
	v_cvt_f32_f16_e32 v101, v148
	v_cvt_f32_f16_sdwa v103, v148 dst_sel:DWORD dst_unused:UNUSED_PAD src0_sel:WORD_1
	v_ashrrev_i32_e32 v117, s22, v117
	v_ashrrev_i32_e32 v120, s22, v120
	;; [unrolled: 1-line block ×4, first 2 shown]
	v_lshrrev_b32_sdwa v148, v96, v151 dst_sel:DWORD dst_unused:UNUSED_PAD src0_sel:DWORD src1_sel:BYTE_1
	v_lshrrev_b32_sdwa v169, v96, v144 dst_sel:DWORD dst_unused:UNUSED_PAD src0_sel:DWORD src1_sel:BYTE_1
	v_cvt_f32_f16_e32 v104, v150
	v_cvt_f32_f16_sdwa v106, v150 dst_sel:DWORD dst_unused:UNUSED_PAD src0_sel:WORD_1
	v_and_b32_e32 v150, 0x3030303, v153
	v_and_b32_e32 v109, 0x3030303, v109
	;; [unrolled: 1-line block ×5, first 2 shown]
	v_dot4c_i32_i8_e32 v132, v145, v6
	v_dot4c_i32_i8_e32 v134, v108, v6
	;; [unrolled: 1-line block ×6, first 2 shown]
	v_mov_b32_e32 v139, 0
	v_mov_b32_e32 v141, 0
	v_ashrrev_i32_e32 v111, s22, v111
	v_ashrrev_i32_e32 v114, s22, v114
	;; [unrolled: 1-line block ×6, first 2 shown]
	v_and_b32_e32 v153, 0x3030303, v155
	v_and_b32_e32 v155, 0x3030303, v157
	;; [unrolled: 1-line block ×5, first 2 shown]
	v_mul_lo_u32 v159, v161, s17
	v_mul_lo_u32 v161, v165, s17
	v_and_b32_e32 v117, 0x3030303, v117
	v_and_b32_e32 v120, 0x3030303, v120
	v_and_b32_e32 v125, 0x3030303, v125
	v_and_b32_e32 v128, 0x3030303, v128
	v_mul_lo_u32 v148, v148, s17
	v_mul_lo_u32 v165, v169, s17
	v_dot4c_i32_i8_e32 v133, v154, v2
	v_dot4c_i32_i8_e32 v135, v112, v2
	;; [unrolled: 1-line block ×10, first 2 shown]
	v_ashrrev_i32_e32 v115, s22, v115
	v_ashrrev_i32_e32 v119, s22, v119
	;; [unrolled: 1-line block ×5, first 2 shown]
	v_and_b32_e32 v111, 0x3030303, v111
	v_and_b32_e32 v114, 0x3030303, v114
	;; [unrolled: 1-line block ×6, first 2 shown]
	v_dot4c_i32_i8_e32 v139, v120, v2
	v_dot4c_i32_i8_e32 v141, v128, v2
	;; [unrolled: 1-line block ×12, first 2 shown]
	v_and_b32_e32 v163, 15, v147
	v_and_b32_e32 v164, 15, v149
	v_ashrrev_i32_e32 v123, s22, v123
	v_ashrrev_i32_e32 v131, s22, v131
	v_and_b32_e32 v115, 0x3030303, v115
	v_and_b32_e32 v119, 0x3030303, v119
	;; [unrolled: 1-line block ×5, first 2 shown]
	v_dot4c_i32_i8_e32 v139, v121, v3
	v_dot4c_i32_i8_e32 v141, v129, v3
	;; [unrolled: 1-line block ×12, first 2 shown]
	s_add_i32 s2, s2, 2
	v_and_b32_sdwa v149, v149, v97 dst_sel:DWORD dst_unused:UNUSED_PAD src0_sel:BYTE_1 src1_sel:DWORD
	v_and_b32_sdwa v147, v147, v97 dst_sel:DWORD dst_unused:UNUSED_PAD src0_sel:BYTE_1 src1_sel:DWORD
	v_and_b32_e32 v167, 15, v151
	v_and_b32_e32 v168, 15, v144
	;; [unrolled: 1-line block ×4, first 2 shown]
	v_dot4c_i32_i8_e32 v139, v122, v4
	v_dot4c_i32_i8_e32 v141, v130, v4
	;; [unrolled: 1-line block ×6, first 2 shown]
	v_mul_lo_u32 v6, v164, v134
	v_mul_lo_u32 v8, v163, v132
	v_dot4c_i32_i8_e32 v136, v159, v4
	v_dot4c_i32_i8_e32 v137, v161, v4
	;; [unrolled: 1-line block ×4, first 2 shown]
	s_mov_b32 s3, s23
	s_cmp_lt_u32 s23, 30
	v_and_b32_sdwa v144, v144, v97 dst_sel:DWORD dst_unused:UNUSED_PAD src0_sel:BYTE_1 src1_sel:DWORD
	v_and_b32_sdwa v151, v151, v97 dst_sel:DWORD dst_unused:UNUSED_PAD src0_sel:BYTE_1 src1_sel:DWORD
	v_dot4c_i32_i8_e32 v139, v123, v5
	v_dot4c_i32_i8_e32 v141, v131, v5
	v_mul_lo_u32 v108, v168, v140
	v_mul_lo_u32 v110, v167, v138
	v_mad_u64_u32 v[8:9], s[22:23], v147, v133, v[8:9]
	v_mad_u64_u32 v[6:7], s[22:23], v149, v135, v[6:7]
	v_dot4c_i32_i8_e32 v136, v159, v5
	v_dot4c_i32_i8_e32 v137, v161, v5
	;; [unrolled: 1-line block ×4, first 2 shown]
	v_mad_u64_u32 v[2:3], s[22:23], v151, v139, v[110:111]
	v_mad_u64_u32 v[108:109], s[22:23], v144, v141, v[108:109]
	v_cvt_f32_i32_e32 v7, v6
	v_cvt_f32_i32_e32 v6, v8
	;; [unrolled: 1-line block ×8, first 2 shown]
	v_pk_mul_f32 v[4:5], v[102:103], v[4:5]
	v_pk_mul_f32 v[8:9], v[106:107], v[8:9]
	v_pk_fma_f32 v[4:5], v[100:101], v[6:7], v[4:5] neg_lo:[0,0,1] neg_hi:[0,0,1]
	v_pk_fma_f32 v[2:3], v[104:105], v[2:3], v[8:9] neg_lo:[0,0,1] neg_hi:[0,0,1]
	v_add_u32_e32 v99, 4, v99
	v_add_u32_e32 v98, 32, v98
	v_pk_fma_f32 v[66:67], v[70:71], v[4:5], v[66:67] op_sel_hi:[0,1,1]
	v_pk_fma_f32 v[62:63], v[70:71], v[2:3], v[62:63] op_sel_hi:[0,1,1]
	s_cbranch_scc1 .LBB227_36
; %bb.37:                               ;   in Loop: Header=BB227_5 Depth=1
	s_barrier
	s_branch .LBB227_4
.LBB227_38:
	s_mul_i32 s0, s11, s8
	s_waitcnt vmcnt(0)
	v_cmp_gt_i32_e32 vcc, s0, v11
	s_and_saveexec_b64 s[0:1], vcc
	s_cbranch_execz .LBB227_47
; %bb.39:
	v_and_b32_e32 v0, 0x3ff, v0
	v_add_u32_e32 v1, s24, v0
	v_mul_lo_u32 v0, v11, s10
	v_cmp_gt_u32_e32 vcc, s10, v1
	s_and_saveexec_b64 s[0:1], vcc
	s_cbranch_execz .LBB227_41
; %bb.40:
	v_bfe_u32 v2, v66, 16, 1
	s_movk_i32 s2, 0x7fff
	v_add3_u32 v2, v66, v2, s2
	v_lshrrev_b32_e32 v2, 16, v2
	v_mov_b32_e32 v3, 0x7fc0
	v_cmp_o_f32_e32 vcc, v66, v66
	v_cndmask_b32_e32 v4, v3, v2, vcc
	v_add_u32_e32 v2, v0, v1
	v_mov_b32_e32 v3, 0
	v_lshlrev_b64 v[2:3], 1, v[2:3]
	v_mov_b32_e32 v5, s13
	v_add_co_u32_e32 v2, vcc, s12, v2
	v_addc_co_u32_e32 v3, vcc, v5, v3, vcc
	global_store_short v[2:3], v4, off
.LBB227_41:
	s_or_b64 exec, exec, s[0:1]
	v_add_u32_e32 v2, 32, v1
	v_cmp_gt_u32_e32 vcc, s10, v2
	s_and_saveexec_b64 s[0:1], vcc
	s_cbranch_execz .LBB227_43
; %bb.42:
	v_bfe_u32 v3, v67, 16, 1
	s_movk_i32 s2, 0x7fff
	v_add3_u32 v3, v67, v3, s2
	v_lshrrev_b32_e32 v3, 16, v3
	v_mov_b32_e32 v4, 0x7fc0
	v_cmp_o_f32_e32 vcc, v67, v67
	v_cndmask_b32_e32 v4, v4, v3, vcc
	v_add_u32_e32 v2, v0, v2
	v_mov_b32_e32 v3, 0
	v_lshlrev_b64 v[2:3], 1, v[2:3]
	v_mov_b32_e32 v5, s13
	v_add_co_u32_e32 v2, vcc, s12, v2
	v_addc_co_u32_e32 v3, vcc, v5, v3, vcc
	global_store_short v[2:3], v4, off
.LBB227_43:
	s_or_b64 exec, exec, s[0:1]
	v_add_u32_e32 v2, 64, v1
	;; [unrolled: 21-line block ×3, first 2 shown]
	v_cmp_gt_u32_e32 vcc, s10, v1
	s_and_b64 exec, exec, vcc
	s_cbranch_execz .LBB227_47
; %bb.46:
	v_bfe_u32 v2, v63, 16, 1
	s_movk_i32 s0, 0x7fff
	v_add3_u32 v2, v63, v2, s0
	v_add_u32_e32 v0, v0, v1
	v_mov_b32_e32 v1, 0
	v_lshrrev_b32_e32 v2, 16, v2
	v_mov_b32_e32 v3, 0x7fc0
	v_cmp_o_f32_e32 vcc, v63, v63
	v_lshlrev_b64 v[0:1], 1, v[0:1]
	v_cndmask_b32_e32 v2, v3, v2, vcc
	v_mov_b32_e32 v3, s13
	v_add_co_u32_e32 v0, vcc, s12, v0
	v_addc_co_u32_e32 v1, vcc, v3, v1, vcc
	global_store_short v[0:1], v2, off
.LBB227_47:
	s_endpgm
	.section	.rodata,"a",@progbits
	.p2align	6, 0x0
	.amdhsa_kernel _ZL8moe_q2_KIN3c108BFloat16ELb0EEvPKvS3_PT_PKiS7_S7_iiiiiii
		.amdhsa_group_segment_fixed_size 23328
		.amdhsa_private_segment_fixed_size 0
		.amdhsa_kernarg_size 76
		.amdhsa_user_sgpr_count 6
		.amdhsa_user_sgpr_private_segment_buffer 1
		.amdhsa_user_sgpr_dispatch_ptr 0
		.amdhsa_user_sgpr_queue_ptr 0
		.amdhsa_user_sgpr_kernarg_segment_ptr 1
		.amdhsa_user_sgpr_dispatch_id 0
		.amdhsa_user_sgpr_flat_scratch_init 0
		.amdhsa_user_sgpr_kernarg_preload_length 0
		.amdhsa_user_sgpr_kernarg_preload_offset 0
		.amdhsa_user_sgpr_private_segment_size 0
		.amdhsa_uses_dynamic_stack 0
		.amdhsa_system_sgpr_private_segment_wavefront_offset 0
		.amdhsa_system_sgpr_workgroup_id_x 1
		.amdhsa_system_sgpr_workgroup_id_y 1
		.amdhsa_system_sgpr_workgroup_id_z 0
		.amdhsa_system_sgpr_workgroup_info 0
		.amdhsa_system_vgpr_workitem_id 1
		.amdhsa_next_free_vgpr 170
		.amdhsa_next_free_sgpr 34
		.amdhsa_accum_offset 172
		.amdhsa_reserve_vcc 1
		.amdhsa_reserve_flat_scratch 0
		.amdhsa_float_round_mode_32 0
		.amdhsa_float_round_mode_16_64 0
		.amdhsa_float_denorm_mode_32 3
		.amdhsa_float_denorm_mode_16_64 3
		.amdhsa_dx10_clamp 1
		.amdhsa_ieee_mode 1
		.amdhsa_fp16_overflow 0
		.amdhsa_tg_split 0
		.amdhsa_exception_fp_ieee_invalid_op 0
		.amdhsa_exception_fp_denorm_src 0
		.amdhsa_exception_fp_ieee_div_zero 0
		.amdhsa_exception_fp_ieee_overflow 0
		.amdhsa_exception_fp_ieee_underflow 0
		.amdhsa_exception_fp_ieee_inexact 0
		.amdhsa_exception_int_div_zero 0
	.end_amdhsa_kernel
	.section	.text._ZL8moe_q2_KIN3c108BFloat16ELb0EEvPKvS3_PT_PKiS7_S7_iiiiiii,"axG",@progbits,_ZL8moe_q2_KIN3c108BFloat16ELb0EEvPKvS3_PT_PKiS7_S7_iiiiiii,comdat
.Lfunc_end227:
	.size	_ZL8moe_q2_KIN3c108BFloat16ELb0EEvPKvS3_PT_PKiS7_S7_iiiiiii, .Lfunc_end227-_ZL8moe_q2_KIN3c108BFloat16ELb0EEvPKvS3_PT_PKiS7_S7_iiiiiii
                                        ; -- End function
	.section	.AMDGPU.csdata,"",@progbits
; Kernel info:
; codeLenInByte = 8872
; NumSgprs: 38
; NumVgprs: 170
; NumAgprs: 0
; TotalNumVgprs: 170
; ScratchSize: 0
; MemoryBound: 0
; FloatMode: 240
; IeeeMode: 1
; LDSByteSize: 23328 bytes/workgroup (compile time only)
; SGPRBlocks: 4
; VGPRBlocks: 21
; NumSGPRsForWavesPerEU: 38
; NumVGPRsForWavesPerEU: 170
; AccumOffset: 172
; Occupancy: 2
; WaveLimiterHint : 1
; COMPUTE_PGM_RSRC2:SCRATCH_EN: 0
; COMPUTE_PGM_RSRC2:USER_SGPR: 6
; COMPUTE_PGM_RSRC2:TRAP_HANDLER: 0
; COMPUTE_PGM_RSRC2:TGID_X_EN: 1
; COMPUTE_PGM_RSRC2:TGID_Y_EN: 1
; COMPUTE_PGM_RSRC2:TGID_Z_EN: 0
; COMPUTE_PGM_RSRC2:TIDIG_COMP_CNT: 1
; COMPUTE_PGM_RSRC3_GFX90A:ACCUM_OFFSET: 42
; COMPUTE_PGM_RSRC3_GFX90A:TG_SPLIT: 0
	.section	.text._ZL8moe_q2_KIN3c108BFloat16ELb1EEvPKvS3_PT_PKiS7_S7_iiiiiii,"axG",@progbits,_ZL8moe_q2_KIN3c108BFloat16ELb1EEvPKvS3_PT_PKiS7_S7_iiiiiii,comdat
	.globl	_ZL8moe_q2_KIN3c108BFloat16ELb1EEvPKvS3_PT_PKiS7_S7_iiiiiii ; -- Begin function _ZL8moe_q2_KIN3c108BFloat16ELb1EEvPKvS3_PT_PKiS7_S7_iiiiiii
	.p2align	8
	.type	_ZL8moe_q2_KIN3c108BFloat16ELb1EEvPKvS3_PT_PKiS7_S7_iiiiiii,@function
_ZL8moe_q2_KIN3c108BFloat16ELb1EEvPKvS3_PT_PKiS7_S7_iiiiiii: ; @_ZL8moe_q2_KIN3c108BFloat16ELb1EEvPKvS3_PT_PKiS7_S7_iiiiiii
; %bb.0:
	s_load_dwordx4 s[0:3], s[4:5], 0x18
	s_mov_b32 s8, s7
	s_mov_b32 s9, 0
	s_lshl_b64 s[10:11], s[8:9], 2
	s_waitcnt lgkmcnt(0)
	s_add_u32 s2, s2, s10
	s_addc_u32 s3, s3, s11
	s_load_dword s2, s[2:3], 0x0
	s_waitcnt lgkmcnt(0)
	s_cmpk_gt_u32 s2, 0xff
	s_cbranch_scc1 .LBB228_47
; %bb.1:
	s_load_dwordx2 s[10:11], s[4:5], 0x28
	s_lshl_b32 s3, s8, 3
	s_waitcnt lgkmcnt(0)
	s_load_dword s7, s[10:11], 0x0
	s_waitcnt lgkmcnt(0)
	s_cmp_gt_u32 s3, s7
	s_cbranch_scc1 .LBB228_47
; %bb.2:
	v_bfe_u32 v1, v0, 10, 10
	v_add_u32_e32 v2, s3, v1
	v_mov_b32_e32 v3, 0
	v_lshlrev_b64 v[2:3], 2, v[2:3]
	v_mov_b32_e32 v4, s1
	v_add_co_u32_e32 v2, vcc, s0, v2
	v_addc_co_u32_e32 v3, vcc, v4, v3, vcc
	global_load_dword v11, v[2:3], off
	s_load_dwordx8 s[8:15], s[4:5], 0x30
	s_load_dwordx2 s[16:17], s[4:5], 0x10
	s_mov_b32 s18, 0
	s_waitcnt lgkmcnt(0)
	s_lshl_b32 s15, s6, 7
	s_mov_b32 s19, s18
	s_cmpk_lt_i32 s9, 0x100
	v_pk_mov_b32 v[94:95], s[18:19], s[18:19] op_sel:[0,1]
	v_pk_mov_b32 v[98:99], s[18:19], s[18:19] op_sel:[0,1]
	s_cbranch_scc1 .LBB228_38
; %bb.3:
	s_ashr_i32 s0, s9, 31
	s_lshr_b32 s0, s0, 24
	s_load_dwordx4 s[4:7], s[4:5], 0x0
	s_add_i32 s0, s9, s0
	s_ashr_i32 s26, s0, 8
	s_ashr_i32 s0, s12, 31
	s_lshr_b32 s0, s0, 27
	s_add_i32 s0, s12, s0
	s_mul_i32 s2, s2, s8
	s_ashr_i32 s12, s0, 5
	s_ashr_i32 s0, s2, 31
	s_waitcnt lgkmcnt(0)
	s_add_u32 s1, s4, s2
	s_mul_i32 s2, s26, s15
	s_addc_u32 s0, s5, s0
	s_mul_hi_i32 s3, s2, 0x54
	s_mulk_i32 s2, 0x54
	s_add_u32 s27, s1, s2
	s_addc_u32 s28, s0, s3
	s_not_b32 s0, s15
	s_add_i32 s2, s0, s10
	v_and_b32_e32 v13, 0x3ff, v0
	v_lshlrev_b32_e32 v2, 2, v13
	v_min_i32_e32 v3, s2, v1
	s_movk_i32 s3, 0x84
	v_mul_lo_u32 v14, v3, s26
	v_mad_u64_u32 v[16:17], s[0:1], v3, s3, v[2:3]
	v_add_u32_e32 v3, 8, v1
	v_min_i32_e32 v3, s2, v3
	v_mul_lo_u32 v18, v3, s26
	v_mad_u64_u32 v[20:21], s[0:1], v3, s3, v[2:3]
	v_add_u32_e32 v3, 16, v1
	v_min_i32_e32 v3, s2, v3
	;; [unrolled: 4-line block ×15, first 2 shown]
	v_mul_lo_u32 v74, v3, s26
	v_mad_u64_u32 v[76:77], s[0:1], v3, s3, v[2:3]
	v_lshlrev_b32_e32 v3, 4, v1
	v_lshrrev_b32_e32 v4, 1, v13
	v_add_u32_e32 v4, v4, v3
	v_and_b32_e32 v4, 0x7f, v4
	v_min_i32_e32 v4, s2, v4
	v_ashrrev_i32_e32 v5, 31, v4
	v_lshrrev_b32_e32 v5, 28, v5
	v_add_u32_e32 v5, v4, v5
	v_and_b32_e32 v78, 1, v13
	v_ashrrev_i32_e32 v5, 4, v5
	v_lshlrev_b32_e32 v5, 2, v5
	v_lshlrev_b32_e32 v6, 2, v78
	s_movk_i32 s0, 0x5280
	v_add3_u32 v5, v5, v6, s0
	v_lshlrev_b32_e32 v6, 2, v1
	v_lshrrev_b32_e32 v15, 3, v13
	v_add_u32_e32 v7, v15, v6
	v_min_i32_e32 v9, s2, v7
	v_ashrrev_i32_e32 v17, 31, v9
	v_lshrrev_b32_e32 v17, 30, v17
	v_and_b32_e32 v8, 7, v13
	v_add_u32_e32 v17, v9, v17
	v_cmp_lt_u32_e32 vcc, 3, v8
	v_and_b32_e32 v17, -4, v17
	v_lshlrev_b32_e32 v8, 2, v8
	s_movk_i32 s1, 0x4200
	v_add3_u32 v75, v17, v8, s1
	v_add_u32_e32 v17, 32, v7
	v_min_i32_e32 v17, s2, v17
	v_ashrrev_i32_e32 v19, 31, v17
	v_lshrrev_b32_e32 v19, 30, v19
	v_mul_lo_u32 v88, v17, s26
	v_add_u32_e32 v19, v17, v19
	v_lshlrev_b32_e32 v79, 5, v17
	v_add_u32_e32 v17, 64, v7
	v_and_b32_e32 v19, -4, v19
	v_min_i32_e32 v17, s2, v17
	v_add3_u32 v77, v19, v8, s1
	v_ashrrev_i32_e32 v19, 31, v17
	v_add_u32_e32 v7, 0x60, v7
	v_lshrrev_b32_e32 v19, 30, v19
	v_min_i32_e32 v7, s2, v7
	v_mul_lo_u32 v90, v17, s26
	v_add_u32_e32 v19, v17, v19
	v_lshlrev_b32_e32 v83, 5, v17
	v_ashrrev_i32_e32 v17, 31, v7
	v_lshrrev_b32_e32 v17, 30, v17
	v_add_u32_e32 v17, v7, v17
	v_and_b32_e32 v12, 60, v2
	v_and_b32_e32 v84, 12, v2
	v_and_b32_e32 v19, -4, v19
	v_and_b32_e32 v17, -4, v17
	v_and_b32_e32 v2, 28, v2
	v_cndmask_b32_e64 v82, 0, 1, vcc
	v_add3_u32 v81, v19, v8, s1
	v_add3_u32 v8, v17, v8, s1
	v_and_b32_e32 v17, 31, v13
	v_add_co_u32_e32 v96, vcc, s6, v2
	v_lshlrev_b32_e32 v2, 7, v1
	v_lshl_or_b32 v1, v17, 2, v2
	v_lshrrev_b32_e32 v10, 4, v13
	v_mov_b32_e32 v19, s7
	v_add_u32_e32 v17, 0x56a0, v1
	v_or_b32_e32 v1, v6, v13
	v_mov_b32_e32 v6, 0x5aa0
	v_addc_co_u32_e32 v97, vcc, 0, v19, vcc
	v_lshl_add_u32 v19, v1, 2, v6
	v_lshlrev_b32_e32 v1, 3, v13
	v_lshlrev_b32_e32 v23, 2, v10
	v_add_u32_e32 v6, 32, v13
	v_add3_u32 v23, v23, v1, s0
	v_mov_b32_e32 v1, 0x1080
	v_mad_u32_u24 v25, v13, s3, v1
	v_lshrrev_b32_e32 v1, 2, v6
	v_lshlrev_b32_e32 v27, 3, v6
	v_and_b32_e32 v1, 0x7c, v1
	v_add_u32_e32 v47, 64, v13
	v_add3_u32 v27, v27, v1, s0
	v_mov_b32_e32 v1, 0x2100
	v_mad_u32_u24 v29, v13, s3, v1
	v_lshrrev_b32_e32 v1, 2, v47
	s_abs_i32 s2, s14
	v_lshlrev_b32_e32 v31, 3, v47
	v_and_b32_e32 v1, 0x7c, v1
	v_cvt_f32_u32_e32 v41, s2
	v_add_u32_e32 v43, 0x60, v13
	v_add3_u32 v31, v31, v1, s0
	v_mov_b32_e32 v1, 0x3180
	v_mad_u32_u24 v33, v13, s3, v1
	v_lshrrev_b32_e32 v1, 2, v43
	v_lshlrev_b32_e32 v35, 3, v43
	v_and_b32_e32 v1, 0x7c, v1
	v_add3_u32 v35, v35, v1, s0
	v_rcp_iflag_f32_e32 v1, v41
	s_sub_i32 s0, 0, s2
	s_waitcnt vmcnt(0)
	v_sub_u32_e32 v49, 0, v11
	v_max_i32_e32 v49, v11, v49
	v_mul_f32_e32 v1, 0x4f7ffffe, v1
	v_cvt_u32_f32_e32 v1, v1
	v_xor_b32_e32 v45, s14, v11
	s_add_u32 s4, s6, 0x90
	v_ashrrev_i32_e32 v45, 31, v45
	v_mul_lo_u32 v51, s0, v1
	v_mul_hi_u32 v51, v1, v51
	v_add_u32_e32 v1, v1, v51
	v_mul_hi_u32 v1, v49, v1
	v_mul_lo_u32 v51, v1, s2
	v_sub_u32_e32 v49, v49, v51
	v_add_u32_e32 v51, 1, v1
	v_cmp_le_u32_e64 s[0:1], s2, v49
	v_cndmask_b32_e64 v1, v1, v51, s[0:1]
	v_subrev_u32_e32 v51, s2, v49
	v_cndmask_b32_e64 v49, v49, v51, s[0:1]
	v_add_u32_e32 v51, 1, v1
	v_cmp_le_u32_e64 s[0:1], s2, v49
	v_cndmask_b32_e64 v1, v1, v51, s[0:1]
	s_addc_u32 s5, s7, 0
	v_xor_b32_e32 v1, v1, v45
	s_add_u32 s20, s6, 0x120
	v_sub_u32_e32 v1, v1, v45
	s_addc_u32 s21, s7, 0
	v_mul_lo_u32 v80, v4, s26
	v_lshlrev_b32_e32 v4, 3, v4
	v_mul_lo_u32 v86, v9, s26
	v_lshlrev_b32_e32 v9, 5, v9
	;; [unrolled: 2-line block ×3, first 2 shown]
	v_lshrrev_b32_e32 v39, 3, v47
	v_lshrrev_b32_e32 v41, 3, v43
	v_mul_lo_u32 v100, v1, s12
	s_add_u32 s22, s6, 0x1b0
	v_and_b32_e32 v43, 0x1fc, v43
	v_lshlrev_b32_e32 v45, 5, v13
	v_and_b32_e32 v47, 0x1fc, v47
	v_and_b32_e32 v49, 0x1fc, v6
	v_and_b32_e32 v51, 0xfc, v13
	s_movk_i32 s8, 0x54
	v_cmp_gt_u32_e32 vcc, 4, v13
	v_mul_u32_u24_e32 v21, 0x84, v13
	v_lshrrev_b32_e32 v37, 3, v6
	v_cmp_gt_i32_e64 s[0:1], s11, v1
	v_ashrrev_i32_e32 v1, 31, v100
	s_addc_u32 s23, s7, 0
	v_add_u32_e32 v53, 0x56a0, v2
	v_add_u32_e32 v55, 0x5aa0, v3
	;; [unrolled: 1-line block ×10, first 2 shown]
	v_pk_mov_b32 v[98:99], s[18:19], s[18:19] op_sel:[0,1]
	v_add_u32_e32 v73, v5, v4
	v_add_u32_e32 v75, v75, v9
	;; [unrolled: 1-line block ×5, first 2 shown]
	s_mov_b32 s10, 0x1010101
	v_mov_b32_e32 v83, 4
	v_mov_b32_e32 v85, 15
	v_pk_mov_b32 v[94:95], s[18:19], s[18:19] op_sel:[0,1]
	s_branch .LBB228_5
.LBB228_4:                              ;   in Loop: Header=BB228_5 Depth=1
	s_add_i32 s18, s18, 2
	s_cmp_ge_i32 s18, s26
	s_cbranch_scc1 .LBB228_38
.LBB228_5:                              ; =>This Loop Header: Depth=1
                                        ;     Child Loop BB228_12 Depth 2
                                        ;     Child Loop BB228_20 Depth 2
	;; [unrolled: 1-line block ×4, first 2 shown]
	s_mul_i32 s2, s18, 0x54
	s_mul_hi_u32 s3, s18, 0x54
	s_add_u32 s2, s27, s2
	s_addc_u32 s3, s28, s3
	v_pk_mov_b32 v[2:3], s[2:3], s[2:3] op_sel:[0,1]
	v_mad_u64_u32 v[4:5], s[2:3], v10, s8, v[2:3]
	v_add_co_u32_e64 v4, s[2:3], v4, v12
	v_addc_co_u32_e64 v5, s[2:3], 0, v5, s[2:3]
	v_add_co_u32_e64 v4, s[2:3], 16, v4
	v_addc_co_u32_e64 v5, s[2:3], 0, v5, s[2:3]
	v_mad_i64_i32 v[6:7], s[2:3], v14, s8, v[4:5]
	v_mad_i64_i32 v[8:9], s[2:3], v18, s8, v[4:5]
	;; [unrolled: 1-line block ×8, first 2 shown]
	global_load_dword v87, v[6:7], off
	global_load_dword v89, v[8:9], off
	;; [unrolled: 1-line block ×8, first 2 shown]
	v_mad_i64_i32 v[6:7], s[2:3], v46, s8, v[4:5]
	v_mad_i64_i32 v[8:9], s[2:3], v50, s8, v[4:5]
	;; [unrolled: 1-line block ×8, first 2 shown]
	global_load_dword v112, v[6:7], off
	global_load_dword v113, v[8:9], off
	;; [unrolled: 1-line block ×8, first 2 shown]
	v_mad_i64_i32 v[4:5], s[2:3], v80, s8, v[2:3]
	v_mad_u64_u32 v[4:5], s[2:3], v78, s8, v[4:5]
	v_mad_u64_u32 v[2:3], s[2:3], v82, s8, v[2:3]
	v_add_co_u32_e64 v2, s[2:3], v2, v84
	v_addc_co_u32_e64 v3, s[2:3], 0, v3, s[2:3]
	v_mad_i64_i32 v[6:7], s[2:3], v86, s8, v[2:3]
	v_mad_i64_i32 v[8:9], s[2:3], v88, s8, v[2:3]
	;; [unrolled: 1-line block ×4, first 2 shown]
	global_load_dword v104, v[4:5], off offset:80
	global_load_dword v105, v[6:7], off
	global_load_dword v106, v[8:9], off
	global_load_dword v107, v[102:103], off
	s_lshl_b32 s29, s18, 8
	global_load_dword v2, v[2:3], off
	s_cmp_lt_i32 s29, s9
	s_waitcnt vmcnt(20)
	ds_write_b32 v16, v87
	s_waitcnt vmcnt(19)
	ds_write_b32 v20, v89
	s_waitcnt vmcnt(18)
	ds_write_b32 v24, v91
	s_waitcnt vmcnt(17)
	ds_write_b32 v28, v93
	s_waitcnt vmcnt(16)
	ds_write_b32 v32, v101
	s_waitcnt vmcnt(15)
	ds_write_b32 v36, v114
	s_waitcnt vmcnt(14)
	ds_write_b32 v40, v115
	s_waitcnt vmcnt(13)
	ds_write_b32 v44, v116
	s_waitcnt vmcnt(12)
	ds_write_b32 v48, v112
	s_waitcnt vmcnt(11)
	ds_write_b32 v52, v113
	s_waitcnt vmcnt(10)
	ds_write_b32 v56, v117
	s_waitcnt vmcnt(9)
	ds_write_b32 v60, v118
	s_waitcnt vmcnt(8)
	ds_write_b32 v64, v119
	s_waitcnt vmcnt(7)
	ds_write_b32 v68, v120
	s_waitcnt vmcnt(6)
	ds_write_b32 v72, v121
	s_waitcnt vmcnt(5)
	ds_write_b32 v76, v122
	s_waitcnt vmcnt(4)
	ds_write_b32 v73, v104
	s_waitcnt vmcnt(3)
	ds_write_b32 v75, v105
	s_waitcnt vmcnt(2)
	ds_write_b32 v77, v106
	s_waitcnt vmcnt(1)
	ds_write_b32 v79, v107
	s_waitcnt vmcnt(0)
	ds_write_b32 v81, v2
	s_cbranch_scc0 .LBB228_4
; %bb.6:                                ;   in Loop: Header=BB228_5 Depth=1
	s_lshl_b32 s19, s18, 3
	v_add_u32_e32 v2, s19, v15
	v_cmp_gt_i32_e64 s[2:3], s12, v2
	s_and_b64 s[24:25], s[0:1], s[2:3]
	s_and_saveexec_b64 s[2:3], s[24:25]
	s_cbranch_execz .LBB228_8
; %bb.7:                                ;   in Loop: Header=BB228_5 Depth=1
	v_add_u32_e32 v2, v100, v2
	v_mad_i64_i32 v[2:3], s[24:25], v2, 36, v[96:97]
	global_load_dword v2, v[2:3], off offset:4
	s_waitcnt vmcnt(0)
	ds_write_b32 v17, v2
.LBB228_8:                              ;   in Loop: Header=BB228_5 Depth=1
	s_or_b64 exec, exec, s[2:3]
	s_and_saveexec_b64 s[24:25], vcc
	s_cbranch_execz .LBB228_11
; %bb.9:                                ;   in Loop: Header=BB228_5 Depth=1
	v_or_b32_e32 v2, s19, v13
	v_cmp_gt_i32_e64 s[2:3], s12, v2
	s_and_b64 s[2:3], s[0:1], s[2:3]
	s_and_b64 exec, exec, s[2:3]
	s_cbranch_execz .LBB228_11
; %bb.10:                               ;   in Loop: Header=BB228_5 Depth=1
	v_add_u32_e32 v2, v100, v2
	v_mad_i64_i32 v[2:3], s[2:3], v2, 36, s[6:7]
	global_load_dword v2, v[2:3], off
	s_waitcnt vmcnt(0)
	v_cvt_f32_f16_e32 v2, v2
	ds_write_b32 v19, v2
.LBB228_11:                             ;   in Loop: Header=BB228_5 Depth=1
	s_or_b64 exec, exec, s[24:25]
	s_mov_b32 s2, 0
	s_mov_b32 s3, -2
	v_mov_b32_e32 v87, v55
	v_mov_b32_e32 v89, v53
	s_waitcnt lgkmcnt(0)
	s_barrier
.LBB228_12:                             ;   Parent Loop BB228_5 Depth=1
                                        ; =>  This Inner Loop Header: Depth=2
	s_and_b32 s25, s2, -16
	s_add_i32 s24, s3, 2
	v_add_u32_e32 v104, s25, v45
	s_and_b32 s25, s24, 0x3ffffff8
	s_lshr_b32 s30, s24, 2
	s_lshl_b32 s25, s25, 2
	s_and_b32 s30, s30, 0x3ffffffc
	v_add3_u32 v116, v51, s3, v104
	v_add3_u32 v120, v49, s3, v104
	;; [unrolled: 1-line block ×4, first 2 shown]
	v_add_u32_e32 v110, s25, v21
	v_add_u32_e32 v117, s30, v23
	;; [unrolled: 1-line block ×8, first 2 shown]
	ds_read_b32 v102, v87
	ds_read_b128 v[6:9], v89
	ds_read_b128 v[2:5], v89 offset:16
	ds_read2_b32 v[104:105], v110 offset1:1
	ds_read2_b32 v[106:107], v110 offset0:2 offset1:3
	ds_read2_b32 v[108:109], v110 offset0:4 offset1:5
	ds_read2_b32 v[110:111], v110 offset0:6 offset1:7
	ds_read2_b32 v[112:113], v118 offset1:1
	ds_read2_b32 v[114:115], v118 offset0:2 offset1:3
	ds_read_b32 v146, v117
	ds_read_u16 v147, v116 offset:16898
	ds_read2_b32 v[116:117], v118 offset0:4 offset1:5
	ds_read2_b32 v[118:119], v118 offset0:6 offset1:7
	ds_read_b32 v148, v121
	ds_read_u16 v149, v120 offset:17922
	ds_read2_b32 v[120:121], v126 offset1:1
	ds_read2_b32 v[122:123], v126 offset0:2 offset1:3
	ds_read2_b32 v[124:125], v126 offset0:4 offset1:5
	;; [unrolled: 1-line block ×3, first 2 shown]
	ds_read2_b32 v[128:129], v134 offset1:1
	ds_read2_b32 v[130:131], v134 offset0:2 offset1:3
	ds_read_b32 v150, v133
	ds_read_u16 v151, v132 offset:18946
	ds_read2_b32 v[132:133], v134 offset0:4 offset1:5
	ds_read2_b32 v[134:135], v134 offset0:6 offset1:7
	ds_read_b32 v145, v145
	ds_read_u16 v144, v144 offset:19970
	s_waitcnt lgkmcnt(14)
	v_ashrrev_i32_e32 v152, s24, v104
	v_ashrrev_i32_e32 v153, s24, v105
	;; [unrolled: 1-line block ×8, first 2 shown]
	v_bfe_u32 v160, v147, 4, 4
	v_lshrrev_b32_sdwa v162, v83, v147 dst_sel:DWORD dst_unused:UNUSED_PAD src0_sel:DWORD src1_sel:BYTE_1
	s_waitcnt lgkmcnt(12)
	v_bfe_u32 v163, v149, 4, 4
	v_lshrrev_b32_sdwa v165, v83, v149 dst_sel:DWORD dst_unused:UNUSED_PAD src0_sel:DWORD src1_sel:BYTE_1
	v_cvt_f32_f16_e32 v104, v146
	v_cvt_f32_f16_sdwa v106, v146 dst_sel:DWORD dst_unused:UNUSED_PAD src0_sel:WORD_1
	s_waitcnt lgkmcnt(4)
	v_bfe_u32 v146, v151, 4, 4
	s_waitcnt lgkmcnt(0)
	v_bfe_u32 v167, v144, 4, 4
	v_mov_b32_e32 v93, 0
	v_mov_b32_e32 v136, 0
	;; [unrolled: 1-line block ×4, first 2 shown]
	v_cvt_f32_f16_e32 v109, v145
	v_cvt_f32_f16_e32 v108, v150
	v_cvt_f32_f16_sdwa v111, v145 dst_sel:DWORD dst_unused:UNUSED_PAD src0_sel:WORD_1
	v_cvt_f32_f16_sdwa v110, v150 dst_sel:DWORD dst_unused:UNUSED_PAD src0_sel:WORD_1
	v_and_b32_e32 v145, 0x3030303, v152
	v_and_b32_e32 v150, 0x3030303, v153
	;; [unrolled: 1-line block ×8, first 2 shown]
	v_mul_lo_u32 v158, v160, s10
	v_mul_lo_u32 v159, v162, s10
	;; [unrolled: 1-line block ×6, first 2 shown]
	v_ashrrev_i32_e32 v112, s24, v112
	v_ashrrev_i32_e32 v128, s24, v128
	v_dot4c_i32_i8_e32 v93, v158, v6
	v_dot4c_i32_i8_e32 v136, v160, v6
	;; [unrolled: 1-line block ×4, first 2 shown]
	v_mov_b32_e32 v103, 0
	v_mov_b32_e32 v141, 0
	v_ashrrev_i32_e32 v113, s24, v113
	v_ashrrev_i32_e32 v116, s24, v116
	v_ashrrev_i32_e32 v120, s24, v120
	v_ashrrev_i32_e32 v129, s24, v129
	v_ashrrev_i32_e32 v132, s24, v132
	v_and_b32_e32 v112, 0x3030303, v112
	v_and_b32_e32 v128, 0x3030303, v128
	v_dot4c_i32_i8_e32 v93, v158, v7
	v_dot4c_i32_i8_e32 v136, v160, v7
	;; [unrolled: 1-line block ×4, first 2 shown]
	v_mov_b32_e32 v91, 0
	v_mov_b32_e32 v137, 0
	;; [unrolled: 1-line block ×4, first 2 shown]
	v_ashrrev_i32_e32 v114, s24, v114
	v_ashrrev_i32_e32 v117, s24, v117
	;; [unrolled: 1-line block ×4, first 2 shown]
	v_lshrrev_b32_sdwa v166, v83, v151 dst_sel:DWORD dst_unused:UNUSED_PAD src0_sel:DWORD src1_sel:BYTE_1
	v_ashrrev_i32_e32 v130, s24, v130
	v_ashrrev_i32_e32 v133, s24, v133
	v_lshrrev_b32_sdwa v169, v83, v144 dst_sel:DWORD dst_unused:UNUSED_PAD src0_sel:DWORD src1_sel:BYTE_1
	v_and_b32_e32 v113, 0x3030303, v113
	v_and_b32_e32 v116, 0x3030303, v116
	;; [unrolled: 1-line block ×5, first 2 shown]
	v_dot4c_i32_i8_e32 v103, v112, v6
	v_dot4c_i32_i8_e32 v141, v128, v6
	;; [unrolled: 1-line block ×6, first 2 shown]
	v_mov_b32_e32 v101, 0
	v_mov_b32_e32 v140, 0
	v_ashrrev_i32_e32 v115, s24, v115
	v_ashrrev_i32_e32 v118, s24, v118
	;; [unrolled: 1-line block ×6, first 2 shown]
	v_and_b32_e32 v114, 0x3030303, v114
	v_and_b32_e32 v117, 0x3030303, v117
	;; [unrolled: 1-line block ×4, first 2 shown]
	v_mul_lo_u32 v163, v166, s10
	v_and_b32_e32 v130, 0x3030303, v130
	v_and_b32_e32 v133, 0x3030303, v133
	v_mul_lo_u32 v166, v169, s10
	v_dot4c_i32_i8_e32 v91, v145, v6
	v_dot4c_i32_i8_e32 v137, v116, v2
	;; [unrolled: 1-line block ×10, first 2 shown]
	v_ashrrev_i32_e32 v119, s24, v119
	v_ashrrev_i32_e32 v123, s24, v123
	;; [unrolled: 1-line block ×4, first 2 shown]
	v_and_b32_e32 v115, 0x3030303, v115
	v_and_b32_e32 v118, 0x3030303, v118
	;; [unrolled: 1-line block ×6, first 2 shown]
	v_dot4c_i32_i8_e32 v101, v154, v2
	v_dot4c_i32_i8_e32 v140, v124, v2
	;; [unrolled: 1-line block ×12, first 2 shown]
	v_and_b32_e32 v164, 15, v149
	v_ashrrev_i32_e32 v127, s24, v127
	v_and_b32_e32 v168, 15, v144
	v_and_b32_e32 v119, 0x3030303, v119
	;; [unrolled: 1-line block ×5, first 2 shown]
	v_dot4c_i32_i8_e32 v101, v155, v3
	v_dot4c_i32_i8_e32 v140, v125, v3
	;; [unrolled: 1-line block ×12, first 2 shown]
	s_add_i32 s2, s2, 2
	v_and_b32_e32 v161, 15, v147
	v_and_b32_sdwa v149, v149, v85 dst_sel:DWORD dst_unused:UNUSED_PAD src0_sel:BYTE_1 src1_sel:DWORD
	v_cvt_f32_f16_e32 v105, v148
	v_cvt_f32_f16_sdwa v107, v148 dst_sel:DWORD dst_unused:UNUSED_PAD src0_sel:WORD_1
	v_and_b32_e32 v148, 15, v151
	v_and_b32_sdwa v144, v144, v85 dst_sel:DWORD dst_unused:UNUSED_PAD src0_sel:BYTE_1 src1_sel:DWORD
	v_and_b32_e32 v127, 0x3030303, v127
	v_dot4c_i32_i8_e32 v101, v156, v4
	v_dot4c_i32_i8_e32 v140, v126, v4
	;; [unrolled: 1-line block ×6, first 2 shown]
	v_mul_lo_u32 v8, v164, v103
	v_mul_lo_u32 v114, v168, v141
	v_dot4c_i32_i8_e32 v93, v159, v4
	v_dot4c_i32_i8_e32 v136, v162, v4
	;; [unrolled: 1-line block ×4, first 2 shown]
	s_mov_b32 s3, s24
	s_cmp_lt_u32 s24, 6
	v_and_b32_sdwa v147, v147, v85 dst_sel:DWORD dst_unused:UNUSED_PAD src0_sel:BYTE_1 src1_sel:DWORD
	v_and_b32_sdwa v151, v151, v85 dst_sel:DWORD dst_unused:UNUSED_PAD src0_sel:BYTE_1 src1_sel:DWORD
	v_dot4c_i32_i8_e32 v101, v157, v5
	v_dot4c_i32_i8_e32 v140, v127, v5
	v_mul_lo_u32 v6, v161, v91
	v_mul_lo_u32 v112, v148, v138
	v_mad_u64_u32 v[8:9], s[24:25], v149, v137, v[8:9]
	v_mad_u64_u32 v[2:3], s[24:25], v144, v143, v[114:115]
	v_dot4c_i32_i8_e32 v93, v159, v5
	v_dot4c_i32_i8_e32 v136, v162, v5
	;; [unrolled: 1-line block ×4, first 2 shown]
	v_mad_u64_u32 v[6:7], s[24:25], v147, v101, v[6:7]
	v_mad_u64_u32 v[112:113], s[24:25], v151, v140, v[112:113]
	v_cvt_f32_i32_e32 v9, v2
	v_cvt_f32_i32_e32 v3, v136
	;; [unrolled: 1-line block ×8, first 2 shown]
	v_pk_mul_f32 v[2:3], v[106:107], v[2:3]
	v_pk_mul_f32 v[4:5], v[110:111], v[4:5]
	v_pk_fma_f32 v[2:3], v[6:7], v[104:105], v[2:3] neg_lo:[0,0,1] neg_hi:[0,0,1]
	v_pk_fma_f32 v[4:5], v[8:9], v[108:109], v[4:5] neg_lo:[0,0,1] neg_hi:[0,0,1]
	v_add_u32_e32 v89, 32, v89
	v_add_u32_e32 v87, 4, v87
	v_pk_fma_f32 v[98:99], v[102:103], v[2:3], v[98:99] op_sel_hi:[0,1,1]
	v_pk_fma_f32 v[94:95], v[102:103], v[4:5], v[94:95] op_sel_hi:[0,1,1]
	s_cbranch_scc1 .LBB228_12
; %bb.13:                               ;   in Loop: Header=BB228_5 Depth=1
	s_or_b32 s2, s29, 0x80
	s_cmp_ge_i32 s2, s9
	s_barrier
	s_cbranch_scc1 .LBB228_4
; %bb.14:                               ;   in Loop: Header=BB228_5 Depth=1
	v_add_u32_e32 v2, s19, v37
	v_cmp_gt_i32_e64 s[2:3], s12, v2
	s_and_b64 s[24:25], s[0:1], s[2:3]
	s_and_saveexec_b64 s[2:3], s[24:25]
	s_cbranch_execz .LBB228_16
; %bb.15:                               ;   in Loop: Header=BB228_5 Depth=1
	v_add_u32_e32 v2, v100, v2
	v_mad_i64_i32 v[2:3], s[24:25], v2, 36, v[96:97]
	global_load_dword v2, v[2:3], off offset:4
	s_waitcnt vmcnt(0)
	ds_write_b32 v17, v2
.LBB228_16:                             ;   in Loop: Header=BB228_5 Depth=1
	s_or_b64 exec, exec, s[2:3]
	s_and_saveexec_b64 s[24:25], vcc
	s_cbranch_execz .LBB228_19
; %bb.17:                               ;   in Loop: Header=BB228_5 Depth=1
	v_or_b32_e32 v2, s19, v13
	v_or_b32_e32 v3, 4, v2
	v_cmp_gt_i32_e64 s[2:3], s12, v3
	s_and_b64 s[2:3], s[0:1], s[2:3]
	s_and_b64 exec, exec, s[2:3]
	s_cbranch_execz .LBB228_19
; %bb.18:                               ;   in Loop: Header=BB228_5 Depth=1
	v_ashrrev_i32_e32 v3, 31, v2
	v_add_co_u32_e64 v2, s[2:3], v100, v2
	v_addc_co_u32_e64 v4, s[2:3], v1, v3, s[2:3]
	v_mad_u64_u32 v[2:3], s[2:3], v2, 36, s[4:5]
	v_mad_i32_i24 v3, v4, 36, v3
	global_load_dword v2, v[2:3], off
	s_waitcnt vmcnt(0)
	v_cvt_f32_f16_e32 v2, v2
	ds_write_b32 v19, v2
.LBB228_19:                             ;   in Loop: Header=BB228_5 Depth=1
	s_or_b64 exec, exec, s[24:25]
	s_mov_b32 s2, 8
	s_mov_b32 s3, 0
	v_mov_b32_e32 v87, v53
	v_mov_b32_e32 v89, v55
	s_waitcnt lgkmcnt(0)
	s_barrier
.LBB228_20:                             ;   Parent Loop BB228_5 Depth=1
                                        ; =>  This Inner Loop Header: Depth=2
	s_add_i32 s24, s3, 8
	s_and_b32 s25, s2, -16
	v_add_u32_e32 v91, s3, v45
	s_and_b32 s30, s24, 0x3ffffff8
	s_lshr_b32 s31, s24, 2
	v_add3_u32 v116, v63, s25, v91
	v_add3_u32 v120, v61, s25, v91
	;; [unrolled: 1-line block ×4, first 2 shown]
	s_lshl_b32 s25, s30, 2
	s_and_b32 s30, s31, 0x3ffffffc
	v_add_u32_e32 v110, s25, v21
	v_add_u32_e32 v117, s30, v23
	;; [unrolled: 1-line block ×8, first 2 shown]
	ds_read_b32 v102, v89
	ds_read_b128 v[6:9], v87
	ds_read_b128 v[2:5], v87 offset:16
	ds_read2_b32 v[104:105], v110 offset1:1
	ds_read2_b32 v[106:107], v110 offset0:2 offset1:3
	ds_read2_b32 v[108:109], v110 offset0:4 offset1:5
	;; [unrolled: 1-line block ×3, first 2 shown]
	ds_read2_b32 v[112:113], v118 offset1:1
	ds_read2_b32 v[114:115], v118 offset0:2 offset1:3
	ds_read_b32 v146, v117
	ds_read_u16 v147, v116
	ds_read2_b32 v[116:117], v118 offset0:4 offset1:5
	ds_read2_b32 v[118:119], v118 offset0:6 offset1:7
	ds_read_b32 v148, v121
	ds_read_u16 v149, v120
	ds_read2_b32 v[120:121], v126 offset1:1
	ds_read2_b32 v[122:123], v126 offset0:2 offset1:3
	ds_read2_b32 v[124:125], v126 offset0:4 offset1:5
	;; [unrolled: 1-line block ×3, first 2 shown]
	ds_read2_b32 v[128:129], v134 offset1:1
	ds_read2_b32 v[130:131], v134 offset0:2 offset1:3
	ds_read_b32 v150, v133
	ds_read_u16 v151, v132
	ds_read2_b32 v[132:133], v134 offset0:4 offset1:5
	ds_read2_b32 v[134:135], v134 offset0:6 offset1:7
	ds_read_b32 v145, v145
	ds_read_u16 v91, v91
	s_waitcnt lgkmcnt(14)
	v_ashrrev_i32_e32 v152, s3, v104
	v_ashrrev_i32_e32 v153, s3, v105
	;; [unrolled: 1-line block ×8, first 2 shown]
	v_bfe_u32 v160, v147, 4, 4
	v_lshrrev_b32_sdwa v162, v83, v147 dst_sel:DWORD dst_unused:UNUSED_PAD src0_sel:DWORD src1_sel:BYTE_1
	s_waitcnt lgkmcnt(12)
	v_bfe_u32 v163, v149, 4, 4
	v_lshrrev_b32_sdwa v165, v83, v149 dst_sel:DWORD dst_unused:UNUSED_PAD src0_sel:DWORD src1_sel:BYTE_1
	v_cvt_f32_f16_e32 v104, v146
	v_cvt_f32_f16_sdwa v106, v146 dst_sel:DWORD dst_unused:UNUSED_PAD src0_sel:WORD_1
	s_waitcnt lgkmcnt(4)
	v_bfe_u32 v146, v151, 4, 4
	s_waitcnt lgkmcnt(0)
	v_bfe_u32 v167, v91, 4, 4
	v_mov_b32_e32 v101, 0
	v_mov_b32_e32 v137, 0
	;; [unrolled: 1-line block ×4, first 2 shown]
	v_cvt_f32_f16_e32 v109, v145
	v_cvt_f32_f16_e32 v108, v150
	v_cvt_f32_f16_sdwa v111, v145 dst_sel:DWORD dst_unused:UNUSED_PAD src0_sel:WORD_1
	v_cvt_f32_f16_sdwa v110, v150 dst_sel:DWORD dst_unused:UNUSED_PAD src0_sel:WORD_1
	v_and_b32_e32 v145, 0x3030303, v152
	v_and_b32_e32 v150, 0x3030303, v153
	v_and_b32_e32 v152, 0x3030303, v154
	v_and_b32_e32 v153, 0x3030303, v155
	v_and_b32_e32 v154, 0x3030303, v156
	v_and_b32_e32 v155, 0x3030303, v157
	v_and_b32_e32 v156, 0x3030303, v158
	v_and_b32_e32 v157, 0x3030303, v159
	v_mul_lo_u32 v158, v160, s10
	v_mul_lo_u32 v159, v162, s10
	;; [unrolled: 1-line block ×6, first 2 shown]
	v_ashrrev_i32_e32 v112, s3, v112
	v_dot4c_i32_i8_e32 v101, v158, v6
	v_dot4c_i32_i8_e32 v137, v160, v6
	;; [unrolled: 1-line block ×4, first 2 shown]
	v_mov_b32_e32 v93, 0
	v_mov_b32_e32 v136, 0
	v_ashrrev_i32_e32 v113, s3, v113
	v_ashrrev_i32_e32 v116, s3, v116
	;; [unrolled: 1-line block ×4, first 2 shown]
	v_and_b32_e32 v112, 0x3030303, v112
	v_dot4c_i32_i8_e32 v101, v158, v7
	v_dot4c_i32_i8_e32 v137, v160, v7
	;; [unrolled: 1-line block ×4, first 2 shown]
	v_mov_b32_e32 v103, 0
	v_mov_b32_e32 v138, 0
	;; [unrolled: 1-line block ×4, first 2 shown]
	v_ashrrev_i32_e32 v114, s3, v114
	v_ashrrev_i32_e32 v117, s3, v117
	;; [unrolled: 1-line block ×4, first 2 shown]
	v_lshrrev_b32_sdwa v166, v83, v151 dst_sel:DWORD dst_unused:UNUSED_PAD src0_sel:DWORD src1_sel:BYTE_1
	v_ashrrev_i32_e32 v129, s3, v129
	v_ashrrev_i32_e32 v132, s3, v132
	v_lshrrev_b32_sdwa v169, v83, v91 dst_sel:DWORD dst_unused:UNUSED_PAD src0_sel:DWORD src1_sel:BYTE_1
	v_and_b32_e32 v113, 0x3030303, v113
	v_and_b32_e32 v116, 0x3030303, v116
	;; [unrolled: 1-line block ×4, first 2 shown]
	v_dot4c_i32_i8_e32 v93, v145, v6
	v_dot4c_i32_i8_e32 v136, v112, v6
	;; [unrolled: 1-line block ×6, first 2 shown]
	v_mov_b32_e32 v141, 0
	v_mov_b32_e32 v144, 0
	v_ashrrev_i32_e32 v115, s3, v115
	v_ashrrev_i32_e32 v118, s3, v118
	;; [unrolled: 1-line block ×6, first 2 shown]
	v_and_b32_e32 v114, 0x3030303, v114
	v_and_b32_e32 v117, 0x3030303, v117
	;; [unrolled: 1-line block ×4, first 2 shown]
	v_mul_lo_u32 v163, v166, s10
	v_and_b32_e32 v129, 0x3030303, v129
	v_and_b32_e32 v132, 0x3030303, v132
	v_mul_lo_u32 v166, v169, s10
	v_dot4c_i32_i8_e32 v103, v154, v2
	v_dot4c_i32_i8_e32 v138, v116, v2
	;; [unrolled: 1-line block ×10, first 2 shown]
	v_ashrrev_i32_e32 v119, s3, v119
	v_ashrrev_i32_e32 v123, s3, v123
	;; [unrolled: 1-line block ×5, first 2 shown]
	v_and_b32_e32 v115, 0x3030303, v115
	v_and_b32_e32 v118, 0x3030303, v118
	;; [unrolled: 1-line block ×6, first 2 shown]
	v_dot4c_i32_i8_e32 v141, v124, v2
	v_dot4c_i32_i8_e32 v144, v132, v2
	;; [unrolled: 1-line block ×12, first 2 shown]
	v_and_b32_e32 v161, 15, v147
	v_and_b32_e32 v164, 15, v149
	v_ashrrev_i32_e32 v127, s3, v127
	v_ashrrev_i32_e32 v135, s3, v135
	v_and_b32_e32 v119, 0x3030303, v119
	v_and_b32_e32 v123, 0x3030303, v123
	;; [unrolled: 1-line block ×5, first 2 shown]
	v_dot4c_i32_i8_e32 v141, v125, v3
	v_dot4c_i32_i8_e32 v144, v133, v3
	;; [unrolled: 1-line block ×12, first 2 shown]
	s_add_i32 s2, s2, 2
	v_and_b32_sdwa v147, v147, v85 dst_sel:DWORD dst_unused:UNUSED_PAD src0_sel:BYTE_1 src1_sel:DWORD
	v_and_b32_sdwa v149, v149, v85 dst_sel:DWORD dst_unused:UNUSED_PAD src0_sel:BYTE_1 src1_sel:DWORD
	v_cvt_f32_f16_e32 v105, v148
	v_cvt_f32_f16_sdwa v107, v148 dst_sel:DWORD dst_unused:UNUSED_PAD src0_sel:WORD_1
	v_and_b32_e32 v148, 15, v151
	v_and_b32_e32 v168, 15, v91
	s_add_i32 s3, s3, 2
	v_and_b32_e32 v127, 0x3030303, v127
	v_and_b32_e32 v135, 0x3030303, v135
	v_dot4c_i32_i8_e32 v141, v126, v4
	v_dot4c_i32_i8_e32 v144, v134, v4
	v_dot4c_i32_i8_e32 v103, v157, v5
	v_dot4c_i32_i8_e32 v138, v119, v5
	v_dot4c_i32_i8_e32 v139, v123, v9
	v_dot4c_i32_i8_e32 v142, v131, v9
	v_mul_lo_u32 v6, v161, v93
	v_mul_lo_u32 v8, v164, v136
	v_dot4c_i32_i8_e32 v101, v159, v4
	v_dot4c_i32_i8_e32 v137, v162, v4
	;; [unrolled: 1-line block ×4, first 2 shown]
	v_and_b32_sdwa v151, v151, v85 dst_sel:DWORD dst_unused:UNUSED_PAD src0_sel:BYTE_1 src1_sel:DWORD
	v_and_b32_sdwa v91, v91, v85 dst_sel:DWORD dst_unused:UNUSED_PAD src0_sel:BYTE_1 src1_sel:DWORD
	s_cmp_lt_u32 s24, 14
	v_dot4c_i32_i8_e32 v141, v127, v5
	v_dot4c_i32_i8_e32 v144, v135, v5
	v_mul_lo_u32 v112, v148, v139
	v_mul_lo_u32 v114, v168, v142
	v_mad_u64_u32 v[6:7], s[24:25], v147, v103, v[6:7]
	v_mad_u64_u32 v[8:9], s[24:25], v149, v138, v[8:9]
	v_dot4c_i32_i8_e32 v101, v159, v5
	v_dot4c_i32_i8_e32 v137, v162, v5
	;; [unrolled: 1-line block ×4, first 2 shown]
	v_mad_u64_u32 v[2:3], s[24:25], v151, v141, v[112:113]
	v_mad_u64_u32 v[112:113], s[24:25], v91, v144, v[114:115]
	v_cvt_f32_i32_e32 v7, v8
	v_cvt_f32_i32_e32 v5, v137
	;; [unrolled: 1-line block ×8, first 2 shown]
	v_pk_mul_f32 v[4:5], v[106:107], v[4:5]
	v_pk_mul_f32 v[8:9], v[110:111], v[8:9]
	v_pk_fma_f32 v[4:5], v[104:105], v[6:7], v[4:5] neg_lo:[0,0,1] neg_hi:[0,0,1]
	v_pk_fma_f32 v[2:3], v[108:109], v[2:3], v[8:9] neg_lo:[0,0,1] neg_hi:[0,0,1]
	v_add_u32_e32 v89, 4, v89
	v_add_u32_e32 v87, 32, v87
	v_pk_fma_f32 v[98:99], v[102:103], v[4:5], v[98:99] op_sel_hi:[0,1,1]
	v_pk_fma_f32 v[94:95], v[102:103], v[2:3], v[94:95] op_sel_hi:[0,1,1]
	s_cbranch_scc1 .LBB228_20
; %bb.21:                               ;   in Loop: Header=BB228_5 Depth=1
	s_or_b32 s2, s29, 0x100
	s_cmp_ge_i32 s2, s9
	s_barrier
	s_cbranch_scc1 .LBB228_4
; %bb.22:                               ;   in Loop: Header=BB228_5 Depth=1
	v_add_u32_e32 v2, s19, v39
	v_cmp_gt_i32_e64 s[2:3], s12, v2
	s_and_b64 s[24:25], s[0:1], s[2:3]
	s_and_saveexec_b64 s[2:3], s[24:25]
	s_cbranch_execz .LBB228_24
; %bb.23:                               ;   in Loop: Header=BB228_5 Depth=1
	v_add_u32_e32 v2, v100, v2
	v_mad_i64_i32 v[2:3], s[24:25], v2, 36, v[96:97]
	global_load_dword v2, v[2:3], off offset:4
	s_waitcnt vmcnt(0)
	ds_write_b32 v17, v2
.LBB228_24:                             ;   in Loop: Header=BB228_5 Depth=1
	s_or_b64 exec, exec, s[2:3]
	s_and_saveexec_b64 s[24:25], vcc
	s_cbranch_execz .LBB228_27
; %bb.25:                               ;   in Loop: Header=BB228_5 Depth=1
	v_or_b32_e32 v2, s19, v13
	v_or_b32_e32 v3, 8, v2
	v_cmp_gt_i32_e64 s[2:3], s12, v3
	s_and_b64 s[2:3], s[0:1], s[2:3]
	s_and_b64 exec, exec, s[2:3]
	s_cbranch_execz .LBB228_27
; %bb.26:                               ;   in Loop: Header=BB228_5 Depth=1
	v_ashrrev_i32_e32 v3, 31, v2
	v_add_co_u32_e64 v2, s[2:3], v100, v2
	v_addc_co_u32_e64 v4, s[2:3], v1, v3, s[2:3]
	v_mad_u64_u32 v[2:3], s[2:3], v2, 36, s[20:21]
	v_mad_i32_i24 v3, v4, 36, v3
	global_load_dword v2, v[2:3], off
	s_waitcnt vmcnt(0)
	v_cvt_f32_f16_e32 v2, v2
	ds_write_b32 v19, v2
.LBB228_27:                             ;   in Loop: Header=BB228_5 Depth=1
	s_or_b64 exec, exec, s[24:25]
	s_mov_b32 s2, 16
	s_mov_b32 s3, 14
	v_mov_b32_e32 v87, v53
	v_mov_b32_e32 v89, v55
	s_waitcnt lgkmcnt(0)
	s_barrier
.LBB228_28:                             ;   Parent Loop BB228_5 Depth=1
                                        ; =>  This Inner Loop Header: Depth=2
	s_add_i32 s25, s3, 2
	s_and_b32 s30, s2, -16
	s_and_b32 s31, s25, 0x3ffffff8
	s_lshr_b32 s33, s25, 2
	s_add_i32 s30, s3, s30
	s_lshl_b32 s31, s31, 2
	s_and_b32 s33, s33, 0x3ffffffc
	v_add_u32_e32 v116, s30, v71
	v_add_u32_e32 v120, s30, v69
	v_add_u32_e32 v132, s30, v67
	v_add_u32_e32 v144, s30, v65
	v_add_u32_e32 v110, s31, v21
	v_add_u32_e32 v117, s33, v23
	v_add_u32_e32 v118, s31, v25
	v_add_u32_e32 v121, s33, v27
	v_add_u32_e32 v126, s31, v29
	v_add_u32_e32 v133, s33, v31
	v_add_u32_e32 v134, s31, v33
	v_add_u32_e32 v145, s33, v35
	ds_read_b32 v102, v89
	ds_read_b128 v[6:9], v87
	ds_read_b128 v[2:5], v87 offset:16
	ds_read2_b32 v[104:105], v110 offset1:1
	ds_read2_b32 v[106:107], v110 offset0:2 offset1:3
	ds_read2_b32 v[108:109], v110 offset0:4 offset1:5
	;; [unrolled: 1-line block ×3, first 2 shown]
	ds_read2_b32 v[112:113], v118 offset1:1
	ds_read2_b32 v[114:115], v118 offset0:2 offset1:3
	ds_read_b32 v146, v117
	ds_read_u16 v147, v116 offset:16882
	ds_read2_b32 v[116:117], v118 offset0:4 offset1:5
	ds_read2_b32 v[118:119], v118 offset0:6 offset1:7
	ds_read_b32 v148, v121
	ds_read_u16 v149, v120 offset:17906
	ds_read2_b32 v[120:121], v126 offset1:1
	ds_read2_b32 v[122:123], v126 offset0:2 offset1:3
	ds_read2_b32 v[124:125], v126 offset0:4 offset1:5
	;; [unrolled: 1-line block ×3, first 2 shown]
	ds_read2_b32 v[128:129], v134 offset1:1
	ds_read2_b32 v[130:131], v134 offset0:2 offset1:3
	ds_read_b32 v150, v133
	ds_read_u16 v151, v132 offset:18930
	ds_read2_b32 v[132:133], v134 offset0:4 offset1:5
	ds_read2_b32 v[134:135], v134 offset0:6 offset1:7
	ds_read_b32 v145, v145
	ds_read_u16 v144, v144 offset:19954
	s_add_i32 s24, s3, -14
	s_waitcnt lgkmcnt(14)
	v_ashrrev_i32_e32 v152, s24, v104
	v_ashrrev_i32_e32 v154, s24, v106
	;; [unrolled: 1-line block ×4, first 2 shown]
	v_bfe_u32 v160, v147, 4, 4
	s_waitcnt lgkmcnt(12)
	v_bfe_u32 v162, v149, 4, 4
	v_cvt_f32_f16_e32 v104, v146
	v_cvt_f32_f16_sdwa v106, v146 dst_sel:DWORD dst_unused:UNUSED_PAD src0_sel:WORD_1
	s_waitcnt lgkmcnt(4)
	v_bfe_u32 v146, v151, 4, 4
	s_waitcnt lgkmcnt(0)
	v_bfe_u32 v166, v144, 4, 4
	v_mov_b32_e32 v93, 0
	v_mov_b32_e32 v136, 0
	;; [unrolled: 1-line block ×4, first 2 shown]
	v_ashrrev_i32_e32 v157, s24, v109
	v_ashrrev_i32_e32 v159, s24, v111
	v_cvt_f32_f16_e32 v109, v145
	v_cvt_f32_f16_sdwa v111, v145 dst_sel:DWORD dst_unused:UNUSED_PAD src0_sel:WORD_1
	v_and_b32_e32 v145, 0x3030303, v152
	v_and_b32_e32 v152, 0x3030303, v154
	;; [unrolled: 1-line block ×4, first 2 shown]
	v_mul_lo_u32 v158, v160, s10
	v_mul_lo_u32 v160, v162, s10
	;; [unrolled: 1-line block ×4, first 2 shown]
	v_ashrrev_i32_e32 v112, s24, v112
	v_dot4c_i32_i8_e32 v93, v158, v6
	v_dot4c_i32_i8_e32 v136, v160, v6
	;; [unrolled: 1-line block ×4, first 2 shown]
	v_mov_b32_e32 v91, 0
	v_mov_b32_e32 v103, 0
	v_ashrrev_i32_e32 v153, s24, v105
	v_ashrrev_i32_e32 v113, s24, v113
	;; [unrolled: 1-line block ×5, first 2 shown]
	v_and_b32_e32 v112, 0x3030303, v112
	v_dot4c_i32_i8_e32 v93, v158, v7
	v_dot4c_i32_i8_e32 v136, v160, v7
	;; [unrolled: 1-line block ×4, first 2 shown]
	v_mov_b32_e32 v101, 0
	v_mov_b32_e32 v137, 0
	;; [unrolled: 1-line block ×4, first 2 shown]
	v_ashrrev_i32_e32 v155, s24, v107
	v_lshrrev_b32_sdwa v161, v83, v147 dst_sel:DWORD dst_unused:UNUSED_PAD src0_sel:DWORD src1_sel:BYTE_1
	v_ashrrev_i32_e32 v114, s24, v114
	v_ashrrev_i32_e32 v117, s24, v117
	v_lshrrev_b32_sdwa v163, v83, v149 dst_sel:DWORD dst_unused:UNUSED_PAD src0_sel:DWORD src1_sel:BYTE_1
	v_cvt_f32_f16_e32 v105, v148
	v_cvt_f32_f16_sdwa v107, v148 dst_sel:DWORD dst_unused:UNUSED_PAD src0_sel:WORD_1
	v_ashrrev_i32_e32 v121, s24, v121
	v_ashrrev_i32_e32 v124, s24, v124
	v_lshrrev_b32_sdwa v148, v83, v151 dst_sel:DWORD dst_unused:UNUSED_PAD src0_sel:DWORD src1_sel:BYTE_1
	v_ashrrev_i32_e32 v129, s24, v129
	v_ashrrev_i32_e32 v132, s24, v132
	v_lshrrev_b32_sdwa v167, v83, v144 dst_sel:DWORD dst_unused:UNUSED_PAD src0_sel:DWORD src1_sel:BYTE_1
	v_cvt_f32_f16_e32 v108, v150
	v_cvt_f32_f16_sdwa v110, v150 dst_sel:DWORD dst_unused:UNUSED_PAD src0_sel:WORD_1
	v_and_b32_e32 v150, 0x3030303, v153
	v_and_b32_e32 v113, 0x3030303, v113
	v_and_b32_e32 v116, 0x3030303, v116
	v_and_b32_e32 v120, 0x3030303, v120
	v_and_b32_e32 v128, 0x3030303, v128
	v_dot4c_i32_i8_e32 v91, v145, v6
	v_dot4c_i32_i8_e32 v103, v112, v6
	;; [unrolled: 1-line block ×6, first 2 shown]
	v_mov_b32_e32 v140, 0
	v_mov_b32_e32 v143, 0
	v_ashrrev_i32_e32 v115, s24, v115
	v_ashrrev_i32_e32 v118, s24, v118
	;; [unrolled: 1-line block ×6, first 2 shown]
	v_and_b32_e32 v153, 0x3030303, v155
	v_and_b32_e32 v155, 0x3030303, v157
	v_and_b32_e32 v157, 0x3030303, v159
	v_mul_lo_u32 v159, v161, s10
	v_and_b32_e32 v114, 0x3030303, v114
	v_and_b32_e32 v117, 0x3030303, v117
	v_mul_lo_u32 v161, v163, s10
	v_and_b32_e32 v121, 0x3030303, v121
	v_and_b32_e32 v124, 0x3030303, v124
	;; [unrolled: 3-line block ×3, first 2 shown]
	v_mul_lo_u32 v163, v167, s10
	v_dot4c_i32_i8_e32 v101, v154, v2
	v_dot4c_i32_i8_e32 v137, v116, v2
	;; [unrolled: 1-line block ×10, first 2 shown]
	v_ashrrev_i32_e32 v119, s24, v119
	v_ashrrev_i32_e32 v123, s24, v123
	;; [unrolled: 1-line block ×5, first 2 shown]
	v_and_b32_e32 v115, 0x3030303, v115
	v_and_b32_e32 v118, 0x3030303, v118
	;; [unrolled: 1-line block ×6, first 2 shown]
	v_dot4c_i32_i8_e32 v140, v124, v2
	v_dot4c_i32_i8_e32 v143, v132, v2
	;; [unrolled: 1-line block ×12, first 2 shown]
	v_and_b32_e32 v164, 15, v147
	v_and_b32_e32 v165, 15, v149
	v_ashrrev_i32_e32 v127, s24, v127
	v_ashrrev_i32_e32 v135, s24, v135
	v_and_b32_e32 v119, 0x3030303, v119
	v_and_b32_e32 v123, 0x3030303, v123
	;; [unrolled: 1-line block ×5, first 2 shown]
	v_dot4c_i32_i8_e32 v140, v125, v3
	v_dot4c_i32_i8_e32 v143, v133, v3
	;; [unrolled: 1-line block ×12, first 2 shown]
	s_add_i32 s2, s2, 2
	v_and_b32_sdwa v149, v149, v85 dst_sel:DWORD dst_unused:UNUSED_PAD src0_sel:BYTE_1 src1_sel:DWORD
	v_and_b32_sdwa v147, v147, v85 dst_sel:DWORD dst_unused:UNUSED_PAD src0_sel:BYTE_1 src1_sel:DWORD
	v_and_b32_e32 v168, 15, v151
	v_and_b32_e32 v169, 15, v144
	;; [unrolled: 1-line block ×4, first 2 shown]
	v_dot4c_i32_i8_e32 v140, v126, v4
	v_dot4c_i32_i8_e32 v143, v134, v4
	;; [unrolled: 1-line block ×6, first 2 shown]
	v_mul_lo_u32 v6, v165, v103
	v_mul_lo_u32 v8, v164, v91
	v_dot4c_i32_i8_e32 v93, v159, v4
	v_dot4c_i32_i8_e32 v136, v161, v4
	;; [unrolled: 1-line block ×4, first 2 shown]
	s_mov_b32 s3, s25
	s_cmp_lt_u32 s25, 22
	v_and_b32_sdwa v144, v144, v85 dst_sel:DWORD dst_unused:UNUSED_PAD src0_sel:BYTE_1 src1_sel:DWORD
	v_and_b32_sdwa v151, v151, v85 dst_sel:DWORD dst_unused:UNUSED_PAD src0_sel:BYTE_1 src1_sel:DWORD
	v_dot4c_i32_i8_e32 v140, v127, v5
	v_dot4c_i32_i8_e32 v143, v135, v5
	v_mul_lo_u32 v2, v169, v141
	v_mul_lo_u32 v112, v168, v138
	v_mad_u64_u32 v[8:9], s[24:25], v147, v101, v[8:9]
	v_mad_u64_u32 v[6:7], s[24:25], v149, v137, v[6:7]
	v_dot4c_i32_i8_e32 v93, v159, v5
	v_dot4c_i32_i8_e32 v136, v161, v5
	;; [unrolled: 1-line block ×4, first 2 shown]
	v_mad_u64_u32 v[112:113], s[24:25], v151, v140, v[112:113]
	v_mad_u64_u32 v[2:3], s[24:25], v144, v143, v[2:3]
	v_cvt_f32_i32_e32 v7, v6
	v_cvt_f32_i32_e32 v6, v8
	;; [unrolled: 1-line block ×8, first 2 shown]
	v_pk_mul_f32 v[4:5], v[106:107], v[4:5]
	v_pk_mul_f32 v[8:9], v[110:111], v[8:9]
	v_pk_fma_f32 v[4:5], v[104:105], v[6:7], v[4:5] neg_lo:[0,0,1] neg_hi:[0,0,1]
	v_pk_fma_f32 v[2:3], v[108:109], v[2:3], v[8:9] neg_lo:[0,0,1] neg_hi:[0,0,1]
	v_add_u32_e32 v89, 4, v89
	v_add_u32_e32 v87, 32, v87
	v_pk_fma_f32 v[98:99], v[102:103], v[4:5], v[98:99] op_sel_hi:[0,1,1]
	v_pk_fma_f32 v[94:95], v[102:103], v[2:3], v[94:95] op_sel_hi:[0,1,1]
	s_cbranch_scc1 .LBB228_28
; %bb.29:                               ;   in Loop: Header=BB228_5 Depth=1
	s_or_b32 s2, s29, 0x180
	s_cmp_ge_i32 s2, s9
	s_barrier
	s_cbranch_scc1 .LBB228_4
; %bb.30:                               ;   in Loop: Header=BB228_5 Depth=1
	v_add_u32_e32 v2, s19, v41
	v_cmp_gt_i32_e64 s[2:3], s12, v2
	s_and_b64 s[24:25], s[0:1], s[2:3]
	s_and_saveexec_b64 s[2:3], s[24:25]
	s_cbranch_execz .LBB228_32
; %bb.31:                               ;   in Loop: Header=BB228_5 Depth=1
	v_add_u32_e32 v2, v100, v2
	v_mad_i64_i32 v[2:3], s[24:25], v2, 36, v[96:97]
	global_load_dword v2, v[2:3], off offset:4
	s_waitcnt vmcnt(0)
	ds_write_b32 v17, v2
.LBB228_32:                             ;   in Loop: Header=BB228_5 Depth=1
	s_or_b64 exec, exec, s[2:3]
	s_and_saveexec_b64 s[24:25], vcc
	s_cbranch_execz .LBB228_35
; %bb.33:                               ;   in Loop: Header=BB228_5 Depth=1
	v_or_b32_e32 v2, s19, v13
	v_or_b32_e32 v3, 12, v2
	v_cmp_gt_i32_e64 s[2:3], s12, v3
	s_and_b64 s[2:3], s[0:1], s[2:3]
	s_and_b64 exec, exec, s[2:3]
	s_cbranch_execz .LBB228_35
; %bb.34:                               ;   in Loop: Header=BB228_5 Depth=1
	v_ashrrev_i32_e32 v3, 31, v2
	v_add_co_u32_e64 v2, s[2:3], v100, v2
	v_addc_co_u32_e64 v4, s[2:3], v1, v3, s[2:3]
	v_mad_u64_u32 v[2:3], s[2:3], v2, 36, s[22:23]
	v_mad_i32_i24 v3, v4, 36, v3
	global_load_dword v2, v[2:3], off
	s_waitcnt vmcnt(0)
	v_cvt_f32_f16_e32 v2, v2
	ds_write_b32 v19, v2
.LBB228_35:                             ;   in Loop: Header=BB228_5 Depth=1
	s_or_b64 exec, exec, s[24:25]
	s_mov_b32 s2, 24
	s_mov_b32 s3, 22
	v_mov_b32_e32 v87, v53
	v_mov_b32_e32 v89, v55
	s_waitcnt lgkmcnt(0)
	s_barrier
.LBB228_36:                             ;   Parent Loop BB228_5 Depth=1
                                        ; =>  This Inner Loop Header: Depth=2
	s_add_i32 s24, s3, 2
	s_and_b32 s25, s2, -16
	s_and_b32 s29, s24, 0x3ffffff8
	s_lshr_b32 s30, s24, 2
	s_add_i32 s25, s3, s25
	s_lshl_b32 s29, s29, 2
	s_and_b32 s30, s30, 0x3ffffffc
	v_add_u32_e32 v116, s25, v71
	v_add_u32_e32 v120, s25, v69
	;; [unrolled: 1-line block ×12, first 2 shown]
	ds_read_b32 v102, v89
	ds_read_b128 v[6:9], v87
	ds_read_b128 v[2:5], v87 offset:16
	ds_read2_b32 v[104:105], v110 offset1:1
	ds_read2_b32 v[106:107], v110 offset0:2 offset1:3
	ds_read2_b32 v[108:109], v110 offset0:4 offset1:5
	;; [unrolled: 1-line block ×3, first 2 shown]
	ds_read2_b32 v[112:113], v118 offset1:1
	ds_read2_b32 v[114:115], v118 offset0:2 offset1:3
	ds_read_b32 v146, v117
	ds_read_u16 v147, v116 offset:16882
	ds_read2_b32 v[116:117], v118 offset0:4 offset1:5
	ds_read2_b32 v[118:119], v118 offset0:6 offset1:7
	ds_read_b32 v148, v121
	ds_read_u16 v149, v120 offset:17906
	ds_read2_b32 v[120:121], v126 offset1:1
	ds_read2_b32 v[122:123], v126 offset0:2 offset1:3
	ds_read2_b32 v[124:125], v126 offset0:4 offset1:5
	;; [unrolled: 1-line block ×3, first 2 shown]
	ds_read2_b32 v[128:129], v134 offset1:1
	ds_read2_b32 v[130:131], v134 offset0:2 offset1:3
	ds_read_b32 v150, v133
	ds_read_u16 v151, v132 offset:18930
	ds_read2_b32 v[132:133], v134 offset0:4 offset1:5
	ds_read2_b32 v[134:135], v134 offset0:6 offset1:7
	ds_read_b32 v145, v145
	ds_read_u16 v144, v144 offset:19954
	s_sub_i32 s19, s3, 22
	s_waitcnt lgkmcnt(14)
	v_ashrrev_i32_e32 v152, s19, v104
	v_ashrrev_i32_e32 v154, s19, v106
	v_ashrrev_i32_e32 v156, s19, v108
	v_ashrrev_i32_e32 v158, s19, v110
	v_bfe_u32 v160, v147, 4, 4
	s_waitcnt lgkmcnt(12)
	v_bfe_u32 v162, v149, 4, 4
	v_cvt_f32_f16_e32 v104, v146
	v_cvt_f32_f16_sdwa v106, v146 dst_sel:DWORD dst_unused:UNUSED_PAD src0_sel:WORD_1
	s_waitcnt lgkmcnt(4)
	v_bfe_u32 v146, v151, 4, 4
	s_waitcnt lgkmcnt(0)
	v_bfe_u32 v166, v144, 4, 4
	v_mov_b32_e32 v136, 0
	v_mov_b32_e32 v137, 0
	;; [unrolled: 1-line block ×4, first 2 shown]
	v_ashrrev_i32_e32 v157, s19, v109
	v_ashrrev_i32_e32 v159, s19, v111
	v_cvt_f32_f16_e32 v109, v145
	v_cvt_f32_f16_sdwa v111, v145 dst_sel:DWORD dst_unused:UNUSED_PAD src0_sel:WORD_1
	v_and_b32_e32 v145, 0x3030303, v152
	v_and_b32_e32 v152, 0x3030303, v154
	v_and_b32_e32 v154, 0x3030303, v156
	v_and_b32_e32 v156, 0x3030303, v158
	v_mul_lo_u32 v158, v160, s10
	v_mul_lo_u32 v160, v162, s10
	;; [unrolled: 1-line block ×4, first 2 shown]
	v_ashrrev_i32_e32 v112, s19, v112
	v_dot4c_i32_i8_e32 v136, v158, v6
	v_dot4c_i32_i8_e32 v137, v160, v6
	;; [unrolled: 1-line block ×4, first 2 shown]
	v_mov_b32_e32 v91, 0
	v_mov_b32_e32 v101, 0
	v_ashrrev_i32_e32 v153, s19, v105
	v_ashrrev_i32_e32 v113, s19, v113
	;; [unrolled: 1-line block ×5, first 2 shown]
	v_and_b32_e32 v112, 0x3030303, v112
	v_dot4c_i32_i8_e32 v136, v158, v7
	v_dot4c_i32_i8_e32 v137, v160, v7
	;; [unrolled: 1-line block ×4, first 2 shown]
	v_mov_b32_e32 v93, 0
	v_mov_b32_e32 v103, 0
	;; [unrolled: 1-line block ×4, first 2 shown]
	v_ashrrev_i32_e32 v155, s19, v107
	v_ashrrev_i32_e32 v114, s19, v114
	;; [unrolled: 1-line block ×3, first 2 shown]
	v_lshrrev_b32_sdwa v161, v83, v147 dst_sel:DWORD dst_unused:UNUSED_PAD src0_sel:DWORD src1_sel:BYTE_1
	v_lshrrev_b32_sdwa v165, v83, v149 dst_sel:DWORD dst_unused:UNUSED_PAD src0_sel:DWORD src1_sel:BYTE_1
	v_cvt_f32_f16_e32 v105, v148
	v_cvt_f32_f16_sdwa v107, v148 dst_sel:DWORD dst_unused:UNUSED_PAD src0_sel:WORD_1
	v_ashrrev_i32_e32 v121, s19, v121
	v_ashrrev_i32_e32 v124, s19, v124
	;; [unrolled: 1-line block ×4, first 2 shown]
	v_lshrrev_b32_sdwa v148, v83, v151 dst_sel:DWORD dst_unused:UNUSED_PAD src0_sel:DWORD src1_sel:BYTE_1
	v_lshrrev_b32_sdwa v169, v83, v144 dst_sel:DWORD dst_unused:UNUSED_PAD src0_sel:DWORD src1_sel:BYTE_1
	v_cvt_f32_f16_e32 v108, v150
	v_cvt_f32_f16_sdwa v110, v150 dst_sel:DWORD dst_unused:UNUSED_PAD src0_sel:WORD_1
	v_and_b32_e32 v150, 0x3030303, v153
	v_and_b32_e32 v113, 0x3030303, v113
	;; [unrolled: 1-line block ×5, first 2 shown]
	v_dot4c_i32_i8_e32 v91, v145, v6
	v_dot4c_i32_i8_e32 v101, v112, v6
	v_dot4c_i32_i8_e32 v136, v158, v8
	v_dot4c_i32_i8_e32 v137, v160, v8
	v_dot4c_i32_i8_e32 v142, v146, v8
	v_dot4c_i32_i8_e32 v143, v162, v8
	v_mov_b32_e32 v139, 0
	v_mov_b32_e32 v141, 0
	v_ashrrev_i32_e32 v115, s19, v115
	v_ashrrev_i32_e32 v118, s19, v118
	;; [unrolled: 1-line block ×6, first 2 shown]
	v_and_b32_e32 v153, 0x3030303, v155
	v_and_b32_e32 v155, 0x3030303, v157
	;; [unrolled: 1-line block ×5, first 2 shown]
	v_mul_lo_u32 v159, v161, s10
	v_mul_lo_u32 v161, v165, s10
	v_and_b32_e32 v121, 0x3030303, v121
	v_and_b32_e32 v124, 0x3030303, v124
	;; [unrolled: 1-line block ×4, first 2 shown]
	v_mul_lo_u32 v148, v148, s10
	v_mul_lo_u32 v165, v169, s10
	v_dot4c_i32_i8_e32 v93, v154, v2
	v_dot4c_i32_i8_e32 v103, v116, v2
	;; [unrolled: 1-line block ×10, first 2 shown]
	v_ashrrev_i32_e32 v119, s19, v119
	v_ashrrev_i32_e32 v123, s19, v123
	;; [unrolled: 1-line block ×5, first 2 shown]
	v_and_b32_e32 v115, 0x3030303, v115
	v_and_b32_e32 v118, 0x3030303, v118
	;; [unrolled: 1-line block ×6, first 2 shown]
	v_dot4c_i32_i8_e32 v139, v124, v2
	v_dot4c_i32_i8_e32 v141, v132, v2
	;; [unrolled: 1-line block ×12, first 2 shown]
	v_and_b32_e32 v163, 15, v147
	v_and_b32_e32 v164, 15, v149
	v_ashrrev_i32_e32 v127, s19, v127
	v_ashrrev_i32_e32 v135, s19, v135
	v_and_b32_e32 v119, 0x3030303, v119
	v_and_b32_e32 v123, 0x3030303, v123
	;; [unrolled: 1-line block ×5, first 2 shown]
	v_dot4c_i32_i8_e32 v139, v125, v3
	v_dot4c_i32_i8_e32 v141, v133, v3
	;; [unrolled: 1-line block ×12, first 2 shown]
	s_add_i32 s2, s2, 2
	v_and_b32_sdwa v149, v149, v85 dst_sel:DWORD dst_unused:UNUSED_PAD src0_sel:BYTE_1 src1_sel:DWORD
	v_and_b32_sdwa v147, v147, v85 dst_sel:DWORD dst_unused:UNUSED_PAD src0_sel:BYTE_1 src1_sel:DWORD
	v_and_b32_e32 v167, 15, v151
	v_and_b32_e32 v168, 15, v144
	;; [unrolled: 1-line block ×4, first 2 shown]
	v_dot4c_i32_i8_e32 v139, v126, v4
	v_dot4c_i32_i8_e32 v141, v134, v4
	;; [unrolled: 1-line block ×6, first 2 shown]
	v_mul_lo_u32 v6, v164, v101
	v_mul_lo_u32 v8, v163, v91
	v_dot4c_i32_i8_e32 v136, v159, v4
	v_dot4c_i32_i8_e32 v137, v161, v4
	;; [unrolled: 1-line block ×4, first 2 shown]
	s_mov_b32 s3, s24
	s_cmp_lt_u32 s24, 30
	v_and_b32_sdwa v144, v144, v85 dst_sel:DWORD dst_unused:UNUSED_PAD src0_sel:BYTE_1 src1_sel:DWORD
	v_and_b32_sdwa v151, v151, v85 dst_sel:DWORD dst_unused:UNUSED_PAD src0_sel:BYTE_1 src1_sel:DWORD
	v_dot4c_i32_i8_e32 v139, v127, v5
	v_dot4c_i32_i8_e32 v141, v135, v5
	v_mul_lo_u32 v112, v168, v140
	v_mul_lo_u32 v114, v167, v138
	v_mad_u64_u32 v[8:9], s[24:25], v147, v93, v[8:9]
	v_mad_u64_u32 v[6:7], s[24:25], v149, v103, v[6:7]
	v_dot4c_i32_i8_e32 v136, v159, v5
	v_dot4c_i32_i8_e32 v137, v161, v5
	v_dot4c_i32_i8_e32 v142, v148, v5
	v_dot4c_i32_i8_e32 v143, v165, v5
	v_mad_u64_u32 v[2:3], s[24:25], v151, v139, v[114:115]
	v_mad_u64_u32 v[112:113], s[24:25], v144, v141, v[112:113]
	v_cvt_f32_i32_e32 v7, v6
	v_cvt_f32_i32_e32 v6, v8
	v_cvt_f32_i32_e32 v5, v137
	v_cvt_f32_i32_e32 v4, v136
	v_cvt_f32_i32_e32 v9, v143
	v_cvt_f32_i32_e32 v8, v142
	v_cvt_f32_i32_e32 v3, v112
	v_cvt_f32_i32_e32 v2, v2
	v_pk_mul_f32 v[4:5], v[106:107], v[4:5]
	v_pk_mul_f32 v[8:9], v[110:111], v[8:9]
	v_pk_fma_f32 v[4:5], v[104:105], v[6:7], v[4:5] neg_lo:[0,0,1] neg_hi:[0,0,1]
	v_pk_fma_f32 v[2:3], v[108:109], v[2:3], v[8:9] neg_lo:[0,0,1] neg_hi:[0,0,1]
	v_add_u32_e32 v89, 4, v89
	v_add_u32_e32 v87, 32, v87
	v_pk_fma_f32 v[98:99], v[102:103], v[4:5], v[98:99] op_sel_hi:[0,1,1]
	v_pk_fma_f32 v[94:95], v[102:103], v[2:3], v[94:95] op_sel_hi:[0,1,1]
	s_cbranch_scc1 .LBB228_36
; %bb.37:                               ;   in Loop: Header=BB228_5 Depth=1
	s_barrier
	s_branch .LBB228_4
.LBB228_38:
	s_mul_i32 s0, s14, s11
	s_waitcnt vmcnt(0)
	v_cmp_gt_i32_e32 vcc, s0, v11
	s_and_saveexec_b64 s[0:1], vcc
	s_cbranch_execz .LBB228_47
; %bb.39:
	v_and_b32_e32 v0, 0x3ff, v0
	v_add_u32_e32 v1, s15, v0
	v_mul_lo_u32 v0, v11, s13
	v_cmp_gt_u32_e32 vcc, s13, v1
	s_and_saveexec_b64 s[0:1], vcc
	s_cbranch_execz .LBB228_41
; %bb.40:
	v_bfe_u32 v2, v98, 16, 1
	s_movk_i32 s2, 0x7fff
	v_add3_u32 v2, v98, v2, s2
	v_lshrrev_b32_e32 v2, 16, v2
	v_mov_b32_e32 v3, 0x7fc0
	v_cmp_o_f32_e32 vcc, v98, v98
	v_cndmask_b32_e32 v4, v3, v2, vcc
	v_add_u32_e32 v2, v0, v1
	v_mov_b32_e32 v3, 0
	v_lshlrev_b64 v[2:3], 1, v[2:3]
	v_mov_b32_e32 v5, s17
	v_add_co_u32_e32 v2, vcc, s16, v2
	v_addc_co_u32_e32 v3, vcc, v5, v3, vcc
	global_store_short v[2:3], v4, off
.LBB228_41:
	s_or_b64 exec, exec, s[0:1]
	v_add_u32_e32 v2, 32, v1
	v_cmp_gt_u32_e32 vcc, s13, v2
	s_and_saveexec_b64 s[0:1], vcc
	s_cbranch_execz .LBB228_43
; %bb.42:
	v_bfe_u32 v3, v99, 16, 1
	s_movk_i32 s2, 0x7fff
	v_add3_u32 v3, v99, v3, s2
	v_lshrrev_b32_e32 v3, 16, v3
	v_mov_b32_e32 v4, 0x7fc0
	v_cmp_o_f32_e32 vcc, v99, v99
	v_cndmask_b32_e32 v4, v4, v3, vcc
	v_add_u32_e32 v2, v0, v2
	v_mov_b32_e32 v3, 0
	v_lshlrev_b64 v[2:3], 1, v[2:3]
	v_mov_b32_e32 v5, s17
	v_add_co_u32_e32 v2, vcc, s16, v2
	v_addc_co_u32_e32 v3, vcc, v5, v3, vcc
	global_store_short v[2:3], v4, off
.LBB228_43:
	s_or_b64 exec, exec, s[0:1]
	v_add_u32_e32 v2, 64, v1
	v_cmp_gt_u32_e32 vcc, s13, v2
	s_and_saveexec_b64 s[0:1], vcc
	s_cbranch_execz .LBB228_45
; %bb.44:
	v_bfe_u32 v3, v94, 16, 1
	s_movk_i32 s2, 0x7fff
	v_add3_u32 v3, v94, v3, s2
	v_lshrrev_b32_e32 v3, 16, v3
	v_mov_b32_e32 v4, 0x7fc0
	v_cmp_o_f32_e32 vcc, v94, v94
	v_cndmask_b32_e32 v4, v4, v3, vcc
	v_add_u32_e32 v2, v0, v2
	v_mov_b32_e32 v3, 0
	v_lshlrev_b64 v[2:3], 1, v[2:3]
	v_mov_b32_e32 v5, s17
	v_add_co_u32_e32 v2, vcc, s16, v2
	v_addc_co_u32_e32 v3, vcc, v5, v3, vcc
	global_store_short v[2:3], v4, off
.LBB228_45:
	s_or_b64 exec, exec, s[0:1]
	v_add_u32_e32 v1, 0x60, v1
	v_cmp_gt_u32_e32 vcc, s13, v1
	s_and_b64 exec, exec, vcc
	s_cbranch_execz .LBB228_47
; %bb.46:
	v_bfe_u32 v2, v95, 16, 1
	s_movk_i32 s0, 0x7fff
	v_add3_u32 v2, v95, v2, s0
	v_add_u32_e32 v0, v0, v1
	v_mov_b32_e32 v1, 0
	v_lshrrev_b32_e32 v2, 16, v2
	v_mov_b32_e32 v3, 0x7fc0
	v_cmp_o_f32_e32 vcc, v95, v95
	v_lshlrev_b64 v[0:1], 1, v[0:1]
	v_cndmask_b32_e32 v2, v3, v2, vcc
	v_mov_b32_e32 v3, s17
	v_add_co_u32_e32 v0, vcc, s16, v0
	v_addc_co_u32_e32 v1, vcc, v3, v1, vcc
	global_store_short v[0:1], v2, off
.LBB228_47:
	s_endpgm
	.section	.rodata,"a",@progbits
	.p2align	6, 0x0
	.amdhsa_kernel _ZL8moe_q2_KIN3c108BFloat16ELb1EEvPKvS3_PT_PKiS7_S7_iiiiiii
		.amdhsa_group_segment_fixed_size 23328
		.amdhsa_private_segment_fixed_size 0
		.amdhsa_kernarg_size 76
		.amdhsa_user_sgpr_count 6
		.amdhsa_user_sgpr_private_segment_buffer 1
		.amdhsa_user_sgpr_dispatch_ptr 0
		.amdhsa_user_sgpr_queue_ptr 0
		.amdhsa_user_sgpr_kernarg_segment_ptr 1
		.amdhsa_user_sgpr_dispatch_id 0
		.amdhsa_user_sgpr_flat_scratch_init 0
		.amdhsa_user_sgpr_kernarg_preload_length 0
		.amdhsa_user_sgpr_kernarg_preload_offset 0
		.amdhsa_user_sgpr_private_segment_size 0
		.amdhsa_uses_dynamic_stack 0
		.amdhsa_system_sgpr_private_segment_wavefront_offset 0
		.amdhsa_system_sgpr_workgroup_id_x 1
		.amdhsa_system_sgpr_workgroup_id_y 1
		.amdhsa_system_sgpr_workgroup_id_z 0
		.amdhsa_system_sgpr_workgroup_info 0
		.amdhsa_system_vgpr_workitem_id 1
		.amdhsa_next_free_vgpr 170
		.amdhsa_next_free_sgpr 34
		.amdhsa_accum_offset 172
		.amdhsa_reserve_vcc 1
		.amdhsa_reserve_flat_scratch 0
		.amdhsa_float_round_mode_32 0
		.amdhsa_float_round_mode_16_64 0
		.amdhsa_float_denorm_mode_32 3
		.amdhsa_float_denorm_mode_16_64 3
		.amdhsa_dx10_clamp 1
		.amdhsa_ieee_mode 1
		.amdhsa_fp16_overflow 0
		.amdhsa_tg_split 0
		.amdhsa_exception_fp_ieee_invalid_op 0
		.amdhsa_exception_fp_denorm_src 0
		.amdhsa_exception_fp_ieee_div_zero 0
		.amdhsa_exception_fp_ieee_overflow 0
		.amdhsa_exception_fp_ieee_underflow 0
		.amdhsa_exception_fp_ieee_inexact 0
		.amdhsa_exception_int_div_zero 0
	.end_amdhsa_kernel
	.section	.text._ZL8moe_q2_KIN3c108BFloat16ELb1EEvPKvS3_PT_PKiS7_S7_iiiiiii,"axG",@progbits,_ZL8moe_q2_KIN3c108BFloat16ELb1EEvPKvS3_PT_PKiS7_S7_iiiiiii,comdat
.Lfunc_end228:
	.size	_ZL8moe_q2_KIN3c108BFloat16ELb1EEvPKvS3_PT_PKiS7_S7_iiiiiii, .Lfunc_end228-_ZL8moe_q2_KIN3c108BFloat16ELb1EEvPKvS3_PT_PKiS7_S7_iiiiiii
                                        ; -- End function
	.section	.AMDGPU.csdata,"",@progbits
; Kernel info:
; codeLenInByte = 9148
; NumSgprs: 38
; NumVgprs: 170
; NumAgprs: 0
; TotalNumVgprs: 170
; ScratchSize: 0
; MemoryBound: 0
; FloatMode: 240
; IeeeMode: 1
; LDSByteSize: 23328 bytes/workgroup (compile time only)
; SGPRBlocks: 4
; VGPRBlocks: 21
; NumSGPRsForWavesPerEU: 38
; NumVGPRsForWavesPerEU: 170
; AccumOffset: 172
; Occupancy: 2
; WaveLimiterHint : 1
; COMPUTE_PGM_RSRC2:SCRATCH_EN: 0
; COMPUTE_PGM_RSRC2:USER_SGPR: 6
; COMPUTE_PGM_RSRC2:TRAP_HANDLER: 0
; COMPUTE_PGM_RSRC2:TGID_X_EN: 1
; COMPUTE_PGM_RSRC2:TGID_Y_EN: 1
; COMPUTE_PGM_RSRC2:TGID_Z_EN: 0
; COMPUTE_PGM_RSRC2:TIDIG_COMP_CNT: 1
; COMPUTE_PGM_RSRC3_GFX90A:ACCUM_OFFSET: 42
; COMPUTE_PGM_RSRC3_GFX90A:TG_SPLIT: 0
	.section	.text._ZL8moe_q3_KIN3c108BFloat16ELb0EEvPKvS3_PT_PKiS7_S7_iiiiiii,"axG",@progbits,_ZL8moe_q3_KIN3c108BFloat16ELb0EEvPKvS3_PT_PKiS7_S7_iiiiiii,comdat
	.globl	_ZL8moe_q3_KIN3c108BFloat16ELb0EEvPKvS3_PT_PKiS7_S7_iiiiiii ; -- Begin function _ZL8moe_q3_KIN3c108BFloat16ELb0EEvPKvS3_PT_PKiS7_S7_iiiiiii
	.p2align	8
	.type	_ZL8moe_q3_KIN3c108BFloat16ELb0EEvPKvS3_PT_PKiS7_S7_iiiiiii,@function
_ZL8moe_q3_KIN3c108BFloat16ELb0EEvPKvS3_PT_PKiS7_S7_iiiiiii: ; @_ZL8moe_q3_KIN3c108BFloat16ELb0EEvPKvS3_PT_PKiS7_S7_iiiiiii
; %bb.0:
	s_load_dwordx4 s[0:3], s[4:5], 0x18
	s_mov_b32 s8, s7
	s_mov_b32 s9, 0
	s_lshl_b64 s[10:11], s[8:9], 2
	s_waitcnt lgkmcnt(0)
	s_add_u32 s2, s2, s10
	s_addc_u32 s3, s3, s11
	s_load_dword s2, s[2:3], 0x0
	s_waitcnt lgkmcnt(0)
	s_cmpk_gt_u32 s2, 0xff
	s_cbranch_scc1 .LBB229_48
; %bb.1:
	s_load_dwordx2 s[10:11], s[4:5], 0x28
	s_lshl_b32 s3, s8, 3
	s_waitcnt lgkmcnt(0)
	s_load_dword s7, s[10:11], 0x0
	s_waitcnt lgkmcnt(0)
	s_cmp_gt_u32 s3, s7
	s_cbranch_scc1 .LBB229_48
; %bb.2:
	v_bfe_u32 v1, v0, 10, 10
	v_add_u32_e32 v10, s3, v1
	v_mov_b32_e32 v11, 0
	v_lshlrev_b64 v[2:3], 2, v[10:11]
	v_mov_b32_e32 v4, s1
	v_add_co_u32_e32 v2, vcc, s0, v2
	v_addc_co_u32_e32 v3, vcc, v4, v3, vcc
	global_load_dword v13, v[2:3], off
	s_load_dwordx2 s[14:15], s[4:5], 0x30
	s_load_dwordx2 s[12:13], s[4:5], 0x10
	s_load_dwordx4 s[8:11], s[4:5], 0x3c
	s_lshl_b32 s22, s6, 7
	s_mov_b32 s23, 0
	s_waitcnt lgkmcnt(0)
	s_cmpk_lt_i32 s15, 0x100
	s_cbranch_scc1 .LBB229_38
; %bb.3:
	s_ashr_i32 s0, s15, 31
	s_lshr_b32 s0, s0, 24
	s_load_dwordx4 s[4:7], s[4:5], 0x0
	s_add_i32 s0, s15, s0
	s_ashr_i32 s24, s0, 8
	s_ashr_i32 s0, s9, 31
	s_lshr_b32 s0, s0, 27
	s_add_i32 s0, s9, s0
	s_mul_i32 s2, s2, s14
	s_ashr_i32 s9, s0, 5
	s_ashr_i32 s0, s2, 31
	s_waitcnt lgkmcnt(0)
	s_add_u32 s1, s4, s2
	s_mul_i32 s2, s24, s22
	s_addc_u32 s0, s5, s0
	s_mul_hi_i32 s3, s2, 0x6e
	s_mulk_i32 s2, 0x6e
	s_add_u32 s25, s1, s2
	s_addc_u32 s26, s0, s3
	s_lshl_b32 s1, s24, 3
	v_mov_b32_e32 v4, s1
	v_mad_i32_i24 v16, s24, v1, v4
	v_add_u32_e32 v18, s1, v16
	v_add_u32_e32 v20, s1, v18
	;; [unrolled: 1-line block ×9, first 2 shown]
	v_and_b32_e32 v17, 0x3ff, v0
	v_add_u32_e32 v36, s1, v34
	v_add_u32_e32 v38, s1, v36
	v_lshlrev_b32_e32 v4, 4, v1
	v_lshrrev_b32_e32 v5, 1, v17
	v_add_u32_e32 v40, s1, v38
	v_and_b32_e32 v46, 1, v17
	v_add_u32_e32 v6, v5, v4
	v_add_u32_e32 v42, s1, v40
	v_and_b32_e32 v7, 0x7f, v6
	v_lshlrev_b32_e32 v8, 2, v46
	v_lshrrev_b32_e32 v6, 2, v6
	v_add_u32_e32 v44, s1, v42
	v_mul_i32_i24_e32 v48, s24, v7
	v_lshl_or_b32 v7, v7, 3, v8
	v_and_b32_e32 v6, 28, v6
	s_movk_i32 s1, 0x7380
	v_lshrrev_b32_e32 v10, 4, v17
	v_add3_u32 v51, v7, v6, s1
	v_lshlrev_b32_e32 v6, 1, v1
	v_add_u32_e32 v7, v10, v6
	v_add_u32_e32 v53, 32, v7
	v_and_b32_e32 v2, 15, v17
	v_lshlrev_b32_e32 v55, 1, v53
	v_lshlrev_b32_e32 v12, 2, v2
	s_movk_i32 s2, 0x4200
	v_and_b32_e32 v55, 0x3ffc, v55
	v_lshlrev_b32_e32 v92, 6, v53
	v_add_u32_e32 v53, 48, v7
	v_add3_u32 v81, v55, v12, s2
	v_lshlrev_b32_e32 v55, 1, v53
	s_lshl_b32 s3, s24, 4
	v_and_b32_e32 v55, 0x3ffc, v55
	v_lshlrev_b32_e32 v111, 6, v53
	v_add_u32_e32 v53, 64, v7
	v_mov_b32_e32 v11, s3
	v_add3_u32 v110, v55, v12, s2
	v_lshlrev_b32_e32 v55, 1, v53
	v_mad_i32_i24 v56, s24, v7, v11
	v_and_b32_e32 v55, 0x3ffc, v55
	v_lshlrev_b32_e32 v113, 6, v53
	v_add_u32_e32 v53, 0x50, v7
	v_add_u32_e32 v58, s3, v56
	v_add3_u32 v112, v55, v12, s2
	v_lshlrev_b32_e32 v55, 1, v53
	v_mul_i32_i24_e32 v54, s24, v7
	v_lshlrev_b32_e32 v8, 6, v7
	v_add_u32_e32 v9, 16, v7
	v_add_u32_e32 v60, s3, v58
	v_and_b32_e32 v55, 0x3ffc, v55
	v_lshlrev_b32_e32 v115, 6, v53
	v_add_u32_e32 v53, 0x60, v7
	v_add_u32_e32 v7, 0x70, v7
	v_cmp_lt_u32_e32 vcc, 7, v2
	v_and_b32_e32 v2, 7, v17
	v_add_u32_e32 v62, s3, v60
	v_add3_u32 v114, v55, v12, s2
	v_lshlrev_b32_e32 v55, 1, v53
	v_lshlrev_b32_e32 v117, 6, v53
	v_lshlrev_b32_e32 v53, 1, v7
	v_cndmask_b32_e64 v50, 0, 1, vcc
	v_lshlrev_b32_e32 v52, 2, v2
	v_add_u32_e32 v64, s3, v62
	v_and_b32_e32 v55, 0x3ffc, v55
	v_and_b32_e32 v53, 0x3ffc, v53
	v_cmp_lt_u32_e32 vcc, 3, v2
	v_and_b32_e32 v2, 3, v17
	v_add_u16_e32 v6, v10, v6
	v_add_u32_e32 v66, s3, v64
	v_add3_u32 v116, v55, v12, s2
	v_add3_u32 v118, v53, v12, s2
	v_lshlrev_b32_e32 v61, 2, v1
	v_lshrrev_b32_e32 v53, 3, v17
	v_cndmask_b32_e64 v70, 0, 1, vcc
	v_add_u16_e32 v55, -2, v2
	v_cmp_gt_u32_e32 vcc, 2, v2
	v_lshrrev_b16_e32 v6, 1, v6
	v_lshlrev_b32_e32 v11, 1, v9
	v_add_u32_e32 v68, s3, v66
	v_add_u32_e32 v59, v53, v61
	v_cndmask_b32_e32 v57, v55, v2, vcc
	v_mov_b32_e32 v63, 2
	s_lshl_b32 s3, s24, 5
	v_lshlrev_b32_e32 v3, 2, v17
	s_movk_i32 s0, 0x84
	v_lshlrev_b32_e32 v6, 2, v6
	v_and_b32_e32 v11, 0x3ffc, v11
	v_lshlrev_b32_sdwa v72, v63, v57 dst_sel:DWORD dst_unused:UNUSED_PAD src0_sel:DWORD src1_sel:BYTE_0
	v_add_u32_e32 v63, 32, v59
	v_mov_b32_e32 v65, s3
	v_mad_u32_u24 v19, v1, s0, v3
	v_add3_u32 v6, v6, v12, s2
	v_add3_u32 v11, v11, v12, s2
	v_cmp_lt_u32_e32 vcc, 1, v2
	v_lshlrev_b32_e32 v57, 1, v2
	v_mul_i32_i24_e32 v74, s24, v59
	v_and_b32_e32 v2, 0x1ffc, v59
	s_movk_i32 s2, 0x6300
	v_lshlrev_b32_e32 v119, 5, v59
	v_mad_i32_i24 v76, s24, v59, v65
	v_and_b32_e32 v65, 0x3ffc, v63
	v_lshlrev_b32_e32 v121, 5, v63
	v_add_u32_e32 v63, 64, v59
	v_add_u32_e32 v59, 0x60, v59
	v_and_b32_e32 v3, 28, v3
	v_cndmask_b32_e64 v55, 0, 1, vcc
	v_add3_u32 v120, v65, v52, s2
	v_and_b32_e32 v65, 0x3ffc, v63
	v_lshlrev_b32_e32 v123, 5, v63
	v_and_b32_e32 v63, 0x3ffc, v59
	v_lshlrev_b32_e32 v125, 5, v59
	v_and_b32_e32 v59, 31, v17
	v_add_co_u32_e32 v82, vcc, s6, v3
	v_lshlrev_b32_e32 v3, 7, v1
	v_mul_i32_i24_e32 v14, s24, v1
	v_lshl_or_b32 v1, v59, 2, v3
	v_add_u32_e32 v59, 0x77a0, v1
	v_or_b32_e32 v1, v61, v17
	v_mov_b32_e32 v61, 0x7ba0
	v_add_u32_e32 v95, 32, v17
	v_lshl_add_u32 v61, v1, 2, v61
	v_lshrrev_b32_e32 v1, 1, v95
	v_lshl_add_u32 v71, v95, 4, v1
	v_mov_b32_e32 v1, 0x1080
	v_add3_u32 v122, v65, v52, s2
	v_lshl_add_u32 v65, v17, 4, v5
	v_lshlrev_b32_e32 v5, 2, v10
	v_lshlrev_b32_e32 v69, 3, v17
	v_mad_u32_u24 v73, v17, s0, v1
	v_lshrrev_b32_e32 v1, 2, v95
	v_add3_u32 v69, v5, v69, s1
	v_and_b32_e32 v1, 0x7c, v1
	v_lshlrev_b32_e32 v5, 3, v95
	v_add_u32_e32 v94, 64, v17
	v_add_u32_e32 v93, 0x60, v17
	v_add3_u32 v75, v5, v1, s1
	v_mov_b32_e32 v1, 0x2100
	v_add3_u32 v2, v2, v52, s2
	v_add3_u32 v124, v63, v52, s2
	v_lshrrev_b32_e32 v84, 1, v93
	v_mad_u32_u24 v79, v17, s0, v1
	v_lshrrev_b32_e32 v1, 2, v94
	s_abs_i32 s2, s11
	v_and_b32_e32 v1, 0x7c, v1
	v_lshlrev_b32_e32 v5, 3, v94
	v_lshl_add_u32 v86, v93, 4, v84
	v_cvt_f32_u32_e32 v84, s2
	v_add3_u32 v85, v5, v1, s1
	v_mov_b32_e32 v1, 0x3180
	v_mad_u32_u24 v87, v17, s0, v1
	v_lshrrev_b32_e32 v1, 2, v93
	v_and_b32_e32 v1, 0x7c, v1
	v_lshlrev_b32_e32 v5, 3, v93
	v_add3_u32 v88, v5, v1, s1
	v_rcp_iflag_f32_e32 v1, v84
	s_sub_i32 s0, 0, s2
	s_waitcnt vmcnt(0)
	v_sub_u32_e32 v84, 0, v13
	v_max_i32_e32 v84, v13, v84
	v_mul_f32_e32 v1, 0x4f7ffffe, v1
	v_cvt_u32_f32_e32 v1, v1
	v_xor_b32_e32 v5, s11, v13
	s_add_u32 s4, s6, 0x90
	v_ashrrev_i32_e32 v5, 31, v5
	v_mul_lo_u32 v96, s0, v1
	v_mul_hi_u32 v96, v1, v96
	v_add_u32_e32 v1, v1, v96
	v_mul_hi_u32 v1, v84, v1
	v_mul_lo_u32 v96, v1, s2
	v_sub_u32_e32 v84, v84, v96
	v_add_u32_e32 v96, 1, v1
	v_cmp_le_u32_e64 s[0:1], s2, v84
	v_cndmask_b32_e64 v1, v1, v96, s[0:1]
	v_subrev_u32_e32 v96, s2, v84
	v_cndmask_b32_e64 v84, v84, v96, s[0:1]
	v_add_u32_e32 v96, 1, v1
	v_cmp_le_u32_e64 s[0:1], s2, v84
	v_cndmask_b32_e64 v1, v1, v96, s[0:1]
	s_addc_u32 s5, s7, 0
	v_xor_b32_e32 v1, v1, v5
	s_add_u32 s16, s6, 0x120
	v_mov_b32_e32 v63, s7
	v_lshrrev_b32_e32 v77, 1, v94
	v_sub_u32_e32 v1, v1, v5
	s_addc_u32 s17, s7, 0
	v_lshlrev_b32_e32 v9, 6, v9
	v_lshlrev_b32_e32 v7, 6, v7
	v_add_u32_e32 v78, s3, v76
	v_addc_co_u32_e32 v83, vcc, 0, v63, vcc
	v_lshlrev_b32_e32 v63, 5, v17
	v_lshl_add_u32 v77, v94, 4, v77
	v_lshrrev_b32_e32 v89, 3, v95
	v_lshrrev_b32_e32 v90, 3, v94
	;; [unrolled: 1-line block ×3, first 2 shown]
	v_mul_lo_u32 v84, v1, s9
	s_add_u32 s18, s6, 0x1b0
	v_and_b32_e32 v93, 0x1fc, v93
	v_and_b32_e32 v94, 0x1fc, v94
	v_and_b32_e32 v95, 0x1fc, v95
	v_and_b32_e32 v96, 0xfc, v17
	s_movk_i32 s14, 0x6e
	v_mov_b32_e32 v15, 0
	v_add_u32_e32 v21, 0x420, v19
	v_add_u32_e32 v23, 0x840, v19
	;; [unrolled: 1-line block ×15, first 2 shown]
	s_movk_i32 s27, 0x60
	v_lshlrev_b32_e32 v55, 2, v55
	v_add_u32_e32 v80, s3, v78
	v_cmp_gt_u32_e32 vcc, 4, v17
	v_mul_u32_u24_e32 v67, 0x84, v17
	v_cmp_gt_i32_e64 s[0:1], s8, v1
	v_ashrrev_i32_e32 v1, 31, v84
	s_addc_u32 s19, s7, 0
	v_add_u32_e32 v97, 0x77a0, v3
	v_add_u32_e32 v98, 0x7ba0, v4
	;; [unrolled: 1-line block ×18, first 2 shown]
	s_mov_b32 s28, 0x30303030
	s_movk_i32 s29, 0x3f00
	s_movk_i32 s30, 0xe000
	v_add_u32_e32 v115, v2, v119
	v_add_u32_e32 v116, v120, v121
	;; [unrolled: 1-line block ×4, first 2 shown]
	v_mov_b32_e32 v119, 8
	v_mov_b32_e32 v92, 0
	;; [unrolled: 1-line block ×4, first 2 shown]
	s_branch .LBB229_5
.LBB229_4:                              ;   in Loop: Header=BB229_5 Depth=1
	s_add_i32 s23, s23, 2
	s_cmp_ge_i32 s23, s24
	s_cbranch_scc1 .LBB229_39
.LBB229_5:                              ; =>This Loop Header: Depth=1
                                        ;     Child Loop BB229_12 Depth 2
                                        ;     Child Loop BB229_20 Depth 2
	;; [unrolled: 1-line block ×4, first 2 shown]
	s_mul_i32 s2, s23, 0x6e
	s_mul_hi_u32 s3, s23, 0x6e
	s_add_u32 s2, s25, s2
	s_addc_u32 s3, s26, s3
	v_pk_mov_b32 v[2:3], s[2:3], s[2:3] op_sel:[0,1]
	v_mad_u64_u32 v[4:5], s[2:3], v10, s14, v[2:3]
	v_add_co_u32_e64 v4, s[2:3], v4, v12
	v_addc_co_u32_e64 v5, s[2:3], 0, v5, s[2:3]
	v_add_co_u32_e64 v4, s[2:3], 32, v4
	v_addc_co_u32_e64 v5, s[2:3], 0, v5, s[2:3]
	v_mad_u64_u32 v[6:7], s[2:3], v14, s14, v[4:5]
	v_mad_u64_u32 v[8:9], s[2:3], v16, s14, v[4:5]
	;; [unrolled: 1-line block ×8, first 2 shown]
	global_load_dword v132, v[6:7], off
	global_load_dword v133, v[8:9], off
	;; [unrolled: 1-line block ×8, first 2 shown]
	v_mad_u64_u32 v[6:7], s[2:3], v30, s14, v[4:5]
	v_mad_u64_u32 v[8:9], s[2:3], v32, s14, v[4:5]
	;; [unrolled: 1-line block ×8, first 2 shown]
	global_load_dword v140, v[6:7], off
	global_load_dword v141, v[8:9], off
	;; [unrolled: 1-line block ×8, first 2 shown]
	v_mad_u64_u32 v[4:5], s[2:3], v48, s14, v[2:3]
	v_mad_u64_u32 v[4:5], s[2:3], v46, s14, v[4:5]
	;; [unrolled: 1-line block ×3, first 2 shown]
	v_add_co_u32_e64 v6, s[2:3], v6, v52
	v_addc_co_u32_e64 v7, s[2:3], 0, v7, s[2:3]
	v_mad_u64_u32 v[120:121], s[2:3], v56, s14, v[6:7]
	v_mad_u64_u32 v[122:123], s[2:3], v58, s14, v[6:7]
	;; [unrolled: 1-line block ×7, first 2 shown]
	global_load_ushort v148, v[4:5], off offset:108
	global_load_dword v149, v[8:9], off
	s_nop 0
	global_load_dword v120, v[120:121], off
	s_nop 0
	;; [unrolled: 2-line block ×3, first 2 shown]
	global_load_dword v122, v[124:125], off
	global_load_dword v123, v[126:127], off
	s_nop 0
	global_load_dword v124, v[128:129], off
	global_load_dword v125, v[130:131], off
	v_mad_u64_u32 v[4:5], s[2:3], v68, s14, v[6:7]
	v_mad_u64_u32 v[2:3], s[2:3], v70, s14, v[2:3]
	v_add_co_u32_e64 v2, s[2:3], s27, v2
	v_addc_co_u32_e64 v3, s[2:3], 0, v3, s[2:3]
	global_load_dword v126, v[4:5], off
	v_mad_u64_u32 v[4:5], s[2:3], v74, s14, v[2:3]
	v_add_co_u32_e64 v6, s[2:3], v4, v72
	v_addc_co_u32_e64 v7, s[2:3], 0, v5, s[2:3]
	global_load_dword v127, v[6:7], off
	v_mad_u64_u32 v[6:7], s[2:3], v76, s14, v[2:3]
	v_mad_u64_u32 v[8:9], s[2:3], v78, s14, v[2:3]
	;; [unrolled: 1-line block ×3, first 2 shown]
	global_load_dword v128, v[2:3], off offset:8
	global_load_dword v129, v[8:9], off offset:8
	;; [unrolled: 1-line block ×4, first 2 shown]
	v_add_co_u32_e64 v4, s[2:3], v6, v72
	v_addc_co_u32_e64 v5, s[2:3], 0, v7, s[2:3]
	global_load_dword v6, v[4:5], off
	v_add_co_u32_e64 v4, s[2:3], v8, v72
	v_addc_co_u32_e64 v5, s[2:3], 0, v9, s[2:3]
	global_load_dword v4, v[4:5], off
	v_add_co_u32_e64 v2, s[2:3], v2, v72
	s_waitcnt vmcnt(31)
	ds_write_b32 v19, v132
	s_waitcnt vmcnt(30)
	ds_write_b32 v21, v133
	s_waitcnt vmcnt(29)
	ds_write_b32 v23, v134
	s_waitcnt vmcnt(28)
	ds_write_b32 v25, v135
	s_waitcnt vmcnt(27)
	ds_write_b32 v27, v136
	s_waitcnt vmcnt(26)
	ds_write_b32 v29, v137
	v_addc_co_u32_e64 v3, s[2:3], 0, v3, s[2:3]
	global_load_dword v2, v[2:3], off
	s_waitcnt vmcnt(26)
	ds_write_b32 v31, v138
	s_waitcnt vmcnt(25)
	ds_write_b32 v33, v139
	;; [unrolled: 2-line block ×7, first 2 shown]
	s_lshl_b32 s33, s23, 8
	s_cmp_lt_i32 s33, s15
	s_waitcnt vmcnt(16)
	v_cvt_f32_f16_e32 v3, v148
	ds_write_b32 v45, v145
	ds_write_b32 v47, v146
	;; [unrolled: 1-line block ×4, first 2 shown]
	s_waitcnt vmcnt(15)
	v_not_b32_e32 v3, v149
	ds_write_b32 v107, v3
	s_waitcnt vmcnt(14)
	v_not_b32_e32 v3, v120
	ds_write_b32 v108, v3
	;; [unrolled: 3-line block ×8, first 2 shown]
	s_waitcnt vmcnt(7)
	v_ashrrev_i32_e32 v3, v55, v127
	v_and_b32_e32 v3, 0xf0f0f0f, v3
	s_waitcnt vmcnt(3)
	v_ashrrev_i32_e32 v5, v57, v131
	v_lshlrev_b32_e32 v5, 4, v5
	v_and_or_b32 v3, v5, s28, v3
	v_lshlrev_b16_e32 v7, 8, v3
	v_and_b32_e32 v5, 0x3f00, v3
	v_add_u16_e32 v7, 0xe000, v7
	v_or_b32_sdwa v5, v5, v7 dst_sel:DWORD dst_unused:UNUSED_PAD src0_sel:DWORD src1_sel:BYTE_1
	v_and_b32_sdwa v7, v3, s29 dst_sel:DWORD dst_unused:UNUSED_PAD src0_sel:WORD_1 src1_sel:DWORD
	v_lshlrev_b16_sdwa v3, v119, v3 dst_sel:DWORD dst_unused:UNUSED_PAD src0_sel:DWORD src1_sel:WORD_1
	v_add_u16_e32 v3, 0xe000, v3
	v_or_b32_sdwa v3, v7, v3 dst_sel:DWORD dst_unused:UNUSED_PAD src0_sel:DWORD src1_sel:BYTE_1
	v_add_u16_e32 v5, 0xe000, v5
	v_add_u16_sdwa v3, v3, s30 dst_sel:WORD_1 dst_unused:UNUSED_PAD src0_sel:DWORD src1_sel:DWORD
	v_or_b32_e32 v3, v5, v3
	ds_write_b32 v115, v3
	s_waitcnt vmcnt(2)
	v_ashrrev_i32_e32 v3, v55, v6
	v_ashrrev_i32_e32 v5, v57, v130
	v_and_b32_e32 v3, 0xf0f0f0f, v3
	v_lshlrev_b32_e32 v5, 4, v5
	v_and_or_b32 v3, v5, s28, v3
	v_lshlrev_b16_e32 v6, 8, v3
	v_and_b32_e32 v5, 0x3f00, v3
	v_add_u16_e32 v6, 0xe000, v6
	v_or_b32_sdwa v5, v5, v6 dst_sel:DWORD dst_unused:UNUSED_PAD src0_sel:DWORD src1_sel:BYTE_1
	v_and_b32_sdwa v6, v3, s29 dst_sel:DWORD dst_unused:UNUSED_PAD src0_sel:WORD_1 src1_sel:DWORD
	v_lshlrev_b16_sdwa v3, v119, v3 dst_sel:DWORD dst_unused:UNUSED_PAD src0_sel:DWORD src1_sel:WORD_1
	v_add_u16_e32 v3, 0xe000, v3
	v_or_b32_sdwa v3, v6, v3 dst_sel:DWORD dst_unused:UNUSED_PAD src0_sel:DWORD src1_sel:BYTE_1
	v_add_u16_e32 v5, 0xe000, v5
	v_add_u16_sdwa v3, v3, s30 dst_sel:WORD_1 dst_unused:UNUSED_PAD src0_sel:DWORD src1_sel:DWORD
	v_or_b32_e32 v3, v5, v3
	ds_write_b32 v116, v3
	s_waitcnt vmcnt(1)
	v_ashrrev_i32_e32 v3, v55, v4
	v_ashrrev_i32_e32 v4, v57, v129
	v_and_b32_e32 v3, 0xf0f0f0f, v3
	;; [unrolled: 18-line block ×3, first 2 shown]
	v_lshlrev_b32_e32 v3, 4, v3
	v_and_or_b32 v2, v3, s28, v2
	v_lshlrev_b16_e32 v4, 8, v2
	v_and_b32_e32 v3, 0x3f00, v2
	v_add_u16_e32 v4, 0xe000, v4
	v_or_b32_sdwa v3, v3, v4 dst_sel:DWORD dst_unused:UNUSED_PAD src0_sel:DWORD src1_sel:BYTE_1
	v_and_b32_sdwa v4, v2, s29 dst_sel:DWORD dst_unused:UNUSED_PAD src0_sel:WORD_1 src1_sel:DWORD
	v_lshlrev_b16_sdwa v2, v119, v2 dst_sel:DWORD dst_unused:UNUSED_PAD src0_sel:DWORD src1_sel:WORD_1
	v_add_u16_e32 v2, 0xe000, v2
	v_or_b32_sdwa v2, v4, v2 dst_sel:DWORD dst_unused:UNUSED_PAD src0_sel:DWORD src1_sel:BYTE_1
	v_add_u16_e32 v3, 0xe000, v3
	v_add_u16_sdwa v2, v2, s30 dst_sel:WORD_1 dst_unused:UNUSED_PAD src0_sel:DWORD src1_sel:DWORD
	v_or_b32_e32 v2, v3, v2
	ds_write_b32 v118, v2
	s_cbranch_scc0 .LBB229_4
; %bb.6:                                ;   in Loop: Header=BB229_5 Depth=1
	s_lshl_b32 s31, s23, 3
	v_add_u32_e32 v2, s31, v53
	v_cmp_gt_i32_e64 s[2:3], s9, v2
	s_and_b64 s[20:21], s[0:1], s[2:3]
	s_and_saveexec_b64 s[2:3], s[20:21]
	s_cbranch_execz .LBB229_8
; %bb.7:                                ;   in Loop: Header=BB229_5 Depth=1
	v_add_u32_e32 v2, v84, v2
	v_mad_i64_i32 v[2:3], s[20:21], v2, 36, v[82:83]
	global_load_dword v2, v[2:3], off offset:4
	s_waitcnt vmcnt(0)
	ds_write_b32 v59, v2
.LBB229_8:                              ;   in Loop: Header=BB229_5 Depth=1
	s_or_b64 exec, exec, s[2:3]
	s_and_saveexec_b64 s[20:21], vcc
	s_cbranch_execz .LBB229_11
; %bb.9:                                ;   in Loop: Header=BB229_5 Depth=1
	v_or_b32_e32 v2, s31, v17
	v_cmp_gt_i32_e64 s[2:3], s9, v2
	s_and_b64 s[2:3], s[0:1], s[2:3]
	s_and_b64 exec, exec, s[2:3]
	s_cbranch_execz .LBB229_11
; %bb.10:                               ;   in Loop: Header=BB229_5 Depth=1
	v_add_u32_e32 v2, v84, v2
	v_mad_i64_i32 v[2:3], s[2:3], v2, 36, s[6:7]
	global_load_dword v2, v[2:3], off
	s_waitcnt vmcnt(0)
	v_cvt_f32_f16_e32 v2, v2
	ds_write_b32 v61, v2
.LBB229_11:                             ;   in Loop: Header=BB229_5 Depth=1
	s_or_b64 exec, exec, s[20:21]
	s_mov_b32 s20, -2
	s_mov_b32 s2, 0
	v_mov_b32_e32 v120, v98
	v_mov_b32_e32 v121, v97
	s_mov_b32 s3, 0
	s_waitcnt lgkmcnt(0)
	s_barrier
.LBB229_12:                             ;   Parent Loop BB229_5 Depth=1
                                        ; =>  This Inner Loop Header: Depth=2
	s_and_b32 s21, s3, -16
	v_add_u32_e32 v123, s21, v63
	s_add_i32 s21, s20, 2
	s_lshr_b32 s36, s21, 4
	s_and_b32 s35, s21, 0x3ffffff8
	s_lshl_b32 s34, s36, 3
	s_lshl_b32 s35, s35, 2
	v_add_lshl_u32 v130, v65, s34, 2
	v_add_u32_e32 v128, s35, v67
	v_add_u32_e32 v126, 0x4200, v130
	ds_read_b32 v122, v120
	ds_read_b128 v[6:9], v121
	ds_read_b128 v[2:5], v121 offset:16
	ds_read2_b32 v[124:125], v128 offset1:1
	ds_read2_b32 v[126:127], v126 offset1:1
	s_lshl_b32 s36, s36, 2
	s_add_i32 s3, s3, 2
	v_add_u32_e32 v121, 32, v121
	s_waitcnt lgkmcnt(1)
	v_ashrrev_i32_e32 v124, s21, v124
	s_waitcnt lgkmcnt(0)
	v_ashrrev_i32_e32 v126, s2, v126
	v_lshlrev_b32_e32 v126, 2, v126
	v_and_b32_e32 v129, 0x3030303, v124
	v_bfe_u32 v124, v124, 24, 2
	v_and_b32_e32 v126, 0x4040404, v126
	v_sub_u16_e32 v131, v129, v126
	v_sub_u16_sdwa v132, v129, v126 dst_sel:BYTE_1 dst_unused:UNUSED_PAD src0_sel:BYTE_1 src1_sel:BYTE_1
	v_sub_u16_sdwa v124, v124, v126 dst_sel:BYTE_1 dst_unused:UNUSED_PAD src0_sel:DWORD src1_sel:BYTE_3
	v_sub_u16_sdwa v126, v129, v126 dst_sel:DWORD dst_unused:UNUSED_PAD src0_sel:WORD_1 src1_sel:WORD_1
	v_or_b32_sdwa v131, v131, v132 dst_sel:DWORD dst_unused:UNUSED_PAD src0_sel:BYTE_0 src1_sel:DWORD
	v_or_b32_sdwa v124, v126, v124 dst_sel:WORD_1 dst_unused:UNUSED_PAD src0_sel:BYTE_0 src1_sel:DWORD
	v_ashrrev_i32_e32 v126, s2, v127
	v_or_b32_sdwa v129, v131, v124 dst_sel:DWORD dst_unused:UNUSED_PAD src0_sel:WORD_0 src1_sel:DWORD
	v_ashrrev_i32_e32 v124, s21, v125
	v_lshlrev_b32_e32 v126, 2, v126
	v_and_b32_e32 v125, 0x3030303, v124
	v_bfe_u32 v124, v124, 24, 2
	v_and_b32_e32 v126, 0x4040404, v126
	v_sub_u16_e32 v127, v125, v126
	v_sub_u16_sdwa v131, v125, v126 dst_sel:BYTE_1 dst_unused:UNUSED_PAD src0_sel:BYTE_1 src1_sel:BYTE_1
	v_sub_u16_sdwa v124, v124, v126 dst_sel:BYTE_1 dst_unused:UNUSED_PAD src0_sel:DWORD src1_sel:BYTE_3
	v_sub_u16_sdwa v125, v125, v126 dst_sel:DWORD dst_unused:UNUSED_PAD src0_sel:WORD_1 src1_sel:WORD_1
	v_or_b32_sdwa v127, v127, v131 dst_sel:DWORD dst_unused:UNUSED_PAD src0_sel:BYTE_0 src1_sel:DWORD
	v_or_b32_sdwa v124, v125, v124 dst_sel:WORD_1 dst_unused:UNUSED_PAD src0_sel:BYTE_0 src1_sel:DWORD
	v_add_u32_e32 v126, 0x4208, v130
	v_or_b32_sdwa v131, v127, v124 dst_sel:DWORD dst_unused:UNUSED_PAD src0_sel:WORD_0 src1_sel:DWORD
	ds_read2_b32 v[124:125], v128 offset0:2 offset1:3
	ds_read2_b32 v[126:127], v126 offset1:1
	v_add_u32_e32 v120, 4, v120
	s_waitcnt lgkmcnt(1)
	v_ashrrev_i32_e32 v124, s21, v124
	s_waitcnt lgkmcnt(0)
	v_ashrrev_i32_e32 v126, s2, v126
	v_lshlrev_b32_e32 v126, 2, v126
	v_and_b32_e32 v132, 0x3030303, v124
	v_bfe_u32 v124, v124, 24, 2
	v_and_b32_e32 v126, 0x4040404, v126
	v_sub_u16_e32 v133, v132, v126
	v_sub_u16_sdwa v134, v132, v126 dst_sel:BYTE_1 dst_unused:UNUSED_PAD src0_sel:BYTE_1 src1_sel:BYTE_1
	v_sub_u16_sdwa v124, v124, v126 dst_sel:BYTE_1 dst_unused:UNUSED_PAD src0_sel:DWORD src1_sel:BYTE_3
	v_sub_u16_sdwa v126, v132, v126 dst_sel:DWORD dst_unused:UNUSED_PAD src0_sel:WORD_1 src1_sel:WORD_1
	v_or_b32_sdwa v133, v133, v134 dst_sel:DWORD dst_unused:UNUSED_PAD src0_sel:BYTE_0 src1_sel:DWORD
	v_or_b32_sdwa v124, v126, v124 dst_sel:WORD_1 dst_unused:UNUSED_PAD src0_sel:BYTE_0 src1_sel:DWORD
	v_ashrrev_i32_e32 v126, s2, v127
	v_or_b32_sdwa v132, v133, v124 dst_sel:DWORD dst_unused:UNUSED_PAD src0_sel:WORD_0 src1_sel:DWORD
	v_ashrrev_i32_e32 v124, s21, v125
	v_lshlrev_b32_e32 v126, 2, v126
	v_and_b32_e32 v125, 0x3030303, v124
	v_bfe_u32 v124, v124, 24, 2
	v_and_b32_e32 v126, 0x4040404, v126
	v_sub_u16_e32 v127, v125, v126
	v_sub_u16_sdwa v133, v125, v126 dst_sel:BYTE_1 dst_unused:UNUSED_PAD src0_sel:BYTE_1 src1_sel:BYTE_1
	v_sub_u16_sdwa v124, v124, v126 dst_sel:BYTE_1 dst_unused:UNUSED_PAD src0_sel:DWORD src1_sel:BYTE_3
	v_sub_u16_sdwa v125, v125, v126 dst_sel:DWORD dst_unused:UNUSED_PAD src0_sel:WORD_1 src1_sel:WORD_1
	v_or_b32_sdwa v127, v127, v133 dst_sel:DWORD dst_unused:UNUSED_PAD src0_sel:BYTE_0 src1_sel:DWORD
	v_or_b32_sdwa v124, v125, v124 dst_sel:WORD_1 dst_unused:UNUSED_PAD src0_sel:BYTE_0 src1_sel:DWORD
	v_add_u32_e32 v126, 0x4210, v130
	v_or_b32_sdwa v133, v127, v124 dst_sel:DWORD dst_unused:UNUSED_PAD src0_sel:WORD_0 src1_sel:DWORD
	ds_read2_b32 v[124:125], v128 offset0:4 offset1:5
	ds_read2_b32 v[126:127], v126 offset1:1
	s_waitcnt lgkmcnt(1)
	v_ashrrev_i32_e32 v124, s21, v124
	s_waitcnt lgkmcnt(0)
	v_ashrrev_i32_e32 v126, s2, v126
	v_lshlrev_b32_e32 v126, 2, v126
	v_and_b32_e32 v134, 0x3030303, v124
	v_bfe_u32 v124, v124, 24, 2
	v_and_b32_e32 v126, 0x4040404, v126
	v_sub_u16_e32 v135, v134, v126
	v_sub_u16_sdwa v136, v134, v126 dst_sel:BYTE_1 dst_unused:UNUSED_PAD src0_sel:BYTE_1 src1_sel:BYTE_1
	v_sub_u16_sdwa v124, v124, v126 dst_sel:BYTE_1 dst_unused:UNUSED_PAD src0_sel:DWORD src1_sel:BYTE_3
	v_sub_u16_sdwa v126, v134, v126 dst_sel:DWORD dst_unused:UNUSED_PAD src0_sel:WORD_1 src1_sel:WORD_1
	v_or_b32_sdwa v135, v135, v136 dst_sel:DWORD dst_unused:UNUSED_PAD src0_sel:BYTE_0 src1_sel:DWORD
	v_or_b32_sdwa v124, v126, v124 dst_sel:WORD_1 dst_unused:UNUSED_PAD src0_sel:BYTE_0 src1_sel:DWORD
	v_ashrrev_i32_e32 v126, s2, v127
	v_or_b32_sdwa v134, v135, v124 dst_sel:DWORD dst_unused:UNUSED_PAD src0_sel:WORD_0 src1_sel:DWORD
	v_ashrrev_i32_e32 v124, s21, v125
	v_lshlrev_b32_e32 v126, 2, v126
	v_and_b32_e32 v125, 0x3030303, v124
	v_bfe_u32 v124, v124, 24, 2
	v_and_b32_e32 v126, 0x4040404, v126
	v_sub_u16_e32 v127, v125, v126
	v_sub_u16_sdwa v135, v125, v126 dst_sel:BYTE_1 dst_unused:UNUSED_PAD src0_sel:BYTE_1 src1_sel:BYTE_1
	v_sub_u16_sdwa v124, v124, v126 dst_sel:BYTE_1 dst_unused:UNUSED_PAD src0_sel:DWORD src1_sel:BYTE_3
	v_sub_u16_sdwa v125, v125, v126 dst_sel:DWORD dst_unused:UNUSED_PAD src0_sel:WORD_1 src1_sel:WORD_1
	v_or_b32_sdwa v127, v127, v135 dst_sel:DWORD dst_unused:UNUSED_PAD src0_sel:BYTE_0 src1_sel:DWORD
	v_or_b32_sdwa v124, v125, v124 dst_sel:WORD_1 dst_unused:UNUSED_PAD src0_sel:BYTE_0 src1_sel:DWORD
	v_add_u32_e32 v126, 0x4218, v130
	v_or_b32_sdwa v135, v127, v124 dst_sel:DWORD dst_unused:UNUSED_PAD src0_sel:WORD_0 src1_sel:DWORD
	ds_read2_b32 v[124:125], v128 offset0:6 offset1:7
	ds_read2_b32 v[126:127], v126 offset1:1
	s_waitcnt lgkmcnt(1)
	v_ashrrev_i32_e32 v124, s21, v124
	s_waitcnt lgkmcnt(0)
	v_ashrrev_i32_e32 v126, s2, v126
	v_lshlrev_b32_e32 v126, 2, v126
	v_and_b32_e32 v128, 0x3030303, v124
	v_bfe_u32 v124, v124, 24, 2
	v_and_b32_e32 v126, 0x4040404, v126
	v_sub_u16_e32 v130, v128, v126
	v_sub_u16_sdwa v136, v128, v126 dst_sel:BYTE_1 dst_unused:UNUSED_PAD src0_sel:BYTE_1 src1_sel:BYTE_1
	v_sub_u16_sdwa v124, v124, v126 dst_sel:BYTE_1 dst_unused:UNUSED_PAD src0_sel:DWORD src1_sel:BYTE_3
	v_sub_u16_sdwa v126, v128, v126 dst_sel:DWORD dst_unused:UNUSED_PAD src0_sel:WORD_1 src1_sel:WORD_1
	v_or_b32_sdwa v130, v130, v136 dst_sel:DWORD dst_unused:UNUSED_PAD src0_sel:BYTE_0 src1_sel:DWORD
	v_or_b32_sdwa v124, v126, v124 dst_sel:WORD_1 dst_unused:UNUSED_PAD src0_sel:BYTE_0 src1_sel:DWORD
	v_ashrrev_i32_e32 v127, s2, v127
	v_or_b32_sdwa v126, v130, v124 dst_sel:DWORD dst_unused:UNUSED_PAD src0_sel:WORD_0 src1_sel:DWORD
	v_ashrrev_i32_e32 v124, s21, v125
	v_lshlrev_b32_e32 v127, 2, v127
	v_and_b32_e32 v125, 0x3030303, v124
	v_bfe_u32 v124, v124, 24, 2
	v_and_b32_e32 v127, 0x4040404, v127
	v_sub_u16_e32 v128, v125, v127
	v_sub_u16_sdwa v130, v125, v127 dst_sel:BYTE_1 dst_unused:UNUSED_PAD src0_sel:BYTE_1 src1_sel:BYTE_1
	v_sub_u16_sdwa v124, v124, v127 dst_sel:BYTE_1 dst_unused:UNUSED_PAD src0_sel:DWORD src1_sel:BYTE_3
	v_sub_u16_sdwa v125, v125, v127 dst_sel:DWORD dst_unused:UNUSED_PAD src0_sel:WORD_1 src1_sel:WORD_1
	v_or_b32_sdwa v128, v128, v130 dst_sel:DWORD dst_unused:UNUSED_PAD src0_sel:BYTE_0 src1_sel:DWORD
	v_or_b32_sdwa v124, v125, v124 dst_sel:WORD_1 dst_unused:UNUSED_PAD src0_sel:BYTE_0 src1_sel:DWORD
	v_or_b32_sdwa v125, v128, v124 dst_sel:DWORD dst_unused:UNUSED_PAD src0_sel:WORD_0 src1_sel:DWORD
	v_add3_u32 v124, v96, s20, v123
	v_add_u32_e32 v127, s36, v69
	ds_read_b32 v127, v127
	ds_read_u16 v124, v124 offset:25346
	v_mov_b32_e32 v128, 0
	v_dot4c_i32_i8_e32 v128, v129, v6
	v_dot4c_i32_i8_e32 v128, v131, v7
	;; [unrolled: 1-line block ×4, first 2 shown]
	s_waitcnt lgkmcnt(0)
	v_lshrrev_b16_e32 v129, 8, v124
	v_bfe_i32 v124, v124, 0, 8
	v_add_lshl_u32 v130, v71, s34, 2
	v_mul_lo_u32 v124, v128, v124
	v_mov_b32_e32 v128, 0
	v_dot4c_i32_i8_e32 v128, v134, v2
	v_dot4c_i32_i8_e32 v128, v135, v3
	;; [unrolled: 1-line block ×4, first 2 shown]
	v_bfe_i32 v125, v129, 0, 8
	v_add_u32_e32 v126, 0x4200, v130
	s_nop 0
	v_mad_u64_u32 v[124:125], s[38:39], v128, v125, v[124:125]
	v_cvt_f32_i32_e32 v124, v124
	v_mul_f32_e32 v125, v122, v127
	v_add_u32_e32 v128, s35, v73
	ds_read2_b32 v[126:127], v126 offset1:1
	v_fmac_f32_e32 v15, v125, v124
	ds_read2_b32 v[124:125], v128 offset1:1
	s_waitcnt lgkmcnt(1)
	v_ashrrev_i32_e32 v126, s2, v126
	v_lshlrev_b32_e32 v126, 2, v126
	s_waitcnt lgkmcnt(0)
	v_ashrrev_i32_e32 v124, s21, v124
	v_and_b32_e32 v129, 0x3030303, v124
	v_bfe_u32 v124, v124, 24, 2
	v_and_b32_e32 v126, 0x4040404, v126
	v_sub_u16_e32 v131, v129, v126
	v_sub_u16_sdwa v132, v129, v126 dst_sel:BYTE_1 dst_unused:UNUSED_PAD src0_sel:BYTE_1 src1_sel:BYTE_1
	v_sub_u16_sdwa v124, v124, v126 dst_sel:BYTE_1 dst_unused:UNUSED_PAD src0_sel:DWORD src1_sel:BYTE_3
	v_sub_u16_sdwa v126, v129, v126 dst_sel:DWORD dst_unused:UNUSED_PAD src0_sel:WORD_1 src1_sel:WORD_1
	v_or_b32_sdwa v131, v131, v132 dst_sel:DWORD dst_unused:UNUSED_PAD src0_sel:BYTE_0 src1_sel:DWORD
	v_or_b32_sdwa v124, v126, v124 dst_sel:WORD_1 dst_unused:UNUSED_PAD src0_sel:BYTE_0 src1_sel:DWORD
	v_ashrrev_i32_e32 v126, s2, v127
	v_or_b32_sdwa v129, v131, v124 dst_sel:DWORD dst_unused:UNUSED_PAD src0_sel:WORD_0 src1_sel:DWORD
	v_ashrrev_i32_e32 v124, s21, v125
	v_lshlrev_b32_e32 v126, 2, v126
	v_and_b32_e32 v125, 0x3030303, v124
	v_bfe_u32 v124, v124, 24, 2
	v_and_b32_e32 v126, 0x4040404, v126
	v_sub_u16_e32 v127, v125, v126
	v_sub_u16_sdwa v131, v125, v126 dst_sel:BYTE_1 dst_unused:UNUSED_PAD src0_sel:BYTE_1 src1_sel:BYTE_1
	v_sub_u16_sdwa v124, v124, v126 dst_sel:BYTE_1 dst_unused:UNUSED_PAD src0_sel:DWORD src1_sel:BYTE_3
	v_sub_u16_sdwa v125, v125, v126 dst_sel:DWORD dst_unused:UNUSED_PAD src0_sel:WORD_1 src1_sel:WORD_1
	v_or_b32_sdwa v127, v127, v131 dst_sel:DWORD dst_unused:UNUSED_PAD src0_sel:BYTE_0 src1_sel:DWORD
	v_or_b32_sdwa v124, v125, v124 dst_sel:WORD_1 dst_unused:UNUSED_PAD src0_sel:BYTE_0 src1_sel:DWORD
	v_add_u32_e32 v126, 0x4208, v130
	v_or_b32_sdwa v131, v127, v124 dst_sel:DWORD dst_unused:UNUSED_PAD src0_sel:WORD_0 src1_sel:DWORD
	ds_read2_b32 v[124:125], v128 offset0:2 offset1:3
	ds_read2_b32 v[126:127], v126 offset1:1
	s_waitcnt lgkmcnt(1)
	v_ashrrev_i32_e32 v124, s21, v124
	s_waitcnt lgkmcnt(0)
	v_ashrrev_i32_e32 v126, s2, v126
	v_lshlrev_b32_e32 v126, 2, v126
	v_and_b32_e32 v132, 0x3030303, v124
	v_bfe_u32 v124, v124, 24, 2
	v_and_b32_e32 v126, 0x4040404, v126
	v_sub_u16_e32 v133, v132, v126
	v_sub_u16_sdwa v134, v132, v126 dst_sel:BYTE_1 dst_unused:UNUSED_PAD src0_sel:BYTE_1 src1_sel:BYTE_1
	v_sub_u16_sdwa v124, v124, v126 dst_sel:BYTE_1 dst_unused:UNUSED_PAD src0_sel:DWORD src1_sel:BYTE_3
	v_sub_u16_sdwa v126, v132, v126 dst_sel:DWORD dst_unused:UNUSED_PAD src0_sel:WORD_1 src1_sel:WORD_1
	v_or_b32_sdwa v133, v133, v134 dst_sel:DWORD dst_unused:UNUSED_PAD src0_sel:BYTE_0 src1_sel:DWORD
	v_or_b32_sdwa v124, v126, v124 dst_sel:WORD_1 dst_unused:UNUSED_PAD src0_sel:BYTE_0 src1_sel:DWORD
	v_ashrrev_i32_e32 v126, s2, v127
	v_or_b32_sdwa v132, v133, v124 dst_sel:DWORD dst_unused:UNUSED_PAD src0_sel:WORD_0 src1_sel:DWORD
	v_ashrrev_i32_e32 v124, s21, v125
	v_lshlrev_b32_e32 v126, 2, v126
	v_and_b32_e32 v125, 0x3030303, v124
	v_bfe_u32 v124, v124, 24, 2
	v_and_b32_e32 v126, 0x4040404, v126
	v_sub_u16_e32 v127, v125, v126
	v_sub_u16_sdwa v133, v125, v126 dst_sel:BYTE_1 dst_unused:UNUSED_PAD src0_sel:BYTE_1 src1_sel:BYTE_1
	v_sub_u16_sdwa v124, v124, v126 dst_sel:BYTE_1 dst_unused:UNUSED_PAD src0_sel:DWORD src1_sel:BYTE_3
	v_sub_u16_sdwa v125, v125, v126 dst_sel:DWORD dst_unused:UNUSED_PAD src0_sel:WORD_1 src1_sel:WORD_1
	v_or_b32_sdwa v127, v127, v133 dst_sel:DWORD dst_unused:UNUSED_PAD src0_sel:BYTE_0 src1_sel:DWORD
	v_or_b32_sdwa v124, v125, v124 dst_sel:WORD_1 dst_unused:UNUSED_PAD src0_sel:BYTE_0 src1_sel:DWORD
	v_add_u32_e32 v126, 0x4210, v130
	v_or_b32_sdwa v133, v127, v124 dst_sel:DWORD dst_unused:UNUSED_PAD src0_sel:WORD_0 src1_sel:DWORD
	ds_read2_b32 v[124:125], v128 offset0:4 offset1:5
	ds_read2_b32 v[126:127], v126 offset1:1
	s_waitcnt lgkmcnt(1)
	v_ashrrev_i32_e32 v124, s21, v124
	s_waitcnt lgkmcnt(0)
	v_ashrrev_i32_e32 v126, s2, v126
	v_lshlrev_b32_e32 v126, 2, v126
	;; [unrolled: 31-line block ×3, first 2 shown]
	v_and_b32_e32 v128, 0x3030303, v124
	v_bfe_u32 v124, v124, 24, 2
	v_and_b32_e32 v126, 0x4040404, v126
	v_sub_u16_e32 v130, v128, v126
	v_sub_u16_sdwa v136, v128, v126 dst_sel:BYTE_1 dst_unused:UNUSED_PAD src0_sel:BYTE_1 src1_sel:BYTE_1
	v_sub_u16_sdwa v124, v124, v126 dst_sel:BYTE_1 dst_unused:UNUSED_PAD src0_sel:DWORD src1_sel:BYTE_3
	v_sub_u16_sdwa v126, v128, v126 dst_sel:DWORD dst_unused:UNUSED_PAD src0_sel:WORD_1 src1_sel:WORD_1
	v_or_b32_sdwa v130, v130, v136 dst_sel:DWORD dst_unused:UNUSED_PAD src0_sel:BYTE_0 src1_sel:DWORD
	v_or_b32_sdwa v124, v126, v124 dst_sel:WORD_1 dst_unused:UNUSED_PAD src0_sel:BYTE_0 src1_sel:DWORD
	v_ashrrev_i32_e32 v127, s2, v127
	v_or_b32_sdwa v126, v130, v124 dst_sel:DWORD dst_unused:UNUSED_PAD src0_sel:WORD_0 src1_sel:DWORD
	v_ashrrev_i32_e32 v124, s21, v125
	v_lshlrev_b32_e32 v127, 2, v127
	v_and_b32_e32 v125, 0x3030303, v124
	v_bfe_u32 v124, v124, 24, 2
	v_and_b32_e32 v127, 0x4040404, v127
	v_sub_u16_e32 v128, v125, v127
	v_sub_u16_sdwa v130, v125, v127 dst_sel:BYTE_1 dst_unused:UNUSED_PAD src0_sel:BYTE_1 src1_sel:BYTE_1
	v_sub_u16_sdwa v124, v124, v127 dst_sel:BYTE_1 dst_unused:UNUSED_PAD src0_sel:DWORD src1_sel:BYTE_3
	v_sub_u16_sdwa v125, v125, v127 dst_sel:DWORD dst_unused:UNUSED_PAD src0_sel:WORD_1 src1_sel:WORD_1
	v_or_b32_sdwa v128, v128, v130 dst_sel:DWORD dst_unused:UNUSED_PAD src0_sel:BYTE_0 src1_sel:DWORD
	v_or_b32_sdwa v124, v125, v124 dst_sel:WORD_1 dst_unused:UNUSED_PAD src0_sel:BYTE_0 src1_sel:DWORD
	v_or_b32_sdwa v125, v128, v124 dst_sel:DWORD dst_unused:UNUSED_PAD src0_sel:WORD_0 src1_sel:DWORD
	v_add3_u32 v124, v95, s20, v123
	v_add_u32_e32 v127, s36, v75
	ds_read_b32 v127, v127
	ds_read_u16 v124, v124 offset:26370
	v_mov_b32_e32 v128, 0
	v_dot4c_i32_i8_e32 v128, v129, v6
	v_dot4c_i32_i8_e32 v128, v131, v7
	;; [unrolled: 1-line block ×4, first 2 shown]
	s_waitcnt lgkmcnt(0)
	v_lshrrev_b16_e32 v129, 8, v124
	v_bfe_i32 v124, v124, 0, 8
	v_add_lshl_u32 v130, v77, s34, 2
	v_mul_lo_u32 v124, v128, v124
	v_mov_b32_e32 v128, 0
	v_dot4c_i32_i8_e32 v128, v134, v2
	v_dot4c_i32_i8_e32 v128, v135, v3
	;; [unrolled: 1-line block ×4, first 2 shown]
	v_bfe_i32 v125, v129, 0, 8
	v_add_u32_e32 v126, 0x4200, v130
	s_nop 0
	v_mad_u64_u32 v[124:125], s[38:39], v128, v125, v[124:125]
	v_cvt_f32_i32_e32 v124, v124
	v_mul_f32_e32 v125, v122, v127
	v_add_u32_e32 v128, s35, v79
	ds_read2_b32 v[126:127], v126 offset1:1
	v_fmac_f32_e32 v92, v125, v124
	ds_read2_b32 v[124:125], v128 offset1:1
	s_waitcnt lgkmcnt(1)
	v_ashrrev_i32_e32 v126, s2, v126
	v_lshlrev_b32_e32 v126, 2, v126
	s_waitcnt lgkmcnt(0)
	v_ashrrev_i32_e32 v124, s21, v124
	v_and_b32_e32 v129, 0x3030303, v124
	v_bfe_u32 v124, v124, 24, 2
	v_and_b32_e32 v126, 0x4040404, v126
	v_sub_u16_e32 v131, v129, v126
	v_sub_u16_sdwa v132, v129, v126 dst_sel:BYTE_1 dst_unused:UNUSED_PAD src0_sel:BYTE_1 src1_sel:BYTE_1
	v_sub_u16_sdwa v124, v124, v126 dst_sel:BYTE_1 dst_unused:UNUSED_PAD src0_sel:DWORD src1_sel:BYTE_3
	v_sub_u16_sdwa v126, v129, v126 dst_sel:DWORD dst_unused:UNUSED_PAD src0_sel:WORD_1 src1_sel:WORD_1
	v_or_b32_sdwa v131, v131, v132 dst_sel:DWORD dst_unused:UNUSED_PAD src0_sel:BYTE_0 src1_sel:DWORD
	v_or_b32_sdwa v124, v126, v124 dst_sel:WORD_1 dst_unused:UNUSED_PAD src0_sel:BYTE_0 src1_sel:DWORD
	v_ashrrev_i32_e32 v126, s2, v127
	v_or_b32_sdwa v129, v131, v124 dst_sel:DWORD dst_unused:UNUSED_PAD src0_sel:WORD_0 src1_sel:DWORD
	v_ashrrev_i32_e32 v124, s21, v125
	v_lshlrev_b32_e32 v126, 2, v126
	v_and_b32_e32 v125, 0x3030303, v124
	v_bfe_u32 v124, v124, 24, 2
	v_and_b32_e32 v126, 0x4040404, v126
	v_sub_u16_e32 v127, v125, v126
	v_sub_u16_sdwa v131, v125, v126 dst_sel:BYTE_1 dst_unused:UNUSED_PAD src0_sel:BYTE_1 src1_sel:BYTE_1
	v_sub_u16_sdwa v124, v124, v126 dst_sel:BYTE_1 dst_unused:UNUSED_PAD src0_sel:DWORD src1_sel:BYTE_3
	v_sub_u16_sdwa v125, v125, v126 dst_sel:DWORD dst_unused:UNUSED_PAD src0_sel:WORD_1 src1_sel:WORD_1
	v_or_b32_sdwa v127, v127, v131 dst_sel:DWORD dst_unused:UNUSED_PAD src0_sel:BYTE_0 src1_sel:DWORD
	v_or_b32_sdwa v124, v125, v124 dst_sel:WORD_1 dst_unused:UNUSED_PAD src0_sel:BYTE_0 src1_sel:DWORD
	v_add_u32_e32 v126, 0x4208, v130
	v_or_b32_sdwa v131, v127, v124 dst_sel:DWORD dst_unused:UNUSED_PAD src0_sel:WORD_0 src1_sel:DWORD
	ds_read2_b32 v[124:125], v128 offset0:2 offset1:3
	ds_read2_b32 v[126:127], v126 offset1:1
	s_waitcnt lgkmcnt(1)
	v_ashrrev_i32_e32 v124, s21, v124
	s_waitcnt lgkmcnt(0)
	v_ashrrev_i32_e32 v126, s2, v126
	v_lshlrev_b32_e32 v126, 2, v126
	v_and_b32_e32 v132, 0x3030303, v124
	v_bfe_u32 v124, v124, 24, 2
	v_and_b32_e32 v126, 0x4040404, v126
	v_sub_u16_e32 v133, v132, v126
	v_sub_u16_sdwa v134, v132, v126 dst_sel:BYTE_1 dst_unused:UNUSED_PAD src0_sel:BYTE_1 src1_sel:BYTE_1
	v_sub_u16_sdwa v124, v124, v126 dst_sel:BYTE_1 dst_unused:UNUSED_PAD src0_sel:DWORD src1_sel:BYTE_3
	v_sub_u16_sdwa v126, v132, v126 dst_sel:DWORD dst_unused:UNUSED_PAD src0_sel:WORD_1 src1_sel:WORD_1
	v_or_b32_sdwa v133, v133, v134 dst_sel:DWORD dst_unused:UNUSED_PAD src0_sel:BYTE_0 src1_sel:DWORD
	v_or_b32_sdwa v124, v126, v124 dst_sel:WORD_1 dst_unused:UNUSED_PAD src0_sel:BYTE_0 src1_sel:DWORD
	v_ashrrev_i32_e32 v126, s2, v127
	v_or_b32_sdwa v132, v133, v124 dst_sel:DWORD dst_unused:UNUSED_PAD src0_sel:WORD_0 src1_sel:DWORD
	v_ashrrev_i32_e32 v124, s21, v125
	v_lshlrev_b32_e32 v126, 2, v126
	v_and_b32_e32 v125, 0x3030303, v124
	v_bfe_u32 v124, v124, 24, 2
	v_and_b32_e32 v126, 0x4040404, v126
	v_sub_u16_e32 v127, v125, v126
	v_sub_u16_sdwa v133, v125, v126 dst_sel:BYTE_1 dst_unused:UNUSED_PAD src0_sel:BYTE_1 src1_sel:BYTE_1
	v_sub_u16_sdwa v124, v124, v126 dst_sel:BYTE_1 dst_unused:UNUSED_PAD src0_sel:DWORD src1_sel:BYTE_3
	v_sub_u16_sdwa v125, v125, v126 dst_sel:DWORD dst_unused:UNUSED_PAD src0_sel:WORD_1 src1_sel:WORD_1
	v_or_b32_sdwa v127, v127, v133 dst_sel:DWORD dst_unused:UNUSED_PAD src0_sel:BYTE_0 src1_sel:DWORD
	v_or_b32_sdwa v124, v125, v124 dst_sel:WORD_1 dst_unused:UNUSED_PAD src0_sel:BYTE_0 src1_sel:DWORD
	v_add_u32_e32 v126, 0x4210, v130
	v_or_b32_sdwa v133, v127, v124 dst_sel:DWORD dst_unused:UNUSED_PAD src0_sel:WORD_0 src1_sel:DWORD
	ds_read2_b32 v[124:125], v128 offset0:4 offset1:5
	ds_read2_b32 v[126:127], v126 offset1:1
	s_waitcnt lgkmcnt(1)
	v_ashrrev_i32_e32 v124, s21, v124
	s_waitcnt lgkmcnt(0)
	v_ashrrev_i32_e32 v126, s2, v126
	v_lshlrev_b32_e32 v126, 2, v126
	;; [unrolled: 31-line block ×3, first 2 shown]
	v_and_b32_e32 v128, 0x3030303, v124
	v_bfe_u32 v124, v124, 24, 2
	v_and_b32_e32 v126, 0x4040404, v126
	v_sub_u16_e32 v130, v128, v126
	v_sub_u16_sdwa v136, v128, v126 dst_sel:BYTE_1 dst_unused:UNUSED_PAD src0_sel:BYTE_1 src1_sel:BYTE_1
	v_sub_u16_sdwa v124, v124, v126 dst_sel:BYTE_1 dst_unused:UNUSED_PAD src0_sel:DWORD src1_sel:BYTE_3
	v_sub_u16_sdwa v126, v128, v126 dst_sel:DWORD dst_unused:UNUSED_PAD src0_sel:WORD_1 src1_sel:WORD_1
	v_or_b32_sdwa v130, v130, v136 dst_sel:DWORD dst_unused:UNUSED_PAD src0_sel:BYTE_0 src1_sel:DWORD
	v_or_b32_sdwa v124, v126, v124 dst_sel:WORD_1 dst_unused:UNUSED_PAD src0_sel:BYTE_0 src1_sel:DWORD
	v_ashrrev_i32_e32 v127, s2, v127
	v_or_b32_sdwa v126, v130, v124 dst_sel:DWORD dst_unused:UNUSED_PAD src0_sel:WORD_0 src1_sel:DWORD
	v_ashrrev_i32_e32 v124, s21, v125
	v_lshlrev_b32_e32 v127, 2, v127
	v_and_b32_e32 v125, 0x3030303, v124
	v_bfe_u32 v124, v124, 24, 2
	v_and_b32_e32 v127, 0x4040404, v127
	v_sub_u16_e32 v128, v125, v127
	v_sub_u16_sdwa v130, v125, v127 dst_sel:BYTE_1 dst_unused:UNUSED_PAD src0_sel:BYTE_1 src1_sel:BYTE_1
	v_sub_u16_sdwa v124, v124, v127 dst_sel:BYTE_1 dst_unused:UNUSED_PAD src0_sel:DWORD src1_sel:BYTE_3
	v_sub_u16_sdwa v125, v125, v127 dst_sel:DWORD dst_unused:UNUSED_PAD src0_sel:WORD_1 src1_sel:WORD_1
	v_or_b32_sdwa v128, v128, v130 dst_sel:DWORD dst_unused:UNUSED_PAD src0_sel:BYTE_0 src1_sel:DWORD
	v_or_b32_sdwa v124, v125, v124 dst_sel:WORD_1 dst_unused:UNUSED_PAD src0_sel:BYTE_0 src1_sel:DWORD
	v_or_b32_sdwa v125, v128, v124 dst_sel:DWORD dst_unused:UNUSED_PAD src0_sel:WORD_0 src1_sel:DWORD
	v_add3_u32 v124, v94, s20, v123
	v_add_u32_e32 v127, s36, v85
	ds_read_b32 v127, v127
	ds_read_u16 v124, v124 offset:27394
	v_mov_b32_e32 v128, 0
	v_dot4c_i32_i8_e32 v128, v129, v6
	v_dot4c_i32_i8_e32 v128, v131, v7
	;; [unrolled: 1-line block ×4, first 2 shown]
	s_waitcnt lgkmcnt(0)
	v_lshrrev_b16_e32 v129, 8, v124
	v_bfe_i32 v124, v124, 0, 8
	v_add_lshl_u32 v130, v86, s34, 2
	v_mul_lo_u32 v124, v128, v124
	v_mov_b32_e32 v128, 0
	v_dot4c_i32_i8_e32 v128, v134, v2
	v_dot4c_i32_i8_e32 v128, v135, v3
	;; [unrolled: 1-line block ×4, first 2 shown]
	v_bfe_i32 v125, v129, 0, 8
	v_add_u32_e32 v126, 0x4200, v130
	v_add3_u32 v123, v93, s20, v123
	v_mad_u64_u32 v[124:125], s[38:39], v128, v125, v[124:125]
	v_cvt_f32_i32_e32 v124, v124
	v_mul_f32_e32 v125, v122, v127
	v_add_u32_e32 v128, s35, v87
	ds_read2_b32 v[126:127], v126 offset1:1
	v_fmac_f32_e32 v81, v125, v124
	ds_read2_b32 v[124:125], v128 offset1:1
	s_mov_b32 s20, s21
	s_waitcnt lgkmcnt(1)
	v_ashrrev_i32_e32 v126, s2, v126
	v_lshlrev_b32_e32 v126, 2, v126
	s_waitcnt lgkmcnt(0)
	v_ashrrev_i32_e32 v124, s21, v124
	v_and_b32_e32 v129, 0x3030303, v124
	v_bfe_u32 v124, v124, 24, 2
	v_and_b32_e32 v126, 0x4040404, v126
	v_sub_u16_e32 v131, v129, v126
	v_sub_u16_sdwa v132, v129, v126 dst_sel:BYTE_1 dst_unused:UNUSED_PAD src0_sel:BYTE_1 src1_sel:BYTE_1
	v_sub_u16_sdwa v124, v124, v126 dst_sel:BYTE_1 dst_unused:UNUSED_PAD src0_sel:DWORD src1_sel:BYTE_3
	v_sub_u16_sdwa v126, v129, v126 dst_sel:DWORD dst_unused:UNUSED_PAD src0_sel:WORD_1 src1_sel:WORD_1
	v_or_b32_sdwa v131, v131, v132 dst_sel:DWORD dst_unused:UNUSED_PAD src0_sel:BYTE_0 src1_sel:DWORD
	v_or_b32_sdwa v124, v126, v124 dst_sel:WORD_1 dst_unused:UNUSED_PAD src0_sel:BYTE_0 src1_sel:DWORD
	v_ashrrev_i32_e32 v126, s2, v127
	v_or_b32_sdwa v129, v131, v124 dst_sel:DWORD dst_unused:UNUSED_PAD src0_sel:WORD_0 src1_sel:DWORD
	v_ashrrev_i32_e32 v124, s21, v125
	v_lshlrev_b32_e32 v126, 2, v126
	v_and_b32_e32 v125, 0x3030303, v124
	v_bfe_u32 v124, v124, 24, 2
	v_and_b32_e32 v126, 0x4040404, v126
	v_sub_u16_e32 v127, v125, v126
	v_sub_u16_sdwa v131, v125, v126 dst_sel:BYTE_1 dst_unused:UNUSED_PAD src0_sel:BYTE_1 src1_sel:BYTE_1
	v_sub_u16_sdwa v124, v124, v126 dst_sel:BYTE_1 dst_unused:UNUSED_PAD src0_sel:DWORD src1_sel:BYTE_3
	v_sub_u16_sdwa v125, v125, v126 dst_sel:DWORD dst_unused:UNUSED_PAD src0_sel:WORD_1 src1_sel:WORD_1
	v_or_b32_sdwa v127, v127, v131 dst_sel:DWORD dst_unused:UNUSED_PAD src0_sel:BYTE_0 src1_sel:DWORD
	v_or_b32_sdwa v124, v125, v124 dst_sel:WORD_1 dst_unused:UNUSED_PAD src0_sel:BYTE_0 src1_sel:DWORD
	v_add_u32_e32 v126, 0x4208, v130
	v_or_b32_sdwa v131, v127, v124 dst_sel:DWORD dst_unused:UNUSED_PAD src0_sel:WORD_0 src1_sel:DWORD
	ds_read2_b32 v[124:125], v128 offset0:2 offset1:3
	ds_read2_b32 v[126:127], v126 offset1:1
	s_waitcnt lgkmcnt(1)
	v_ashrrev_i32_e32 v124, s21, v124
	s_waitcnt lgkmcnt(0)
	v_ashrrev_i32_e32 v126, s2, v126
	v_lshlrev_b32_e32 v126, 2, v126
	v_and_b32_e32 v132, 0x3030303, v124
	v_bfe_u32 v124, v124, 24, 2
	v_and_b32_e32 v126, 0x4040404, v126
	v_sub_u16_e32 v133, v132, v126
	v_sub_u16_sdwa v134, v132, v126 dst_sel:BYTE_1 dst_unused:UNUSED_PAD src0_sel:BYTE_1 src1_sel:BYTE_1
	v_sub_u16_sdwa v124, v124, v126 dst_sel:BYTE_1 dst_unused:UNUSED_PAD src0_sel:DWORD src1_sel:BYTE_3
	v_sub_u16_sdwa v126, v132, v126 dst_sel:DWORD dst_unused:UNUSED_PAD src0_sel:WORD_1 src1_sel:WORD_1
	v_or_b32_sdwa v133, v133, v134 dst_sel:DWORD dst_unused:UNUSED_PAD src0_sel:BYTE_0 src1_sel:DWORD
	v_or_b32_sdwa v124, v126, v124 dst_sel:WORD_1 dst_unused:UNUSED_PAD src0_sel:BYTE_0 src1_sel:DWORD
	v_ashrrev_i32_e32 v126, s2, v127
	v_or_b32_sdwa v132, v133, v124 dst_sel:DWORD dst_unused:UNUSED_PAD src0_sel:WORD_0 src1_sel:DWORD
	v_ashrrev_i32_e32 v124, s21, v125
	v_lshlrev_b32_e32 v126, 2, v126
	v_and_b32_e32 v125, 0x3030303, v124
	v_bfe_u32 v124, v124, 24, 2
	v_and_b32_e32 v126, 0x4040404, v126
	v_sub_u16_e32 v127, v125, v126
	v_sub_u16_sdwa v133, v125, v126 dst_sel:BYTE_1 dst_unused:UNUSED_PAD src0_sel:BYTE_1 src1_sel:BYTE_1
	v_sub_u16_sdwa v124, v124, v126 dst_sel:BYTE_1 dst_unused:UNUSED_PAD src0_sel:DWORD src1_sel:BYTE_3
	v_sub_u16_sdwa v125, v125, v126 dst_sel:DWORD dst_unused:UNUSED_PAD src0_sel:WORD_1 src1_sel:WORD_1
	v_or_b32_sdwa v127, v127, v133 dst_sel:DWORD dst_unused:UNUSED_PAD src0_sel:BYTE_0 src1_sel:DWORD
	v_or_b32_sdwa v124, v125, v124 dst_sel:WORD_1 dst_unused:UNUSED_PAD src0_sel:BYTE_0 src1_sel:DWORD
	v_add_u32_e32 v126, 0x4210, v130
	v_or_b32_sdwa v133, v127, v124 dst_sel:DWORD dst_unused:UNUSED_PAD src0_sel:WORD_0 src1_sel:DWORD
	ds_read2_b32 v[124:125], v128 offset0:4 offset1:5
	ds_read2_b32 v[126:127], v126 offset1:1
	s_waitcnt lgkmcnt(1)
	v_ashrrev_i32_e32 v124, s21, v124
	s_waitcnt lgkmcnt(0)
	v_ashrrev_i32_e32 v126, s2, v126
	v_lshlrev_b32_e32 v126, 2, v126
	;; [unrolled: 31-line block ×3, first 2 shown]
	v_and_b32_e32 v128, 0x3030303, v124
	v_bfe_u32 v124, v124, 24, 2
	v_and_b32_e32 v126, 0x4040404, v126
	v_ashrrev_i32_e32 v127, s2, v127
	v_sub_u16_e32 v130, v128, v126
	v_sub_u16_sdwa v136, v128, v126 dst_sel:BYTE_1 dst_unused:UNUSED_PAD src0_sel:BYTE_1 src1_sel:BYTE_1
	v_sub_u16_sdwa v124, v124, v126 dst_sel:BYTE_1 dst_unused:UNUSED_PAD src0_sel:DWORD src1_sel:BYTE_3
	v_sub_u16_sdwa v126, v128, v126 dst_sel:DWORD dst_unused:UNUSED_PAD src0_sel:WORD_1 src1_sel:WORD_1
	v_ashrrev_i32_e32 v125, s21, v125
	v_lshlrev_b32_e32 v127, 2, v127
	v_or_b32_sdwa v130, v130, v136 dst_sel:DWORD dst_unused:UNUSED_PAD src0_sel:BYTE_0 src1_sel:DWORD
	v_or_b32_sdwa v124, v126, v124 dst_sel:WORD_1 dst_unused:UNUSED_PAD src0_sel:BYTE_0 src1_sel:DWORD
	v_and_b32_e32 v126, 0x3030303, v125
	v_bfe_u32 v125, v125, 24, 2
	v_and_b32_e32 v127, 0x4040404, v127
	v_or_b32_sdwa v124, v130, v124 dst_sel:DWORD dst_unused:UNUSED_PAD src0_sel:WORD_0 src1_sel:DWORD
	v_sub_u16_e32 v128, v126, v127
	v_sub_u16_sdwa v130, v126, v127 dst_sel:BYTE_1 dst_unused:UNUSED_PAD src0_sel:BYTE_1 src1_sel:BYTE_1
	v_sub_u16_sdwa v125, v125, v127 dst_sel:BYTE_1 dst_unused:UNUSED_PAD src0_sel:DWORD src1_sel:BYTE_3
	v_sub_u16_sdwa v126, v126, v127 dst_sel:DWORD dst_unused:UNUSED_PAD src0_sel:WORD_1 src1_sel:WORD_1
	v_or_b32_sdwa v125, v126, v125 dst_sel:WORD_1 dst_unused:UNUSED_PAD src0_sel:BYTE_0 src1_sel:DWORD
	v_add_u32_e32 v126, s36, v88
	v_mov_b32_e32 v127, 0
	ds_read_b32 v126, v126
	v_dot4c_i32_i8_e32 v127, v129, v6
	ds_read_u16 v6, v123 offset:28418
	v_dot4c_i32_i8_e32 v127, v131, v7
	v_dot4c_i32_i8_e32 v127, v132, v8
	v_mov_b32_e32 v8, 0
	v_dot4c_i32_i8_e32 v8, v134, v2
	v_or_b32_sdwa v128, v128, v130 dst_sel:DWORD dst_unused:UNUSED_PAD src0_sel:BYTE_0 src1_sel:DWORD
	v_dot4c_i32_i8_e32 v8, v135, v3
	v_or_b32_sdwa v125, v128, v125 dst_sel:DWORD dst_unused:UNUSED_PAD src0_sel:WORD_0 src1_sel:DWORD
	v_dot4c_i32_i8_e32 v127, v133, v9
	s_waitcnt lgkmcnt(0)
	v_lshrrev_b16_e32 v7, 8, v6
	v_bfe_i32 v6, v6, 0, 8
	v_dot4c_i32_i8_e32 v8, v124, v4
	v_mul_lo_u32 v6, v127, v6
	v_dot4c_i32_i8_e32 v8, v125, v5
	v_bfe_i32 v2, v7, 0, 8
	s_add_i32 s2, s2, 1
	s_cmp_lt_u32 s21, 6
	v_mad_u64_u32 v[2:3], s[34:35], v8, v2, v[6:7]
	v_cvt_f32_i32_e32 v2, v2
	v_mul_f32_e32 v3, v122, v126
	v_fmac_f32_e32 v11, v3, v2
	s_cbranch_scc1 .LBB229_12
; %bb.13:                               ;   in Loop: Header=BB229_5 Depth=1
	s_or_b32 s2, s33, 0x80
	s_cmp_ge_i32 s2, s15
	s_barrier
	s_cbranch_scc1 .LBB229_4
; %bb.14:                               ;   in Loop: Header=BB229_5 Depth=1
	v_add_u32_e32 v2, s31, v89
	v_cmp_gt_i32_e64 s[2:3], s9, v2
	s_and_b64 s[20:21], s[0:1], s[2:3]
	s_and_saveexec_b64 s[2:3], s[20:21]
	s_cbranch_execz .LBB229_16
; %bb.15:                               ;   in Loop: Header=BB229_5 Depth=1
	v_add_u32_e32 v2, v84, v2
	v_mad_i64_i32 v[2:3], s[20:21], v2, 36, v[82:83]
	global_load_dword v2, v[2:3], off offset:4
	s_waitcnt vmcnt(0)
	ds_write_b32 v59, v2
.LBB229_16:                             ;   in Loop: Header=BB229_5 Depth=1
	s_or_b64 exec, exec, s[2:3]
	s_and_saveexec_b64 s[20:21], vcc
	s_cbranch_execz .LBB229_19
; %bb.17:                               ;   in Loop: Header=BB229_5 Depth=1
	v_or_b32_e32 v2, s31, v17
	v_or_b32_e32 v3, 4, v2
	v_cmp_gt_i32_e64 s[2:3], s9, v3
	s_and_b64 s[2:3], s[0:1], s[2:3]
	s_and_b64 exec, exec, s[2:3]
	s_cbranch_execz .LBB229_19
; %bb.18:                               ;   in Loop: Header=BB229_5 Depth=1
	v_ashrrev_i32_e32 v3, 31, v2
	v_add_co_u32_e64 v2, s[2:3], v84, v2
	v_addc_co_u32_e64 v4, s[2:3], v1, v3, s[2:3]
	v_mad_u64_u32 v[2:3], s[2:3], v2, 36, s[4:5]
	v_mad_i32_i24 v3, v4, 36, v3
	global_load_dword v2, v[2:3], off
	s_waitcnt vmcnt(0)
	v_cvt_f32_f16_e32 v2, v2
	ds_write_b32 v61, v2
.LBB229_19:                             ;   in Loop: Header=BB229_5 Depth=1
	s_or_b64 exec, exec, s[20:21]
	s_mov_b32 s2, 8
	s_mov_b32 s3, 0
	;; [unrolled: 1-line block ×3, first 2 shown]
	v_mov_b32_e32 v120, v97
	v_mov_b32_e32 v121, v98
	s_waitcnt lgkmcnt(0)
	s_barrier
.LBB229_20:                             ;   Parent Loop BB229_5 Depth=1
                                        ; =>  This Inner Loop Header: Depth=2
	s_add_i32 s21, s3, 8
	s_lshr_b32 s37, s21, 4
	s_and_b32 s36, s21, 0x3ffffff8
	s_lshl_b32 s35, s37, 3
	s_lshl_b32 s36, s36, 2
	v_add_lshl_u32 v129, v65, s35, 2
	v_add_u32_e32 v123, s36, v67
	v_add_u32_e32 v126, 0x4200, v129
	ds_read_b32 v122, v121
	ds_read_b128 v[6:9], v120
	ds_read_b128 v[2:5], v120 offset:16
	ds_read2_b32 v[124:125], v123 offset1:1
	ds_read2_b32 v[126:127], v126 offset1:1
	s_and_b32 s34, s2, -16
	s_lshl_b32 s37, s37, 2
	s_add_i32 s2, s2, 2
	s_waitcnt lgkmcnt(1)
	v_ashrrev_i32_e32 v124, s3, v124
	s_waitcnt lgkmcnt(0)
	v_ashrrev_i32_e32 v126, s20, v126
	v_lshlrev_b32_e32 v126, 2, v126
	v_and_b32_e32 v128, 0x3030303, v124
	v_bfe_u32 v124, v124, 24, 2
	v_and_b32_e32 v126, 0x4040404, v126
	v_sub_u16_e32 v130, v128, v126
	v_sub_u16_sdwa v131, v128, v126 dst_sel:BYTE_1 dst_unused:UNUSED_PAD src0_sel:BYTE_1 src1_sel:BYTE_1
	v_sub_u16_sdwa v124, v124, v126 dst_sel:BYTE_1 dst_unused:UNUSED_PAD src0_sel:DWORD src1_sel:BYTE_3
	v_sub_u16_sdwa v126, v128, v126 dst_sel:DWORD dst_unused:UNUSED_PAD src0_sel:WORD_1 src1_sel:WORD_1
	v_or_b32_sdwa v130, v130, v131 dst_sel:DWORD dst_unused:UNUSED_PAD src0_sel:BYTE_0 src1_sel:DWORD
	v_or_b32_sdwa v124, v126, v124 dst_sel:WORD_1 dst_unused:UNUSED_PAD src0_sel:BYTE_0 src1_sel:DWORD
	v_ashrrev_i32_e32 v126, s20, v127
	v_or_b32_sdwa v128, v130, v124 dst_sel:DWORD dst_unused:UNUSED_PAD src0_sel:WORD_0 src1_sel:DWORD
	v_ashrrev_i32_e32 v124, s3, v125
	v_lshlrev_b32_e32 v126, 2, v126
	v_and_b32_e32 v125, 0x3030303, v124
	v_bfe_u32 v124, v124, 24, 2
	v_and_b32_e32 v126, 0x4040404, v126
	v_sub_u16_e32 v127, v125, v126
	v_sub_u16_sdwa v130, v125, v126 dst_sel:BYTE_1 dst_unused:UNUSED_PAD src0_sel:BYTE_1 src1_sel:BYTE_1
	v_sub_u16_sdwa v124, v124, v126 dst_sel:BYTE_1 dst_unused:UNUSED_PAD src0_sel:DWORD src1_sel:BYTE_3
	v_sub_u16_sdwa v125, v125, v126 dst_sel:DWORD dst_unused:UNUSED_PAD src0_sel:WORD_1 src1_sel:WORD_1
	v_or_b32_sdwa v127, v127, v130 dst_sel:DWORD dst_unused:UNUSED_PAD src0_sel:BYTE_0 src1_sel:DWORD
	v_or_b32_sdwa v124, v125, v124 dst_sel:WORD_1 dst_unused:UNUSED_PAD src0_sel:BYTE_0 src1_sel:DWORD
	v_add_u32_e32 v126, 0x4208, v129
	v_or_b32_sdwa v130, v127, v124 dst_sel:DWORD dst_unused:UNUSED_PAD src0_sel:WORD_0 src1_sel:DWORD
	ds_read2_b32 v[124:125], v123 offset0:2 offset1:3
	ds_read2_b32 v[126:127], v126 offset1:1
	v_add_u32_e32 v121, 4, v121
	v_add_u32_e32 v120, 32, v120
	s_waitcnt lgkmcnt(1)
	v_ashrrev_i32_e32 v124, s3, v124
	s_waitcnt lgkmcnt(0)
	v_ashrrev_i32_e32 v126, s20, v126
	v_lshlrev_b32_e32 v126, 2, v126
	v_and_b32_e32 v131, 0x3030303, v124
	v_bfe_u32 v124, v124, 24, 2
	v_and_b32_e32 v126, 0x4040404, v126
	v_sub_u16_e32 v132, v131, v126
	v_sub_u16_sdwa v133, v131, v126 dst_sel:BYTE_1 dst_unused:UNUSED_PAD src0_sel:BYTE_1 src1_sel:BYTE_1
	v_sub_u16_sdwa v124, v124, v126 dst_sel:BYTE_1 dst_unused:UNUSED_PAD src0_sel:DWORD src1_sel:BYTE_3
	v_sub_u16_sdwa v126, v131, v126 dst_sel:DWORD dst_unused:UNUSED_PAD src0_sel:WORD_1 src1_sel:WORD_1
	v_or_b32_sdwa v132, v132, v133 dst_sel:DWORD dst_unused:UNUSED_PAD src0_sel:BYTE_0 src1_sel:DWORD
	v_or_b32_sdwa v124, v126, v124 dst_sel:WORD_1 dst_unused:UNUSED_PAD src0_sel:BYTE_0 src1_sel:DWORD
	v_ashrrev_i32_e32 v126, s20, v127
	v_or_b32_sdwa v131, v132, v124 dst_sel:DWORD dst_unused:UNUSED_PAD src0_sel:WORD_0 src1_sel:DWORD
	v_ashrrev_i32_e32 v124, s3, v125
	v_lshlrev_b32_e32 v126, 2, v126
	v_and_b32_e32 v125, 0x3030303, v124
	v_bfe_u32 v124, v124, 24, 2
	v_and_b32_e32 v126, 0x4040404, v126
	v_sub_u16_e32 v127, v125, v126
	v_sub_u16_sdwa v132, v125, v126 dst_sel:BYTE_1 dst_unused:UNUSED_PAD src0_sel:BYTE_1 src1_sel:BYTE_1
	v_sub_u16_sdwa v124, v124, v126 dst_sel:BYTE_1 dst_unused:UNUSED_PAD src0_sel:DWORD src1_sel:BYTE_3
	v_sub_u16_sdwa v125, v125, v126 dst_sel:DWORD dst_unused:UNUSED_PAD src0_sel:WORD_1 src1_sel:WORD_1
	v_or_b32_sdwa v127, v127, v132 dst_sel:DWORD dst_unused:UNUSED_PAD src0_sel:BYTE_0 src1_sel:DWORD
	v_or_b32_sdwa v124, v125, v124 dst_sel:WORD_1 dst_unused:UNUSED_PAD src0_sel:BYTE_0 src1_sel:DWORD
	v_add_u32_e32 v126, 0x4210, v129
	v_or_b32_sdwa v132, v127, v124 dst_sel:DWORD dst_unused:UNUSED_PAD src0_sel:WORD_0 src1_sel:DWORD
	ds_read2_b32 v[124:125], v123 offset0:4 offset1:5
	ds_read2_b32 v[126:127], v126 offset1:1
	s_waitcnt lgkmcnt(1)
	v_ashrrev_i32_e32 v124, s3, v124
	s_waitcnt lgkmcnt(0)
	v_ashrrev_i32_e32 v126, s20, v126
	v_lshlrev_b32_e32 v126, 2, v126
	v_and_b32_e32 v133, 0x3030303, v124
	v_bfe_u32 v124, v124, 24, 2
	v_and_b32_e32 v126, 0x4040404, v126
	v_sub_u16_e32 v134, v133, v126
	v_sub_u16_sdwa v135, v133, v126 dst_sel:BYTE_1 dst_unused:UNUSED_PAD src0_sel:BYTE_1 src1_sel:BYTE_1
	v_sub_u16_sdwa v124, v124, v126 dst_sel:BYTE_1 dst_unused:UNUSED_PAD src0_sel:DWORD src1_sel:BYTE_3
	v_sub_u16_sdwa v126, v133, v126 dst_sel:DWORD dst_unused:UNUSED_PAD src0_sel:WORD_1 src1_sel:WORD_1
	v_or_b32_sdwa v134, v134, v135 dst_sel:DWORD dst_unused:UNUSED_PAD src0_sel:BYTE_0 src1_sel:DWORD
	v_or_b32_sdwa v124, v126, v124 dst_sel:WORD_1 dst_unused:UNUSED_PAD src0_sel:BYTE_0 src1_sel:DWORD
	v_ashrrev_i32_e32 v126, s20, v127
	v_or_b32_sdwa v133, v134, v124 dst_sel:DWORD dst_unused:UNUSED_PAD src0_sel:WORD_0 src1_sel:DWORD
	v_ashrrev_i32_e32 v124, s3, v125
	v_lshlrev_b32_e32 v126, 2, v126
	v_and_b32_e32 v125, 0x3030303, v124
	v_bfe_u32 v124, v124, 24, 2
	v_and_b32_e32 v126, 0x4040404, v126
	v_sub_u16_e32 v127, v125, v126
	v_sub_u16_sdwa v134, v125, v126 dst_sel:BYTE_1 dst_unused:UNUSED_PAD src0_sel:BYTE_1 src1_sel:BYTE_1
	v_sub_u16_sdwa v124, v124, v126 dst_sel:BYTE_1 dst_unused:UNUSED_PAD src0_sel:DWORD src1_sel:BYTE_3
	v_sub_u16_sdwa v125, v125, v126 dst_sel:DWORD dst_unused:UNUSED_PAD src0_sel:WORD_1 src1_sel:WORD_1
	v_or_b32_sdwa v127, v127, v134 dst_sel:DWORD dst_unused:UNUSED_PAD src0_sel:BYTE_0 src1_sel:DWORD
	v_or_b32_sdwa v124, v125, v124 dst_sel:WORD_1 dst_unused:UNUSED_PAD src0_sel:BYTE_0 src1_sel:DWORD
	v_add_u32_e32 v126, 0x4218, v129
	v_or_b32_sdwa v134, v127, v124 dst_sel:DWORD dst_unused:UNUSED_PAD src0_sel:WORD_0 src1_sel:DWORD
	ds_read2_b32 v[124:125], v123 offset0:6 offset1:7
	ds_read2_b32 v[126:127], v126 offset1:1
	s_waitcnt lgkmcnt(1)
	v_ashrrev_i32_e32 v123, s3, v124
	s_waitcnt lgkmcnt(0)
	v_ashrrev_i32_e32 v126, s20, v126
	v_lshlrev_b32_e32 v126, 2, v126
	v_and_b32_e32 v124, 0x3030303, v123
	v_bfe_u32 v123, v123, 24, 2
	v_and_b32_e32 v126, 0x4040404, v126
	v_sub_u16_e32 v129, v124, v126
	v_sub_u16_sdwa v135, v124, v126 dst_sel:BYTE_1 dst_unused:UNUSED_PAD src0_sel:BYTE_1 src1_sel:BYTE_1
	v_sub_u16_sdwa v123, v123, v126 dst_sel:BYTE_1 dst_unused:UNUSED_PAD src0_sel:DWORD src1_sel:BYTE_3
	v_sub_u16_sdwa v124, v124, v126 dst_sel:DWORD dst_unused:UNUSED_PAD src0_sel:WORD_1 src1_sel:WORD_1
	v_or_b32_sdwa v129, v129, v135 dst_sel:DWORD dst_unused:UNUSED_PAD src0_sel:BYTE_0 src1_sel:DWORD
	v_or_b32_sdwa v123, v124, v123 dst_sel:WORD_1 dst_unused:UNUSED_PAD src0_sel:BYTE_0 src1_sel:DWORD
	v_or_b32_sdwa v126, v129, v123 dst_sel:DWORD dst_unused:UNUSED_PAD src0_sel:WORD_0 src1_sel:DWORD
	v_ashrrev_i32_e32 v123, s3, v125
	v_ashrrev_i32_e32 v125, s20, v127
	v_lshlrev_b32_e32 v125, 2, v125
	v_and_b32_e32 v124, 0x3030303, v123
	v_bfe_u32 v123, v123, 24, 2
	v_and_b32_e32 v125, 0x4040404, v125
	v_sub_u16_e32 v127, v124, v125
	v_sub_u16_sdwa v129, v124, v125 dst_sel:BYTE_1 dst_unused:UNUSED_PAD src0_sel:BYTE_1 src1_sel:BYTE_1
	v_sub_u16_sdwa v123, v123, v125 dst_sel:BYTE_1 dst_unused:UNUSED_PAD src0_sel:DWORD src1_sel:BYTE_3
	v_sub_u16_sdwa v124, v124, v125 dst_sel:DWORD dst_unused:UNUSED_PAD src0_sel:WORD_1 src1_sel:WORD_1
	v_or_b32_sdwa v127, v127, v129 dst_sel:DWORD dst_unused:UNUSED_PAD src0_sel:BYTE_0 src1_sel:DWORD
	v_or_b32_sdwa v123, v124, v123 dst_sel:WORD_1 dst_unused:UNUSED_PAD src0_sel:BYTE_0 src1_sel:DWORD
	v_or_b32_sdwa v125, v127, v123 dst_sel:DWORD dst_unused:UNUSED_PAD src0_sel:WORD_0 src1_sel:DWORD
	v_add_u32_e32 v123, s3, v63
	v_add3_u32 v124, v102, s34, v123
	v_add_u32_e32 v127, s37, v69
	ds_read_b32 v127, v127
	ds_read_u16 v124, v124
	v_mov_b32_e32 v129, 0
	v_dot4c_i32_i8_e32 v129, v128, v6
	v_dot4c_i32_i8_e32 v129, v130, v7
	;; [unrolled: 1-line block ×4, first 2 shown]
	s_waitcnt lgkmcnt(0)
	v_lshrrev_b16_e32 v128, 8, v124
	v_bfe_i32 v124, v124, 0, 8
	v_add_lshl_u32 v130, v71, s35, 2
	v_mul_lo_u32 v124, v129, v124
	v_mov_b32_e32 v129, 0
	v_dot4c_i32_i8_e32 v129, v133, v2
	v_dot4c_i32_i8_e32 v129, v134, v3
	;; [unrolled: 1-line block ×4, first 2 shown]
	v_bfe_i32 v125, v128, 0, 8
	v_add_u32_e32 v128, s36, v73
	v_add_u32_e32 v126, 0x4200, v130
	v_mad_u64_u32 v[124:125], s[38:39], v129, v125, v[124:125]
	v_cvt_f32_i32_e32 v124, v124
	v_mul_f32_e32 v125, v122, v127
	ds_read2_b32 v[126:127], v126 offset1:1
	v_fmac_f32_e32 v15, v125, v124
	ds_read2_b32 v[124:125], v128 offset1:1
	s_waitcnt lgkmcnt(1)
	v_ashrrev_i32_e32 v126, s20, v126
	v_lshlrev_b32_e32 v126, 2, v126
	v_and_b32_e32 v126, 0x4040404, v126
	s_waitcnt lgkmcnt(0)
	v_ashrrev_i32_e32 v124, s3, v124
	v_and_b32_e32 v129, 0x3030303, v124
	v_bfe_u32 v124, v124, 24, 2
	v_sub_u16_e32 v131, v129, v126
	v_sub_u16_sdwa v132, v129, v126 dst_sel:BYTE_1 dst_unused:UNUSED_PAD src0_sel:BYTE_1 src1_sel:BYTE_1
	v_sub_u16_sdwa v124, v124, v126 dst_sel:BYTE_1 dst_unused:UNUSED_PAD src0_sel:DWORD src1_sel:BYTE_3
	v_sub_u16_sdwa v126, v129, v126 dst_sel:DWORD dst_unused:UNUSED_PAD src0_sel:WORD_1 src1_sel:WORD_1
	v_or_b32_sdwa v131, v131, v132 dst_sel:DWORD dst_unused:UNUSED_PAD src0_sel:BYTE_0 src1_sel:DWORD
	v_or_b32_sdwa v124, v126, v124 dst_sel:WORD_1 dst_unused:UNUSED_PAD src0_sel:BYTE_0 src1_sel:DWORD
	v_ashrrev_i32_e32 v126, s20, v127
	v_or_b32_sdwa v129, v131, v124 dst_sel:DWORD dst_unused:UNUSED_PAD src0_sel:WORD_0 src1_sel:DWORD
	v_ashrrev_i32_e32 v124, s3, v125
	v_lshlrev_b32_e32 v126, 2, v126
	v_and_b32_e32 v125, 0x3030303, v124
	v_bfe_u32 v124, v124, 24, 2
	v_and_b32_e32 v126, 0x4040404, v126
	v_sub_u16_e32 v127, v125, v126
	v_sub_u16_sdwa v131, v125, v126 dst_sel:BYTE_1 dst_unused:UNUSED_PAD src0_sel:BYTE_1 src1_sel:BYTE_1
	v_sub_u16_sdwa v124, v124, v126 dst_sel:BYTE_1 dst_unused:UNUSED_PAD src0_sel:DWORD src1_sel:BYTE_3
	v_sub_u16_sdwa v125, v125, v126 dst_sel:DWORD dst_unused:UNUSED_PAD src0_sel:WORD_1 src1_sel:WORD_1
	v_or_b32_sdwa v127, v127, v131 dst_sel:DWORD dst_unused:UNUSED_PAD src0_sel:BYTE_0 src1_sel:DWORD
	v_or_b32_sdwa v124, v125, v124 dst_sel:WORD_1 dst_unused:UNUSED_PAD src0_sel:BYTE_0 src1_sel:DWORD
	v_add_u32_e32 v126, 0x4208, v130
	v_or_b32_sdwa v131, v127, v124 dst_sel:DWORD dst_unused:UNUSED_PAD src0_sel:WORD_0 src1_sel:DWORD
	ds_read2_b32 v[124:125], v128 offset0:2 offset1:3
	ds_read2_b32 v[126:127], v126 offset1:1
	s_waitcnt lgkmcnt(1)
	v_ashrrev_i32_e32 v124, s3, v124
	s_waitcnt lgkmcnt(0)
	v_ashrrev_i32_e32 v126, s20, v126
	v_lshlrev_b32_e32 v126, 2, v126
	v_and_b32_e32 v132, 0x3030303, v124
	v_bfe_u32 v124, v124, 24, 2
	v_and_b32_e32 v126, 0x4040404, v126
	v_sub_u16_e32 v133, v132, v126
	v_sub_u16_sdwa v134, v132, v126 dst_sel:BYTE_1 dst_unused:UNUSED_PAD src0_sel:BYTE_1 src1_sel:BYTE_1
	v_sub_u16_sdwa v124, v124, v126 dst_sel:BYTE_1 dst_unused:UNUSED_PAD src0_sel:DWORD src1_sel:BYTE_3
	v_sub_u16_sdwa v126, v132, v126 dst_sel:DWORD dst_unused:UNUSED_PAD src0_sel:WORD_1 src1_sel:WORD_1
	v_or_b32_sdwa v133, v133, v134 dst_sel:DWORD dst_unused:UNUSED_PAD src0_sel:BYTE_0 src1_sel:DWORD
	v_or_b32_sdwa v124, v126, v124 dst_sel:WORD_1 dst_unused:UNUSED_PAD src0_sel:BYTE_0 src1_sel:DWORD
	v_ashrrev_i32_e32 v126, s20, v127
	v_or_b32_sdwa v132, v133, v124 dst_sel:DWORD dst_unused:UNUSED_PAD src0_sel:WORD_0 src1_sel:DWORD
	v_ashrrev_i32_e32 v124, s3, v125
	v_lshlrev_b32_e32 v126, 2, v126
	v_and_b32_e32 v125, 0x3030303, v124
	v_bfe_u32 v124, v124, 24, 2
	v_and_b32_e32 v126, 0x4040404, v126
	v_sub_u16_e32 v127, v125, v126
	v_sub_u16_sdwa v133, v125, v126 dst_sel:BYTE_1 dst_unused:UNUSED_PAD src0_sel:BYTE_1 src1_sel:BYTE_1
	v_sub_u16_sdwa v124, v124, v126 dst_sel:BYTE_1 dst_unused:UNUSED_PAD src0_sel:DWORD src1_sel:BYTE_3
	v_sub_u16_sdwa v125, v125, v126 dst_sel:DWORD dst_unused:UNUSED_PAD src0_sel:WORD_1 src1_sel:WORD_1
	v_or_b32_sdwa v127, v127, v133 dst_sel:DWORD dst_unused:UNUSED_PAD src0_sel:BYTE_0 src1_sel:DWORD
	v_or_b32_sdwa v124, v125, v124 dst_sel:WORD_1 dst_unused:UNUSED_PAD src0_sel:BYTE_0 src1_sel:DWORD
	v_add_u32_e32 v126, 0x4210, v130
	v_or_b32_sdwa v133, v127, v124 dst_sel:DWORD dst_unused:UNUSED_PAD src0_sel:WORD_0 src1_sel:DWORD
	ds_read2_b32 v[124:125], v128 offset0:4 offset1:5
	ds_read2_b32 v[126:127], v126 offset1:1
	s_waitcnt lgkmcnt(1)
	v_ashrrev_i32_e32 v124, s3, v124
	s_waitcnt lgkmcnt(0)
	v_ashrrev_i32_e32 v126, s20, v126
	v_lshlrev_b32_e32 v126, 2, v126
	v_and_b32_e32 v134, 0x3030303, v124
	v_bfe_u32 v124, v124, 24, 2
	v_and_b32_e32 v126, 0x4040404, v126
	;; [unrolled: 31-line block ×3, first 2 shown]
	v_sub_u16_e32 v130, v128, v126
	v_sub_u16_sdwa v136, v128, v126 dst_sel:BYTE_1 dst_unused:UNUSED_PAD src0_sel:BYTE_1 src1_sel:BYTE_1
	v_sub_u16_sdwa v124, v124, v126 dst_sel:BYTE_1 dst_unused:UNUSED_PAD src0_sel:DWORD src1_sel:BYTE_3
	v_sub_u16_sdwa v126, v128, v126 dst_sel:DWORD dst_unused:UNUSED_PAD src0_sel:WORD_1 src1_sel:WORD_1
	v_or_b32_sdwa v130, v130, v136 dst_sel:DWORD dst_unused:UNUSED_PAD src0_sel:BYTE_0 src1_sel:DWORD
	v_or_b32_sdwa v124, v126, v124 dst_sel:WORD_1 dst_unused:UNUSED_PAD src0_sel:BYTE_0 src1_sel:DWORD
	v_ashrrev_i32_e32 v127, s20, v127
	v_or_b32_sdwa v126, v130, v124 dst_sel:DWORD dst_unused:UNUSED_PAD src0_sel:WORD_0 src1_sel:DWORD
	v_ashrrev_i32_e32 v124, s3, v125
	v_lshlrev_b32_e32 v127, 2, v127
	v_and_b32_e32 v125, 0x3030303, v124
	v_bfe_u32 v124, v124, 24, 2
	v_and_b32_e32 v127, 0x4040404, v127
	v_sub_u16_e32 v128, v125, v127
	v_sub_u16_sdwa v130, v125, v127 dst_sel:BYTE_1 dst_unused:UNUSED_PAD src0_sel:BYTE_1 src1_sel:BYTE_1
	v_sub_u16_sdwa v124, v124, v127 dst_sel:BYTE_1 dst_unused:UNUSED_PAD src0_sel:DWORD src1_sel:BYTE_3
	v_sub_u16_sdwa v125, v125, v127 dst_sel:DWORD dst_unused:UNUSED_PAD src0_sel:WORD_1 src1_sel:WORD_1
	v_or_b32_sdwa v128, v128, v130 dst_sel:DWORD dst_unused:UNUSED_PAD src0_sel:BYTE_0 src1_sel:DWORD
	v_or_b32_sdwa v124, v125, v124 dst_sel:WORD_1 dst_unused:UNUSED_PAD src0_sel:BYTE_0 src1_sel:DWORD
	v_or_b32_sdwa v125, v128, v124 dst_sel:DWORD dst_unused:UNUSED_PAD src0_sel:WORD_0 src1_sel:DWORD
	v_add3_u32 v124, v101, s34, v123
	v_add_u32_e32 v127, s37, v75
	ds_read_b32 v127, v127
	ds_read_u16 v124, v124
	v_mov_b32_e32 v128, 0
	v_dot4c_i32_i8_e32 v128, v129, v6
	v_dot4c_i32_i8_e32 v128, v131, v7
	;; [unrolled: 1-line block ×4, first 2 shown]
	s_waitcnt lgkmcnt(0)
	v_lshrrev_b16_e32 v129, 8, v124
	v_bfe_i32 v124, v124, 0, 8
	v_add_lshl_u32 v130, v77, s35, 2
	v_mul_lo_u32 v124, v128, v124
	v_mov_b32_e32 v128, 0
	v_dot4c_i32_i8_e32 v128, v134, v2
	v_dot4c_i32_i8_e32 v128, v135, v3
	;; [unrolled: 1-line block ×4, first 2 shown]
	v_bfe_i32 v125, v129, 0, 8
	v_add_u32_e32 v126, 0x4200, v130
	s_nop 0
	v_mad_u64_u32 v[124:125], s[38:39], v128, v125, v[124:125]
	v_cvt_f32_i32_e32 v124, v124
	v_mul_f32_e32 v125, v122, v127
	v_add_u32_e32 v128, s36, v79
	ds_read2_b32 v[126:127], v126 offset1:1
	v_fmac_f32_e32 v92, v125, v124
	ds_read2_b32 v[124:125], v128 offset1:1
	s_waitcnt lgkmcnt(1)
	v_ashrrev_i32_e32 v126, s20, v126
	v_lshlrev_b32_e32 v126, 2, v126
	s_waitcnt lgkmcnt(0)
	v_ashrrev_i32_e32 v124, s3, v124
	v_and_b32_e32 v129, 0x3030303, v124
	v_bfe_u32 v124, v124, 24, 2
	v_and_b32_e32 v126, 0x4040404, v126
	v_sub_u16_e32 v131, v129, v126
	v_sub_u16_sdwa v132, v129, v126 dst_sel:BYTE_1 dst_unused:UNUSED_PAD src0_sel:BYTE_1 src1_sel:BYTE_1
	v_sub_u16_sdwa v124, v124, v126 dst_sel:BYTE_1 dst_unused:UNUSED_PAD src0_sel:DWORD src1_sel:BYTE_3
	v_sub_u16_sdwa v126, v129, v126 dst_sel:DWORD dst_unused:UNUSED_PAD src0_sel:WORD_1 src1_sel:WORD_1
	v_or_b32_sdwa v131, v131, v132 dst_sel:DWORD dst_unused:UNUSED_PAD src0_sel:BYTE_0 src1_sel:DWORD
	v_or_b32_sdwa v124, v126, v124 dst_sel:WORD_1 dst_unused:UNUSED_PAD src0_sel:BYTE_0 src1_sel:DWORD
	v_ashrrev_i32_e32 v126, s20, v127
	v_or_b32_sdwa v129, v131, v124 dst_sel:DWORD dst_unused:UNUSED_PAD src0_sel:WORD_0 src1_sel:DWORD
	v_ashrrev_i32_e32 v124, s3, v125
	v_lshlrev_b32_e32 v126, 2, v126
	v_and_b32_e32 v125, 0x3030303, v124
	v_bfe_u32 v124, v124, 24, 2
	v_and_b32_e32 v126, 0x4040404, v126
	v_sub_u16_e32 v127, v125, v126
	v_sub_u16_sdwa v131, v125, v126 dst_sel:BYTE_1 dst_unused:UNUSED_PAD src0_sel:BYTE_1 src1_sel:BYTE_1
	v_sub_u16_sdwa v124, v124, v126 dst_sel:BYTE_1 dst_unused:UNUSED_PAD src0_sel:DWORD src1_sel:BYTE_3
	v_sub_u16_sdwa v125, v125, v126 dst_sel:DWORD dst_unused:UNUSED_PAD src0_sel:WORD_1 src1_sel:WORD_1
	v_or_b32_sdwa v127, v127, v131 dst_sel:DWORD dst_unused:UNUSED_PAD src0_sel:BYTE_0 src1_sel:DWORD
	v_or_b32_sdwa v124, v125, v124 dst_sel:WORD_1 dst_unused:UNUSED_PAD src0_sel:BYTE_0 src1_sel:DWORD
	v_add_u32_e32 v126, 0x4208, v130
	v_or_b32_sdwa v131, v127, v124 dst_sel:DWORD dst_unused:UNUSED_PAD src0_sel:WORD_0 src1_sel:DWORD
	ds_read2_b32 v[124:125], v128 offset0:2 offset1:3
	ds_read2_b32 v[126:127], v126 offset1:1
	s_waitcnt lgkmcnt(1)
	v_ashrrev_i32_e32 v124, s3, v124
	s_waitcnt lgkmcnt(0)
	v_ashrrev_i32_e32 v126, s20, v126
	v_lshlrev_b32_e32 v126, 2, v126
	v_and_b32_e32 v132, 0x3030303, v124
	v_bfe_u32 v124, v124, 24, 2
	v_and_b32_e32 v126, 0x4040404, v126
	v_sub_u16_e32 v133, v132, v126
	v_sub_u16_sdwa v134, v132, v126 dst_sel:BYTE_1 dst_unused:UNUSED_PAD src0_sel:BYTE_1 src1_sel:BYTE_1
	v_sub_u16_sdwa v124, v124, v126 dst_sel:BYTE_1 dst_unused:UNUSED_PAD src0_sel:DWORD src1_sel:BYTE_3
	v_sub_u16_sdwa v126, v132, v126 dst_sel:DWORD dst_unused:UNUSED_PAD src0_sel:WORD_1 src1_sel:WORD_1
	v_or_b32_sdwa v133, v133, v134 dst_sel:DWORD dst_unused:UNUSED_PAD src0_sel:BYTE_0 src1_sel:DWORD
	v_or_b32_sdwa v124, v126, v124 dst_sel:WORD_1 dst_unused:UNUSED_PAD src0_sel:BYTE_0 src1_sel:DWORD
	v_ashrrev_i32_e32 v126, s20, v127
	v_or_b32_sdwa v132, v133, v124 dst_sel:DWORD dst_unused:UNUSED_PAD src0_sel:WORD_0 src1_sel:DWORD
	v_ashrrev_i32_e32 v124, s3, v125
	v_lshlrev_b32_e32 v126, 2, v126
	v_and_b32_e32 v125, 0x3030303, v124
	v_bfe_u32 v124, v124, 24, 2
	v_and_b32_e32 v126, 0x4040404, v126
	v_sub_u16_e32 v127, v125, v126
	v_sub_u16_sdwa v133, v125, v126 dst_sel:BYTE_1 dst_unused:UNUSED_PAD src0_sel:BYTE_1 src1_sel:BYTE_1
	v_sub_u16_sdwa v124, v124, v126 dst_sel:BYTE_1 dst_unused:UNUSED_PAD src0_sel:DWORD src1_sel:BYTE_3
	v_sub_u16_sdwa v125, v125, v126 dst_sel:DWORD dst_unused:UNUSED_PAD src0_sel:WORD_1 src1_sel:WORD_1
	v_or_b32_sdwa v127, v127, v133 dst_sel:DWORD dst_unused:UNUSED_PAD src0_sel:BYTE_0 src1_sel:DWORD
	v_or_b32_sdwa v124, v125, v124 dst_sel:WORD_1 dst_unused:UNUSED_PAD src0_sel:BYTE_0 src1_sel:DWORD
	v_add_u32_e32 v126, 0x4210, v130
	v_or_b32_sdwa v133, v127, v124 dst_sel:DWORD dst_unused:UNUSED_PAD src0_sel:WORD_0 src1_sel:DWORD
	ds_read2_b32 v[124:125], v128 offset0:4 offset1:5
	ds_read2_b32 v[126:127], v126 offset1:1
	s_waitcnt lgkmcnt(1)
	v_ashrrev_i32_e32 v124, s3, v124
	s_waitcnt lgkmcnt(0)
	v_ashrrev_i32_e32 v126, s20, v126
	v_lshlrev_b32_e32 v126, 2, v126
	;; [unrolled: 31-line block ×3, first 2 shown]
	v_and_b32_e32 v128, 0x3030303, v124
	v_bfe_u32 v124, v124, 24, 2
	v_and_b32_e32 v126, 0x4040404, v126
	v_sub_u16_e32 v130, v128, v126
	v_sub_u16_sdwa v136, v128, v126 dst_sel:BYTE_1 dst_unused:UNUSED_PAD src0_sel:BYTE_1 src1_sel:BYTE_1
	v_sub_u16_sdwa v124, v124, v126 dst_sel:BYTE_1 dst_unused:UNUSED_PAD src0_sel:DWORD src1_sel:BYTE_3
	v_sub_u16_sdwa v126, v128, v126 dst_sel:DWORD dst_unused:UNUSED_PAD src0_sel:WORD_1 src1_sel:WORD_1
	v_or_b32_sdwa v130, v130, v136 dst_sel:DWORD dst_unused:UNUSED_PAD src0_sel:BYTE_0 src1_sel:DWORD
	v_or_b32_sdwa v124, v126, v124 dst_sel:WORD_1 dst_unused:UNUSED_PAD src0_sel:BYTE_0 src1_sel:DWORD
	v_ashrrev_i32_e32 v127, s20, v127
	v_or_b32_sdwa v126, v130, v124 dst_sel:DWORD dst_unused:UNUSED_PAD src0_sel:WORD_0 src1_sel:DWORD
	v_ashrrev_i32_e32 v124, s3, v125
	v_lshlrev_b32_e32 v127, 2, v127
	v_and_b32_e32 v125, 0x3030303, v124
	v_bfe_u32 v124, v124, 24, 2
	v_and_b32_e32 v127, 0x4040404, v127
	v_sub_u16_e32 v128, v125, v127
	v_sub_u16_sdwa v130, v125, v127 dst_sel:BYTE_1 dst_unused:UNUSED_PAD src0_sel:BYTE_1 src1_sel:BYTE_1
	v_sub_u16_sdwa v124, v124, v127 dst_sel:BYTE_1 dst_unused:UNUSED_PAD src0_sel:DWORD src1_sel:BYTE_3
	v_sub_u16_sdwa v125, v125, v127 dst_sel:DWORD dst_unused:UNUSED_PAD src0_sel:WORD_1 src1_sel:WORD_1
	v_or_b32_sdwa v128, v128, v130 dst_sel:DWORD dst_unused:UNUSED_PAD src0_sel:BYTE_0 src1_sel:DWORD
	v_or_b32_sdwa v124, v125, v124 dst_sel:WORD_1 dst_unused:UNUSED_PAD src0_sel:BYTE_0 src1_sel:DWORD
	v_or_b32_sdwa v125, v128, v124 dst_sel:DWORD dst_unused:UNUSED_PAD src0_sel:WORD_0 src1_sel:DWORD
	v_add3_u32 v124, v100, s34, v123
	v_add_u32_e32 v127, s37, v85
	ds_read_b32 v127, v127
	ds_read_u16 v124, v124
	v_mov_b32_e32 v128, 0
	v_dot4c_i32_i8_e32 v128, v129, v6
	v_dot4c_i32_i8_e32 v128, v131, v7
	;; [unrolled: 1-line block ×4, first 2 shown]
	s_waitcnt lgkmcnt(0)
	v_lshrrev_b16_e32 v129, 8, v124
	v_bfe_i32 v124, v124, 0, 8
	v_add_lshl_u32 v130, v86, s35, 2
	v_mul_lo_u32 v124, v128, v124
	v_mov_b32_e32 v128, 0
	v_dot4c_i32_i8_e32 v128, v134, v2
	v_dot4c_i32_i8_e32 v128, v135, v3
	;; [unrolled: 1-line block ×4, first 2 shown]
	v_bfe_i32 v125, v129, 0, 8
	v_add_u32_e32 v126, 0x4200, v130
	v_add3_u32 v123, v99, s34, v123
	v_mad_u64_u32 v[124:125], s[38:39], v128, v125, v[124:125]
	v_cvt_f32_i32_e32 v124, v124
	v_mul_f32_e32 v125, v122, v127
	v_add_u32_e32 v128, s36, v87
	ds_read2_b32 v[126:127], v126 offset1:1
	v_fmac_f32_e32 v81, v125, v124
	ds_read2_b32 v[124:125], v128 offset1:1
	s_waitcnt lgkmcnt(1)
	v_ashrrev_i32_e32 v126, s20, v126
	v_lshlrev_b32_e32 v126, 2, v126
	s_waitcnt lgkmcnt(0)
	v_ashrrev_i32_e32 v124, s3, v124
	v_and_b32_e32 v129, 0x3030303, v124
	v_bfe_u32 v124, v124, 24, 2
	v_and_b32_e32 v126, 0x4040404, v126
	v_sub_u16_e32 v131, v129, v126
	v_sub_u16_sdwa v132, v129, v126 dst_sel:BYTE_1 dst_unused:UNUSED_PAD src0_sel:BYTE_1 src1_sel:BYTE_1
	v_sub_u16_sdwa v124, v124, v126 dst_sel:BYTE_1 dst_unused:UNUSED_PAD src0_sel:DWORD src1_sel:BYTE_3
	v_sub_u16_sdwa v126, v129, v126 dst_sel:DWORD dst_unused:UNUSED_PAD src0_sel:WORD_1 src1_sel:WORD_1
	v_or_b32_sdwa v131, v131, v132 dst_sel:DWORD dst_unused:UNUSED_PAD src0_sel:BYTE_0 src1_sel:DWORD
	v_or_b32_sdwa v124, v126, v124 dst_sel:WORD_1 dst_unused:UNUSED_PAD src0_sel:BYTE_0 src1_sel:DWORD
	v_ashrrev_i32_e32 v126, s20, v127
	v_or_b32_sdwa v129, v131, v124 dst_sel:DWORD dst_unused:UNUSED_PAD src0_sel:WORD_0 src1_sel:DWORD
	v_ashrrev_i32_e32 v124, s3, v125
	v_lshlrev_b32_e32 v126, 2, v126
	v_and_b32_e32 v125, 0x3030303, v124
	v_bfe_u32 v124, v124, 24, 2
	v_and_b32_e32 v126, 0x4040404, v126
	v_sub_u16_e32 v127, v125, v126
	v_sub_u16_sdwa v131, v125, v126 dst_sel:BYTE_1 dst_unused:UNUSED_PAD src0_sel:BYTE_1 src1_sel:BYTE_1
	v_sub_u16_sdwa v124, v124, v126 dst_sel:BYTE_1 dst_unused:UNUSED_PAD src0_sel:DWORD src1_sel:BYTE_3
	v_sub_u16_sdwa v125, v125, v126 dst_sel:DWORD dst_unused:UNUSED_PAD src0_sel:WORD_1 src1_sel:WORD_1
	v_or_b32_sdwa v127, v127, v131 dst_sel:DWORD dst_unused:UNUSED_PAD src0_sel:BYTE_0 src1_sel:DWORD
	v_or_b32_sdwa v124, v125, v124 dst_sel:WORD_1 dst_unused:UNUSED_PAD src0_sel:BYTE_0 src1_sel:DWORD
	v_add_u32_e32 v126, 0x4208, v130
	v_or_b32_sdwa v131, v127, v124 dst_sel:DWORD dst_unused:UNUSED_PAD src0_sel:WORD_0 src1_sel:DWORD
	ds_read2_b32 v[124:125], v128 offset0:2 offset1:3
	ds_read2_b32 v[126:127], v126 offset1:1
	s_waitcnt lgkmcnt(1)
	v_ashrrev_i32_e32 v124, s3, v124
	s_waitcnt lgkmcnt(0)
	v_ashrrev_i32_e32 v126, s20, v126
	v_lshlrev_b32_e32 v126, 2, v126
	v_and_b32_e32 v132, 0x3030303, v124
	v_bfe_u32 v124, v124, 24, 2
	v_and_b32_e32 v126, 0x4040404, v126
	v_sub_u16_e32 v133, v132, v126
	v_sub_u16_sdwa v134, v132, v126 dst_sel:BYTE_1 dst_unused:UNUSED_PAD src0_sel:BYTE_1 src1_sel:BYTE_1
	v_sub_u16_sdwa v124, v124, v126 dst_sel:BYTE_1 dst_unused:UNUSED_PAD src0_sel:DWORD src1_sel:BYTE_3
	v_sub_u16_sdwa v126, v132, v126 dst_sel:DWORD dst_unused:UNUSED_PAD src0_sel:WORD_1 src1_sel:WORD_1
	v_or_b32_sdwa v133, v133, v134 dst_sel:DWORD dst_unused:UNUSED_PAD src0_sel:BYTE_0 src1_sel:DWORD
	v_or_b32_sdwa v124, v126, v124 dst_sel:WORD_1 dst_unused:UNUSED_PAD src0_sel:BYTE_0 src1_sel:DWORD
	v_ashrrev_i32_e32 v126, s20, v127
	v_or_b32_sdwa v132, v133, v124 dst_sel:DWORD dst_unused:UNUSED_PAD src0_sel:WORD_0 src1_sel:DWORD
	v_ashrrev_i32_e32 v124, s3, v125
	v_lshlrev_b32_e32 v126, 2, v126
	v_and_b32_e32 v125, 0x3030303, v124
	v_bfe_u32 v124, v124, 24, 2
	v_and_b32_e32 v126, 0x4040404, v126
	v_sub_u16_e32 v127, v125, v126
	v_sub_u16_sdwa v133, v125, v126 dst_sel:BYTE_1 dst_unused:UNUSED_PAD src0_sel:BYTE_1 src1_sel:BYTE_1
	v_sub_u16_sdwa v124, v124, v126 dst_sel:BYTE_1 dst_unused:UNUSED_PAD src0_sel:DWORD src1_sel:BYTE_3
	v_sub_u16_sdwa v125, v125, v126 dst_sel:DWORD dst_unused:UNUSED_PAD src0_sel:WORD_1 src1_sel:WORD_1
	v_or_b32_sdwa v127, v127, v133 dst_sel:DWORD dst_unused:UNUSED_PAD src0_sel:BYTE_0 src1_sel:DWORD
	v_or_b32_sdwa v124, v125, v124 dst_sel:WORD_1 dst_unused:UNUSED_PAD src0_sel:BYTE_0 src1_sel:DWORD
	v_add_u32_e32 v126, 0x4210, v130
	v_or_b32_sdwa v133, v127, v124 dst_sel:DWORD dst_unused:UNUSED_PAD src0_sel:WORD_0 src1_sel:DWORD
	ds_read2_b32 v[124:125], v128 offset0:4 offset1:5
	ds_read2_b32 v[126:127], v126 offset1:1
	s_waitcnt lgkmcnt(1)
	v_ashrrev_i32_e32 v124, s3, v124
	s_waitcnt lgkmcnt(0)
	v_ashrrev_i32_e32 v126, s20, v126
	v_lshlrev_b32_e32 v126, 2, v126
	;; [unrolled: 31-line block ×3, first 2 shown]
	v_and_b32_e32 v128, 0x3030303, v124
	v_bfe_u32 v124, v124, 24, 2
	v_and_b32_e32 v126, 0x4040404, v126
	v_ashrrev_i32_e32 v127, s20, v127
	v_sub_u16_e32 v130, v128, v126
	v_sub_u16_sdwa v136, v128, v126 dst_sel:BYTE_1 dst_unused:UNUSED_PAD src0_sel:BYTE_1 src1_sel:BYTE_1
	v_sub_u16_sdwa v124, v124, v126 dst_sel:BYTE_1 dst_unused:UNUSED_PAD src0_sel:DWORD src1_sel:BYTE_3
	v_sub_u16_sdwa v126, v128, v126 dst_sel:DWORD dst_unused:UNUSED_PAD src0_sel:WORD_1 src1_sel:WORD_1
	v_ashrrev_i32_e32 v125, s3, v125
	v_lshlrev_b32_e32 v127, 2, v127
	v_or_b32_sdwa v130, v130, v136 dst_sel:DWORD dst_unused:UNUSED_PAD src0_sel:BYTE_0 src1_sel:DWORD
	v_or_b32_sdwa v124, v126, v124 dst_sel:WORD_1 dst_unused:UNUSED_PAD src0_sel:BYTE_0 src1_sel:DWORD
	v_and_b32_e32 v126, 0x3030303, v125
	v_bfe_u32 v125, v125, 24, 2
	v_and_b32_e32 v127, 0x4040404, v127
	v_or_b32_sdwa v124, v130, v124 dst_sel:DWORD dst_unused:UNUSED_PAD src0_sel:WORD_0 src1_sel:DWORD
	v_sub_u16_e32 v128, v126, v127
	v_sub_u16_sdwa v130, v126, v127 dst_sel:BYTE_1 dst_unused:UNUSED_PAD src0_sel:BYTE_1 src1_sel:BYTE_1
	v_sub_u16_sdwa v125, v125, v127 dst_sel:BYTE_1 dst_unused:UNUSED_PAD src0_sel:DWORD src1_sel:BYTE_3
	v_sub_u16_sdwa v126, v126, v127 dst_sel:DWORD dst_unused:UNUSED_PAD src0_sel:WORD_1 src1_sel:WORD_1
	v_or_b32_sdwa v125, v126, v125 dst_sel:WORD_1 dst_unused:UNUSED_PAD src0_sel:BYTE_0 src1_sel:DWORD
	v_add_u32_e32 v126, s37, v88
	v_mov_b32_e32 v127, 0
	ds_read_b32 v126, v126
	v_dot4c_i32_i8_e32 v127, v129, v6
	ds_read_u16 v6, v123
	v_dot4c_i32_i8_e32 v127, v131, v7
	v_dot4c_i32_i8_e32 v127, v132, v8
	v_mov_b32_e32 v8, 0
	v_dot4c_i32_i8_e32 v8, v134, v2
	v_or_b32_sdwa v128, v128, v130 dst_sel:DWORD dst_unused:UNUSED_PAD src0_sel:BYTE_0 src1_sel:DWORD
	v_dot4c_i32_i8_e32 v8, v135, v3
	v_or_b32_sdwa v125, v128, v125 dst_sel:DWORD dst_unused:UNUSED_PAD src0_sel:WORD_0 src1_sel:DWORD
	v_dot4c_i32_i8_e32 v127, v133, v9
	s_waitcnt lgkmcnt(0)
	v_lshrrev_b16_e32 v7, 8, v6
	v_bfe_i32 v6, v6, 0, 8
	v_dot4c_i32_i8_e32 v8, v124, v4
	v_mul_lo_u32 v6, v127, v6
	v_dot4c_i32_i8_e32 v8, v125, v5
	v_bfe_i32 v2, v7, 0, 8
	s_add_i32 s3, s3, 2
	s_add_i32 s20, s20, 1
	v_mad_u64_u32 v[2:3], s[34:35], v8, v2, v[6:7]
	v_cvt_f32_i32_e32 v2, v2
	v_mul_f32_e32 v3, v122, v126
	s_cmp_lt_u32 s21, 14
	v_fmac_f32_e32 v11, v3, v2
	s_cbranch_scc1 .LBB229_20
; %bb.21:                               ;   in Loop: Header=BB229_5 Depth=1
	s_or_b32 s2, s33, 0x100
	s_cmp_ge_i32 s2, s15
	s_barrier
	s_cbranch_scc1 .LBB229_4
; %bb.22:                               ;   in Loop: Header=BB229_5 Depth=1
	v_add_u32_e32 v2, s31, v90
	v_cmp_gt_i32_e64 s[2:3], s9, v2
	s_and_b64 s[20:21], s[0:1], s[2:3]
	s_and_saveexec_b64 s[2:3], s[20:21]
	s_cbranch_execz .LBB229_24
; %bb.23:                               ;   in Loop: Header=BB229_5 Depth=1
	v_add_u32_e32 v2, v84, v2
	v_mad_i64_i32 v[2:3], s[20:21], v2, 36, v[82:83]
	global_load_dword v2, v[2:3], off offset:4
	s_waitcnt vmcnt(0)
	ds_write_b32 v59, v2
.LBB229_24:                             ;   in Loop: Header=BB229_5 Depth=1
	s_or_b64 exec, exec, s[2:3]
	s_and_saveexec_b64 s[20:21], vcc
	s_cbranch_execz .LBB229_27
; %bb.25:                               ;   in Loop: Header=BB229_5 Depth=1
	v_or_b32_e32 v2, s31, v17
	v_or_b32_e32 v3, 8, v2
	v_cmp_gt_i32_e64 s[2:3], s9, v3
	s_and_b64 s[2:3], s[0:1], s[2:3]
	s_and_b64 exec, exec, s[2:3]
	s_cbranch_execz .LBB229_27
; %bb.26:                               ;   in Loop: Header=BB229_5 Depth=1
	v_ashrrev_i32_e32 v3, 31, v2
	v_add_co_u32_e64 v2, s[2:3], v84, v2
	v_addc_co_u32_e64 v4, s[2:3], v1, v3, s[2:3]
	v_mad_u64_u32 v[2:3], s[2:3], v2, 36, s[16:17]
	v_mad_i32_i24 v3, v4, 36, v3
	global_load_dword v2, v[2:3], off
	s_waitcnt vmcnt(0)
	v_cvt_f32_f16_e32 v2, v2
	ds_write_b32 v61, v2
.LBB229_27:                             ;   in Loop: Header=BB229_5 Depth=1
	s_or_b64 exec, exec, s[20:21]
	s_mov_b32 s2, 16
	s_mov_b32 s35, 14
	s_mov_b32 s3, 0
	v_mov_b32_e32 v120, v97
	v_mov_b32_e32 v121, v98
	s_waitcnt lgkmcnt(0)
	s_barrier
.LBB229_28:                             ;   Parent Loop BB229_5 Depth=1
                                        ; =>  This Inner Loop Header: Depth=2
	s_add_i32 s20, s35, 2
	s_lshr_b32 s38, s20, 4
	s_and_b32 s36, s20, 0x3ffffff8
	s_lshl_b32 s34, s38, 3
	s_lshl_b32 s36, s36, 2
	v_add_lshl_u32 v129, v65, s34, 2
	v_add_u32_e32 v123, s36, v67
	v_add_u32_e32 v126, 0x4200, v129
	ds_read_b32 v122, v121
	ds_read_b128 v[6:9], v120
	ds_read_b128 v[2:5], v120 offset:16
	ds_read2_b32 v[124:125], v123 offset1:1
	ds_read2_b32 v[126:127], v126 offset1:1
	s_add_i32 s21, s35, -14
	s_and_b32 s37, s2, -16
	s_add_i32 s35, s35, s37
	s_waitcnt lgkmcnt(1)
	v_ashrrev_i32_e32 v124, s21, v124
	s_waitcnt lgkmcnt(0)
	v_ashrrev_i32_e32 v126, s3, v126
	v_lshlrev_b32_e32 v126, 2, v126
	v_and_b32_e32 v128, 0x3030303, v124
	v_bfe_u32 v124, v124, 24, 2
	v_and_b32_e32 v126, 0x4040404, v126
	v_sub_u16_e32 v130, v128, v126
	v_sub_u16_sdwa v131, v128, v126 dst_sel:BYTE_1 dst_unused:UNUSED_PAD src0_sel:BYTE_1 src1_sel:BYTE_1
	v_sub_u16_sdwa v124, v124, v126 dst_sel:BYTE_1 dst_unused:UNUSED_PAD src0_sel:DWORD src1_sel:BYTE_3
	v_sub_u16_sdwa v126, v128, v126 dst_sel:DWORD dst_unused:UNUSED_PAD src0_sel:WORD_1 src1_sel:WORD_1
	v_or_b32_sdwa v130, v130, v131 dst_sel:DWORD dst_unused:UNUSED_PAD src0_sel:BYTE_0 src1_sel:DWORD
	v_or_b32_sdwa v124, v126, v124 dst_sel:WORD_1 dst_unused:UNUSED_PAD src0_sel:BYTE_0 src1_sel:DWORD
	v_ashrrev_i32_e32 v126, s3, v127
	v_or_b32_sdwa v128, v130, v124 dst_sel:DWORD dst_unused:UNUSED_PAD src0_sel:WORD_0 src1_sel:DWORD
	v_ashrrev_i32_e32 v124, s21, v125
	v_lshlrev_b32_e32 v126, 2, v126
	v_and_b32_e32 v125, 0x3030303, v124
	v_bfe_u32 v124, v124, 24, 2
	v_and_b32_e32 v126, 0x4040404, v126
	v_sub_u16_e32 v127, v125, v126
	v_sub_u16_sdwa v130, v125, v126 dst_sel:BYTE_1 dst_unused:UNUSED_PAD src0_sel:BYTE_1 src1_sel:BYTE_1
	v_sub_u16_sdwa v124, v124, v126 dst_sel:BYTE_1 dst_unused:UNUSED_PAD src0_sel:DWORD src1_sel:BYTE_3
	v_sub_u16_sdwa v125, v125, v126 dst_sel:DWORD dst_unused:UNUSED_PAD src0_sel:WORD_1 src1_sel:WORD_1
	v_or_b32_sdwa v127, v127, v130 dst_sel:DWORD dst_unused:UNUSED_PAD src0_sel:BYTE_0 src1_sel:DWORD
	v_or_b32_sdwa v124, v125, v124 dst_sel:WORD_1 dst_unused:UNUSED_PAD src0_sel:BYTE_0 src1_sel:DWORD
	v_add_u32_e32 v126, 0x4208, v129
	v_or_b32_sdwa v130, v127, v124 dst_sel:DWORD dst_unused:UNUSED_PAD src0_sel:WORD_0 src1_sel:DWORD
	ds_read2_b32 v[124:125], v123 offset0:2 offset1:3
	ds_read2_b32 v[126:127], v126 offset1:1
	s_lshl_b32 s37, s38, 2
	s_add_i32 s2, s2, 2
	v_add_u32_e32 v121, 4, v121
	s_waitcnt lgkmcnt(1)
	v_ashrrev_i32_e32 v124, s21, v124
	s_waitcnt lgkmcnt(0)
	v_ashrrev_i32_e32 v126, s3, v126
	v_lshlrev_b32_e32 v126, 2, v126
	v_and_b32_e32 v131, 0x3030303, v124
	v_bfe_u32 v124, v124, 24, 2
	v_and_b32_e32 v126, 0x4040404, v126
	v_sub_u16_e32 v132, v131, v126
	v_sub_u16_sdwa v133, v131, v126 dst_sel:BYTE_1 dst_unused:UNUSED_PAD src0_sel:BYTE_1 src1_sel:BYTE_1
	v_sub_u16_sdwa v124, v124, v126 dst_sel:BYTE_1 dst_unused:UNUSED_PAD src0_sel:DWORD src1_sel:BYTE_3
	v_sub_u16_sdwa v126, v131, v126 dst_sel:DWORD dst_unused:UNUSED_PAD src0_sel:WORD_1 src1_sel:WORD_1
	v_or_b32_sdwa v132, v132, v133 dst_sel:DWORD dst_unused:UNUSED_PAD src0_sel:BYTE_0 src1_sel:DWORD
	v_or_b32_sdwa v124, v126, v124 dst_sel:WORD_1 dst_unused:UNUSED_PAD src0_sel:BYTE_0 src1_sel:DWORD
	v_ashrrev_i32_e32 v126, s3, v127
	v_or_b32_sdwa v131, v132, v124 dst_sel:DWORD dst_unused:UNUSED_PAD src0_sel:WORD_0 src1_sel:DWORD
	v_ashrrev_i32_e32 v124, s21, v125
	v_lshlrev_b32_e32 v126, 2, v126
	v_and_b32_e32 v125, 0x3030303, v124
	v_bfe_u32 v124, v124, 24, 2
	v_and_b32_e32 v126, 0x4040404, v126
	v_sub_u16_e32 v127, v125, v126
	v_sub_u16_sdwa v132, v125, v126 dst_sel:BYTE_1 dst_unused:UNUSED_PAD src0_sel:BYTE_1 src1_sel:BYTE_1
	v_sub_u16_sdwa v124, v124, v126 dst_sel:BYTE_1 dst_unused:UNUSED_PAD src0_sel:DWORD src1_sel:BYTE_3
	v_sub_u16_sdwa v125, v125, v126 dst_sel:DWORD dst_unused:UNUSED_PAD src0_sel:WORD_1 src1_sel:WORD_1
	v_or_b32_sdwa v127, v127, v132 dst_sel:DWORD dst_unused:UNUSED_PAD src0_sel:BYTE_0 src1_sel:DWORD
	v_or_b32_sdwa v124, v125, v124 dst_sel:WORD_1 dst_unused:UNUSED_PAD src0_sel:BYTE_0 src1_sel:DWORD
	v_add_u32_e32 v126, 0x4210, v129
	v_or_b32_sdwa v132, v127, v124 dst_sel:DWORD dst_unused:UNUSED_PAD src0_sel:WORD_0 src1_sel:DWORD
	ds_read2_b32 v[124:125], v123 offset0:4 offset1:5
	ds_read2_b32 v[126:127], v126 offset1:1
	v_add_u32_e32 v120, 32, v120
	s_waitcnt lgkmcnt(1)
	v_ashrrev_i32_e32 v124, s21, v124
	s_waitcnt lgkmcnt(0)
	v_ashrrev_i32_e32 v126, s3, v126
	v_lshlrev_b32_e32 v126, 2, v126
	v_and_b32_e32 v133, 0x3030303, v124
	v_bfe_u32 v124, v124, 24, 2
	v_and_b32_e32 v126, 0x4040404, v126
	v_sub_u16_e32 v134, v133, v126
	v_sub_u16_sdwa v135, v133, v126 dst_sel:BYTE_1 dst_unused:UNUSED_PAD src0_sel:BYTE_1 src1_sel:BYTE_1
	v_sub_u16_sdwa v124, v124, v126 dst_sel:BYTE_1 dst_unused:UNUSED_PAD src0_sel:DWORD src1_sel:BYTE_3
	v_sub_u16_sdwa v126, v133, v126 dst_sel:DWORD dst_unused:UNUSED_PAD src0_sel:WORD_1 src1_sel:WORD_1
	v_or_b32_sdwa v134, v134, v135 dst_sel:DWORD dst_unused:UNUSED_PAD src0_sel:BYTE_0 src1_sel:DWORD
	v_or_b32_sdwa v124, v126, v124 dst_sel:WORD_1 dst_unused:UNUSED_PAD src0_sel:BYTE_0 src1_sel:DWORD
	v_ashrrev_i32_e32 v126, s3, v127
	v_or_b32_sdwa v133, v134, v124 dst_sel:DWORD dst_unused:UNUSED_PAD src0_sel:WORD_0 src1_sel:DWORD
	v_ashrrev_i32_e32 v124, s21, v125
	v_lshlrev_b32_e32 v126, 2, v126
	v_and_b32_e32 v125, 0x3030303, v124
	v_bfe_u32 v124, v124, 24, 2
	v_and_b32_e32 v126, 0x4040404, v126
	v_sub_u16_e32 v127, v125, v126
	v_sub_u16_sdwa v134, v125, v126 dst_sel:BYTE_1 dst_unused:UNUSED_PAD src0_sel:BYTE_1 src1_sel:BYTE_1
	v_sub_u16_sdwa v124, v124, v126 dst_sel:BYTE_1 dst_unused:UNUSED_PAD src0_sel:DWORD src1_sel:BYTE_3
	v_sub_u16_sdwa v125, v125, v126 dst_sel:DWORD dst_unused:UNUSED_PAD src0_sel:WORD_1 src1_sel:WORD_1
	v_or_b32_sdwa v127, v127, v134 dst_sel:DWORD dst_unused:UNUSED_PAD src0_sel:BYTE_0 src1_sel:DWORD
	v_or_b32_sdwa v124, v125, v124 dst_sel:WORD_1 dst_unused:UNUSED_PAD src0_sel:BYTE_0 src1_sel:DWORD
	v_add_u32_e32 v126, 0x4218, v129
	v_or_b32_sdwa v134, v127, v124 dst_sel:DWORD dst_unused:UNUSED_PAD src0_sel:WORD_0 src1_sel:DWORD
	ds_read2_b32 v[124:125], v123 offset0:6 offset1:7
	ds_read2_b32 v[126:127], v126 offset1:1
	s_waitcnt lgkmcnt(1)
	v_ashrrev_i32_e32 v123, s21, v124
	s_waitcnt lgkmcnt(0)
	v_ashrrev_i32_e32 v126, s3, v126
	v_lshlrev_b32_e32 v126, 2, v126
	v_and_b32_e32 v124, 0x3030303, v123
	v_bfe_u32 v123, v123, 24, 2
	v_and_b32_e32 v126, 0x4040404, v126
	v_sub_u16_e32 v129, v124, v126
	v_sub_u16_sdwa v135, v124, v126 dst_sel:BYTE_1 dst_unused:UNUSED_PAD src0_sel:BYTE_1 src1_sel:BYTE_1
	v_sub_u16_sdwa v123, v123, v126 dst_sel:BYTE_1 dst_unused:UNUSED_PAD src0_sel:DWORD src1_sel:BYTE_3
	v_sub_u16_sdwa v124, v124, v126 dst_sel:DWORD dst_unused:UNUSED_PAD src0_sel:WORD_1 src1_sel:WORD_1
	v_ashrrev_i32_e32 v126, s3, v127
	v_or_b32_sdwa v123, v124, v123 dst_sel:WORD_1 dst_unused:UNUSED_PAD src0_sel:BYTE_0 src1_sel:DWORD
	v_ashrrev_i32_e32 v124, s21, v125
	v_lshlrev_b32_e32 v126, 2, v126
	v_or_b32_sdwa v129, v129, v135 dst_sel:DWORD dst_unused:UNUSED_PAD src0_sel:BYTE_0 src1_sel:DWORD
	v_and_b32_e32 v125, 0x3030303, v124
	v_bfe_u32 v124, v124, 24, 2
	v_and_b32_e32 v126, 0x4040404, v126
	v_or_b32_sdwa v123, v129, v123 dst_sel:DWORD dst_unused:UNUSED_PAD src0_sel:WORD_0 src1_sel:DWORD
	v_sub_u16_e32 v127, v125, v126
	v_sub_u16_sdwa v129, v125, v126 dst_sel:BYTE_1 dst_unused:UNUSED_PAD src0_sel:BYTE_1 src1_sel:BYTE_1
	v_sub_u16_sdwa v124, v124, v126 dst_sel:BYTE_1 dst_unused:UNUSED_PAD src0_sel:DWORD src1_sel:BYTE_3
	v_sub_u16_sdwa v125, v125, v126 dst_sel:DWORD dst_unused:UNUSED_PAD src0_sel:WORD_1 src1_sel:WORD_1
	v_or_b32_sdwa v127, v127, v129 dst_sel:DWORD dst_unused:UNUSED_PAD src0_sel:BYTE_0 src1_sel:DWORD
	v_or_b32_sdwa v124, v125, v124 dst_sel:WORD_1 dst_unused:UNUSED_PAD src0_sel:BYTE_0 src1_sel:DWORD
	v_or_b32_sdwa v125, v127, v124 dst_sel:DWORD dst_unused:UNUSED_PAD src0_sel:WORD_0 src1_sel:DWORD
	v_add_u32_e32 v124, s35, v106
	v_add_u32_e32 v126, s37, v69
	ds_read_b32 v126, v126
	ds_read_u16 v124, v124 offset:25330
	v_mov_b32_e32 v127, 0
	v_dot4c_i32_i8_e32 v127, v128, v6
	v_dot4c_i32_i8_e32 v127, v130, v7
	v_dot4c_i32_i8_e32 v127, v131, v8
	v_dot4c_i32_i8_e32 v127, v132, v9
	s_waitcnt lgkmcnt(0)
	v_lshrrev_b16_e32 v128, 8, v124
	v_bfe_i32 v124, v124, 0, 8
	v_add_lshl_u32 v129, v71, s34, 2
	v_mul_lo_u32 v124, v127, v124
	v_mov_b32_e32 v127, 0
	v_dot4c_i32_i8_e32 v127, v133, v2
	v_dot4c_i32_i8_e32 v127, v134, v3
	;; [unrolled: 1-line block ×4, first 2 shown]
	v_bfe_i32 v123, v128, 0, 8
                                        ; kill: def $vgpr125 killed $sgpr0 killed $exec
	s_nop 1
	v_mad_u64_u32 v[124:125], s[38:39], v127, v123, v[124:125]
	v_cvt_f32_i32_e32 v124, v124
	v_mul_f32_e32 v123, v122, v126
	v_add_u32_e32 v126, 0x4200, v129
	ds_read2_b32 v[126:127], v126 offset1:1
	v_fmac_f32_e32 v15, v123, v124
	v_add_u32_e32 v123, s36, v73
	ds_read2_b32 v[124:125], v123 offset1:1
	s_waitcnt lgkmcnt(1)
	v_ashrrev_i32_e32 v126, s3, v126
	v_lshlrev_b32_e32 v126, 2, v126
	v_and_b32_e32 v126, 0x4040404, v126
	s_waitcnt lgkmcnt(0)
	v_ashrrev_i32_e32 v124, s21, v124
	v_and_b32_e32 v128, 0x3030303, v124
	v_bfe_u32 v124, v124, 24, 2
	v_sub_u16_e32 v130, v128, v126
	v_sub_u16_sdwa v131, v128, v126 dst_sel:BYTE_1 dst_unused:UNUSED_PAD src0_sel:BYTE_1 src1_sel:BYTE_1
	v_sub_u16_sdwa v124, v124, v126 dst_sel:BYTE_1 dst_unused:UNUSED_PAD src0_sel:DWORD src1_sel:BYTE_3
	v_sub_u16_sdwa v126, v128, v126 dst_sel:DWORD dst_unused:UNUSED_PAD src0_sel:WORD_1 src1_sel:WORD_1
	v_or_b32_sdwa v130, v130, v131 dst_sel:DWORD dst_unused:UNUSED_PAD src0_sel:BYTE_0 src1_sel:DWORD
	v_or_b32_sdwa v124, v126, v124 dst_sel:WORD_1 dst_unused:UNUSED_PAD src0_sel:BYTE_0 src1_sel:DWORD
	v_ashrrev_i32_e32 v126, s3, v127
	v_or_b32_sdwa v128, v130, v124 dst_sel:DWORD dst_unused:UNUSED_PAD src0_sel:WORD_0 src1_sel:DWORD
	v_ashrrev_i32_e32 v124, s21, v125
	v_lshlrev_b32_e32 v126, 2, v126
	v_and_b32_e32 v125, 0x3030303, v124
	v_bfe_u32 v124, v124, 24, 2
	v_and_b32_e32 v126, 0x4040404, v126
	v_sub_u16_e32 v127, v125, v126
	v_sub_u16_sdwa v130, v125, v126 dst_sel:BYTE_1 dst_unused:UNUSED_PAD src0_sel:BYTE_1 src1_sel:BYTE_1
	v_sub_u16_sdwa v124, v124, v126 dst_sel:BYTE_1 dst_unused:UNUSED_PAD src0_sel:DWORD src1_sel:BYTE_3
	v_sub_u16_sdwa v125, v125, v126 dst_sel:DWORD dst_unused:UNUSED_PAD src0_sel:WORD_1 src1_sel:WORD_1
	v_or_b32_sdwa v127, v127, v130 dst_sel:DWORD dst_unused:UNUSED_PAD src0_sel:BYTE_0 src1_sel:DWORD
	v_or_b32_sdwa v124, v125, v124 dst_sel:WORD_1 dst_unused:UNUSED_PAD src0_sel:BYTE_0 src1_sel:DWORD
	v_add_u32_e32 v126, 0x4208, v129
	v_or_b32_sdwa v130, v127, v124 dst_sel:DWORD dst_unused:UNUSED_PAD src0_sel:WORD_0 src1_sel:DWORD
	ds_read2_b32 v[124:125], v123 offset0:2 offset1:3
	ds_read2_b32 v[126:127], v126 offset1:1
	s_waitcnt lgkmcnt(1)
	v_ashrrev_i32_e32 v124, s21, v124
	s_waitcnt lgkmcnt(0)
	v_ashrrev_i32_e32 v126, s3, v126
	v_lshlrev_b32_e32 v126, 2, v126
	v_and_b32_e32 v131, 0x3030303, v124
	v_bfe_u32 v124, v124, 24, 2
	v_and_b32_e32 v126, 0x4040404, v126
	v_sub_u16_e32 v132, v131, v126
	v_sub_u16_sdwa v133, v131, v126 dst_sel:BYTE_1 dst_unused:UNUSED_PAD src0_sel:BYTE_1 src1_sel:BYTE_1
	v_sub_u16_sdwa v124, v124, v126 dst_sel:BYTE_1 dst_unused:UNUSED_PAD src0_sel:DWORD src1_sel:BYTE_3
	v_sub_u16_sdwa v126, v131, v126 dst_sel:DWORD dst_unused:UNUSED_PAD src0_sel:WORD_1 src1_sel:WORD_1
	v_or_b32_sdwa v132, v132, v133 dst_sel:DWORD dst_unused:UNUSED_PAD src0_sel:BYTE_0 src1_sel:DWORD
	v_or_b32_sdwa v124, v126, v124 dst_sel:WORD_1 dst_unused:UNUSED_PAD src0_sel:BYTE_0 src1_sel:DWORD
	v_ashrrev_i32_e32 v126, s3, v127
	v_or_b32_sdwa v131, v132, v124 dst_sel:DWORD dst_unused:UNUSED_PAD src0_sel:WORD_0 src1_sel:DWORD
	v_ashrrev_i32_e32 v124, s21, v125
	v_lshlrev_b32_e32 v126, 2, v126
	v_and_b32_e32 v125, 0x3030303, v124
	v_bfe_u32 v124, v124, 24, 2
	v_and_b32_e32 v126, 0x4040404, v126
	v_sub_u16_e32 v127, v125, v126
	v_sub_u16_sdwa v132, v125, v126 dst_sel:BYTE_1 dst_unused:UNUSED_PAD src0_sel:BYTE_1 src1_sel:BYTE_1
	v_sub_u16_sdwa v124, v124, v126 dst_sel:BYTE_1 dst_unused:UNUSED_PAD src0_sel:DWORD src1_sel:BYTE_3
	v_sub_u16_sdwa v125, v125, v126 dst_sel:DWORD dst_unused:UNUSED_PAD src0_sel:WORD_1 src1_sel:WORD_1
	v_or_b32_sdwa v127, v127, v132 dst_sel:DWORD dst_unused:UNUSED_PAD src0_sel:BYTE_0 src1_sel:DWORD
	v_or_b32_sdwa v124, v125, v124 dst_sel:WORD_1 dst_unused:UNUSED_PAD src0_sel:BYTE_0 src1_sel:DWORD
	v_add_u32_e32 v126, 0x4210, v129
	v_or_b32_sdwa v132, v127, v124 dst_sel:DWORD dst_unused:UNUSED_PAD src0_sel:WORD_0 src1_sel:DWORD
	ds_read2_b32 v[124:125], v123 offset0:4 offset1:5
	ds_read2_b32 v[126:127], v126 offset1:1
	s_waitcnt lgkmcnt(1)
	v_ashrrev_i32_e32 v124, s21, v124
	s_waitcnt lgkmcnt(0)
	v_ashrrev_i32_e32 v126, s3, v126
	v_lshlrev_b32_e32 v126, 2, v126
	v_and_b32_e32 v133, 0x3030303, v124
	v_bfe_u32 v124, v124, 24, 2
	v_and_b32_e32 v126, 0x4040404, v126
	;; [unrolled: 31-line block ×3, first 2 shown]
	v_sub_u16_e32 v129, v124, v126
	v_sub_u16_sdwa v135, v124, v126 dst_sel:BYTE_1 dst_unused:UNUSED_PAD src0_sel:BYTE_1 src1_sel:BYTE_1
	v_sub_u16_sdwa v123, v123, v126 dst_sel:BYTE_1 dst_unused:UNUSED_PAD src0_sel:DWORD src1_sel:BYTE_3
	v_sub_u16_sdwa v124, v124, v126 dst_sel:DWORD dst_unused:UNUSED_PAD src0_sel:WORD_1 src1_sel:WORD_1
	v_ashrrev_i32_e32 v126, s3, v127
	v_or_b32_sdwa v123, v124, v123 dst_sel:WORD_1 dst_unused:UNUSED_PAD src0_sel:BYTE_0 src1_sel:DWORD
	v_ashrrev_i32_e32 v124, s21, v125
	v_lshlrev_b32_e32 v126, 2, v126
	v_or_b32_sdwa v129, v129, v135 dst_sel:DWORD dst_unused:UNUSED_PAD src0_sel:BYTE_0 src1_sel:DWORD
	v_and_b32_e32 v125, 0x3030303, v124
	v_bfe_u32 v124, v124, 24, 2
	v_and_b32_e32 v126, 0x4040404, v126
	v_or_b32_sdwa v123, v129, v123 dst_sel:DWORD dst_unused:UNUSED_PAD src0_sel:WORD_0 src1_sel:DWORD
	v_sub_u16_e32 v127, v125, v126
	v_sub_u16_sdwa v129, v125, v126 dst_sel:BYTE_1 dst_unused:UNUSED_PAD src0_sel:BYTE_1 src1_sel:BYTE_1
	v_sub_u16_sdwa v124, v124, v126 dst_sel:BYTE_1 dst_unused:UNUSED_PAD src0_sel:DWORD src1_sel:BYTE_3
	v_sub_u16_sdwa v125, v125, v126 dst_sel:DWORD dst_unused:UNUSED_PAD src0_sel:WORD_1 src1_sel:WORD_1
	v_or_b32_sdwa v127, v127, v129 dst_sel:DWORD dst_unused:UNUSED_PAD src0_sel:BYTE_0 src1_sel:DWORD
	v_or_b32_sdwa v124, v125, v124 dst_sel:WORD_1 dst_unused:UNUSED_PAD src0_sel:BYTE_0 src1_sel:DWORD
	v_or_b32_sdwa v125, v127, v124 dst_sel:DWORD dst_unused:UNUSED_PAD src0_sel:WORD_0 src1_sel:DWORD
	v_add_u32_e32 v124, s35, v105
	v_add_u32_e32 v126, s37, v75
	ds_read_b32 v126, v126
	ds_read_u16 v124, v124 offset:26354
	v_mov_b32_e32 v127, 0
	v_dot4c_i32_i8_e32 v127, v128, v6
	v_dot4c_i32_i8_e32 v127, v130, v7
	;; [unrolled: 1-line block ×4, first 2 shown]
	s_waitcnt lgkmcnt(0)
	v_lshrrev_b16_e32 v128, 8, v124
	v_bfe_i32 v124, v124, 0, 8
	v_add_lshl_u32 v129, v77, s34, 2
	v_mul_lo_u32 v124, v127, v124
	v_mov_b32_e32 v127, 0
	v_dot4c_i32_i8_e32 v127, v133, v2
	v_dot4c_i32_i8_e32 v127, v134, v3
	;; [unrolled: 1-line block ×4, first 2 shown]
	v_bfe_i32 v123, v128, 0, 8
                                        ; kill: def $vgpr125 killed $sgpr0 killed $exec
	s_nop 1
	v_mad_u64_u32 v[124:125], s[38:39], v127, v123, v[124:125]
	v_cvt_f32_i32_e32 v124, v124
	v_mul_f32_e32 v123, v122, v126
	v_add_u32_e32 v126, 0x4200, v129
	ds_read2_b32 v[126:127], v126 offset1:1
	v_fmac_f32_e32 v92, v123, v124
	v_add_u32_e32 v123, s36, v79
	ds_read2_b32 v[124:125], v123 offset1:1
	s_waitcnt lgkmcnt(1)
	v_ashrrev_i32_e32 v126, s3, v126
	v_lshlrev_b32_e32 v126, 2, v126
	v_and_b32_e32 v126, 0x4040404, v126
	s_waitcnt lgkmcnt(0)
	v_ashrrev_i32_e32 v124, s21, v124
	v_and_b32_e32 v128, 0x3030303, v124
	v_bfe_u32 v124, v124, 24, 2
	v_sub_u16_e32 v130, v128, v126
	v_sub_u16_sdwa v131, v128, v126 dst_sel:BYTE_1 dst_unused:UNUSED_PAD src0_sel:BYTE_1 src1_sel:BYTE_1
	v_sub_u16_sdwa v124, v124, v126 dst_sel:BYTE_1 dst_unused:UNUSED_PAD src0_sel:DWORD src1_sel:BYTE_3
	v_sub_u16_sdwa v126, v128, v126 dst_sel:DWORD dst_unused:UNUSED_PAD src0_sel:WORD_1 src1_sel:WORD_1
	v_or_b32_sdwa v130, v130, v131 dst_sel:DWORD dst_unused:UNUSED_PAD src0_sel:BYTE_0 src1_sel:DWORD
	v_or_b32_sdwa v124, v126, v124 dst_sel:WORD_1 dst_unused:UNUSED_PAD src0_sel:BYTE_0 src1_sel:DWORD
	v_ashrrev_i32_e32 v126, s3, v127
	v_or_b32_sdwa v128, v130, v124 dst_sel:DWORD dst_unused:UNUSED_PAD src0_sel:WORD_0 src1_sel:DWORD
	v_ashrrev_i32_e32 v124, s21, v125
	v_lshlrev_b32_e32 v126, 2, v126
	v_and_b32_e32 v125, 0x3030303, v124
	v_bfe_u32 v124, v124, 24, 2
	v_and_b32_e32 v126, 0x4040404, v126
	v_sub_u16_e32 v127, v125, v126
	v_sub_u16_sdwa v130, v125, v126 dst_sel:BYTE_1 dst_unused:UNUSED_PAD src0_sel:BYTE_1 src1_sel:BYTE_1
	v_sub_u16_sdwa v124, v124, v126 dst_sel:BYTE_1 dst_unused:UNUSED_PAD src0_sel:DWORD src1_sel:BYTE_3
	v_sub_u16_sdwa v125, v125, v126 dst_sel:DWORD dst_unused:UNUSED_PAD src0_sel:WORD_1 src1_sel:WORD_1
	v_or_b32_sdwa v127, v127, v130 dst_sel:DWORD dst_unused:UNUSED_PAD src0_sel:BYTE_0 src1_sel:DWORD
	v_or_b32_sdwa v124, v125, v124 dst_sel:WORD_1 dst_unused:UNUSED_PAD src0_sel:BYTE_0 src1_sel:DWORD
	v_add_u32_e32 v126, 0x4208, v129
	v_or_b32_sdwa v130, v127, v124 dst_sel:DWORD dst_unused:UNUSED_PAD src0_sel:WORD_0 src1_sel:DWORD
	ds_read2_b32 v[124:125], v123 offset0:2 offset1:3
	ds_read2_b32 v[126:127], v126 offset1:1
	s_waitcnt lgkmcnt(1)
	v_ashrrev_i32_e32 v124, s21, v124
	s_waitcnt lgkmcnt(0)
	v_ashrrev_i32_e32 v126, s3, v126
	v_lshlrev_b32_e32 v126, 2, v126
	v_and_b32_e32 v131, 0x3030303, v124
	v_bfe_u32 v124, v124, 24, 2
	v_and_b32_e32 v126, 0x4040404, v126
	v_sub_u16_e32 v132, v131, v126
	v_sub_u16_sdwa v133, v131, v126 dst_sel:BYTE_1 dst_unused:UNUSED_PAD src0_sel:BYTE_1 src1_sel:BYTE_1
	v_sub_u16_sdwa v124, v124, v126 dst_sel:BYTE_1 dst_unused:UNUSED_PAD src0_sel:DWORD src1_sel:BYTE_3
	v_sub_u16_sdwa v126, v131, v126 dst_sel:DWORD dst_unused:UNUSED_PAD src0_sel:WORD_1 src1_sel:WORD_1
	v_or_b32_sdwa v132, v132, v133 dst_sel:DWORD dst_unused:UNUSED_PAD src0_sel:BYTE_0 src1_sel:DWORD
	v_or_b32_sdwa v124, v126, v124 dst_sel:WORD_1 dst_unused:UNUSED_PAD src0_sel:BYTE_0 src1_sel:DWORD
	v_ashrrev_i32_e32 v126, s3, v127
	v_or_b32_sdwa v131, v132, v124 dst_sel:DWORD dst_unused:UNUSED_PAD src0_sel:WORD_0 src1_sel:DWORD
	v_ashrrev_i32_e32 v124, s21, v125
	v_lshlrev_b32_e32 v126, 2, v126
	v_and_b32_e32 v125, 0x3030303, v124
	v_bfe_u32 v124, v124, 24, 2
	v_and_b32_e32 v126, 0x4040404, v126
	v_sub_u16_e32 v127, v125, v126
	v_sub_u16_sdwa v132, v125, v126 dst_sel:BYTE_1 dst_unused:UNUSED_PAD src0_sel:BYTE_1 src1_sel:BYTE_1
	v_sub_u16_sdwa v124, v124, v126 dst_sel:BYTE_1 dst_unused:UNUSED_PAD src0_sel:DWORD src1_sel:BYTE_3
	v_sub_u16_sdwa v125, v125, v126 dst_sel:DWORD dst_unused:UNUSED_PAD src0_sel:WORD_1 src1_sel:WORD_1
	v_or_b32_sdwa v127, v127, v132 dst_sel:DWORD dst_unused:UNUSED_PAD src0_sel:BYTE_0 src1_sel:DWORD
	v_or_b32_sdwa v124, v125, v124 dst_sel:WORD_1 dst_unused:UNUSED_PAD src0_sel:BYTE_0 src1_sel:DWORD
	v_add_u32_e32 v126, 0x4210, v129
	v_or_b32_sdwa v132, v127, v124 dst_sel:DWORD dst_unused:UNUSED_PAD src0_sel:WORD_0 src1_sel:DWORD
	ds_read2_b32 v[124:125], v123 offset0:4 offset1:5
	ds_read2_b32 v[126:127], v126 offset1:1
	s_waitcnt lgkmcnt(1)
	v_ashrrev_i32_e32 v124, s21, v124
	s_waitcnt lgkmcnt(0)
	v_ashrrev_i32_e32 v126, s3, v126
	v_lshlrev_b32_e32 v126, 2, v126
	v_and_b32_e32 v133, 0x3030303, v124
	v_bfe_u32 v124, v124, 24, 2
	v_and_b32_e32 v126, 0x4040404, v126
	;; [unrolled: 31-line block ×3, first 2 shown]
	v_sub_u16_e32 v129, v124, v126
	v_sub_u16_sdwa v135, v124, v126 dst_sel:BYTE_1 dst_unused:UNUSED_PAD src0_sel:BYTE_1 src1_sel:BYTE_1
	v_sub_u16_sdwa v123, v123, v126 dst_sel:BYTE_1 dst_unused:UNUSED_PAD src0_sel:DWORD src1_sel:BYTE_3
	v_sub_u16_sdwa v124, v124, v126 dst_sel:DWORD dst_unused:UNUSED_PAD src0_sel:WORD_1 src1_sel:WORD_1
	v_ashrrev_i32_e32 v126, s3, v127
	v_or_b32_sdwa v123, v124, v123 dst_sel:WORD_1 dst_unused:UNUSED_PAD src0_sel:BYTE_0 src1_sel:DWORD
	v_ashrrev_i32_e32 v124, s21, v125
	v_lshlrev_b32_e32 v126, 2, v126
	v_or_b32_sdwa v129, v129, v135 dst_sel:DWORD dst_unused:UNUSED_PAD src0_sel:BYTE_0 src1_sel:DWORD
	v_and_b32_e32 v125, 0x3030303, v124
	v_bfe_u32 v124, v124, 24, 2
	v_and_b32_e32 v126, 0x4040404, v126
	v_or_b32_sdwa v123, v129, v123 dst_sel:DWORD dst_unused:UNUSED_PAD src0_sel:WORD_0 src1_sel:DWORD
	v_sub_u16_e32 v127, v125, v126
	v_sub_u16_sdwa v129, v125, v126 dst_sel:BYTE_1 dst_unused:UNUSED_PAD src0_sel:BYTE_1 src1_sel:BYTE_1
	v_sub_u16_sdwa v124, v124, v126 dst_sel:BYTE_1 dst_unused:UNUSED_PAD src0_sel:DWORD src1_sel:BYTE_3
	v_sub_u16_sdwa v125, v125, v126 dst_sel:DWORD dst_unused:UNUSED_PAD src0_sel:WORD_1 src1_sel:WORD_1
	v_or_b32_sdwa v127, v127, v129 dst_sel:DWORD dst_unused:UNUSED_PAD src0_sel:BYTE_0 src1_sel:DWORD
	v_or_b32_sdwa v124, v125, v124 dst_sel:WORD_1 dst_unused:UNUSED_PAD src0_sel:BYTE_0 src1_sel:DWORD
	v_or_b32_sdwa v125, v127, v124 dst_sel:DWORD dst_unused:UNUSED_PAD src0_sel:WORD_0 src1_sel:DWORD
	v_add_u32_e32 v124, s35, v104
	v_add_u32_e32 v126, s37, v85
	ds_read_b32 v126, v126
	ds_read_u16 v124, v124 offset:27378
	v_mov_b32_e32 v127, 0
	v_dot4c_i32_i8_e32 v127, v128, v6
	v_dot4c_i32_i8_e32 v127, v130, v7
	;; [unrolled: 1-line block ×4, first 2 shown]
	s_waitcnt lgkmcnt(0)
	v_lshrrev_b16_e32 v128, 8, v124
	v_bfe_i32 v124, v124, 0, 8
	v_add_lshl_u32 v129, v86, s34, 2
	v_mul_lo_u32 v124, v127, v124
	v_mov_b32_e32 v127, 0
	v_dot4c_i32_i8_e32 v127, v133, v2
	v_dot4c_i32_i8_e32 v127, v134, v3
	;; [unrolled: 1-line block ×4, first 2 shown]
	v_bfe_i32 v123, v128, 0, 8
                                        ; kill: def $vgpr125 killed $sgpr0 killed $exec
	s_nop 1
	v_mad_u64_u32 v[124:125], s[38:39], v127, v123, v[124:125]
	v_cvt_f32_i32_e32 v124, v124
	v_mul_f32_e32 v123, v122, v126
	v_add_u32_e32 v126, 0x4200, v129
	ds_read2_b32 v[126:127], v126 offset1:1
	v_fmac_f32_e32 v81, v123, v124
	v_add_u32_e32 v123, s36, v87
	ds_read2_b32 v[124:125], v123 offset1:1
	s_waitcnt lgkmcnt(1)
	v_ashrrev_i32_e32 v126, s3, v126
	v_lshlrev_b32_e32 v126, 2, v126
	v_and_b32_e32 v126, 0x4040404, v126
	s_waitcnt lgkmcnt(0)
	v_ashrrev_i32_e32 v124, s21, v124
	v_and_b32_e32 v128, 0x3030303, v124
	v_bfe_u32 v124, v124, 24, 2
	v_sub_u16_e32 v130, v128, v126
	v_sub_u16_sdwa v131, v128, v126 dst_sel:BYTE_1 dst_unused:UNUSED_PAD src0_sel:BYTE_1 src1_sel:BYTE_1
	v_sub_u16_sdwa v124, v124, v126 dst_sel:BYTE_1 dst_unused:UNUSED_PAD src0_sel:DWORD src1_sel:BYTE_3
	v_sub_u16_sdwa v126, v128, v126 dst_sel:DWORD dst_unused:UNUSED_PAD src0_sel:WORD_1 src1_sel:WORD_1
	v_or_b32_sdwa v130, v130, v131 dst_sel:DWORD dst_unused:UNUSED_PAD src0_sel:BYTE_0 src1_sel:DWORD
	v_or_b32_sdwa v124, v126, v124 dst_sel:WORD_1 dst_unused:UNUSED_PAD src0_sel:BYTE_0 src1_sel:DWORD
	v_ashrrev_i32_e32 v126, s3, v127
	v_or_b32_sdwa v128, v130, v124 dst_sel:DWORD dst_unused:UNUSED_PAD src0_sel:WORD_0 src1_sel:DWORD
	v_ashrrev_i32_e32 v124, s21, v125
	v_lshlrev_b32_e32 v126, 2, v126
	v_and_b32_e32 v125, 0x3030303, v124
	v_bfe_u32 v124, v124, 24, 2
	v_and_b32_e32 v126, 0x4040404, v126
	v_sub_u16_e32 v127, v125, v126
	v_sub_u16_sdwa v130, v125, v126 dst_sel:BYTE_1 dst_unused:UNUSED_PAD src0_sel:BYTE_1 src1_sel:BYTE_1
	v_sub_u16_sdwa v124, v124, v126 dst_sel:BYTE_1 dst_unused:UNUSED_PAD src0_sel:DWORD src1_sel:BYTE_3
	v_sub_u16_sdwa v125, v125, v126 dst_sel:DWORD dst_unused:UNUSED_PAD src0_sel:WORD_1 src1_sel:WORD_1
	v_or_b32_sdwa v127, v127, v130 dst_sel:DWORD dst_unused:UNUSED_PAD src0_sel:BYTE_0 src1_sel:DWORD
	v_or_b32_sdwa v124, v125, v124 dst_sel:WORD_1 dst_unused:UNUSED_PAD src0_sel:BYTE_0 src1_sel:DWORD
	v_add_u32_e32 v126, 0x4208, v129
	v_or_b32_sdwa v130, v127, v124 dst_sel:DWORD dst_unused:UNUSED_PAD src0_sel:WORD_0 src1_sel:DWORD
	ds_read2_b32 v[124:125], v123 offset0:2 offset1:3
	ds_read2_b32 v[126:127], v126 offset1:1
	s_waitcnt lgkmcnt(1)
	v_ashrrev_i32_e32 v124, s21, v124
	s_waitcnt lgkmcnt(0)
	v_ashrrev_i32_e32 v126, s3, v126
	v_lshlrev_b32_e32 v126, 2, v126
	v_and_b32_e32 v131, 0x3030303, v124
	v_bfe_u32 v124, v124, 24, 2
	v_and_b32_e32 v126, 0x4040404, v126
	v_sub_u16_e32 v132, v131, v126
	v_sub_u16_sdwa v133, v131, v126 dst_sel:BYTE_1 dst_unused:UNUSED_PAD src0_sel:BYTE_1 src1_sel:BYTE_1
	v_sub_u16_sdwa v124, v124, v126 dst_sel:BYTE_1 dst_unused:UNUSED_PAD src0_sel:DWORD src1_sel:BYTE_3
	v_sub_u16_sdwa v126, v131, v126 dst_sel:DWORD dst_unused:UNUSED_PAD src0_sel:WORD_1 src1_sel:WORD_1
	v_or_b32_sdwa v132, v132, v133 dst_sel:DWORD dst_unused:UNUSED_PAD src0_sel:BYTE_0 src1_sel:DWORD
	v_or_b32_sdwa v124, v126, v124 dst_sel:WORD_1 dst_unused:UNUSED_PAD src0_sel:BYTE_0 src1_sel:DWORD
	v_ashrrev_i32_e32 v126, s3, v127
	v_or_b32_sdwa v131, v132, v124 dst_sel:DWORD dst_unused:UNUSED_PAD src0_sel:WORD_0 src1_sel:DWORD
	v_ashrrev_i32_e32 v124, s21, v125
	v_lshlrev_b32_e32 v126, 2, v126
	v_and_b32_e32 v125, 0x3030303, v124
	v_bfe_u32 v124, v124, 24, 2
	v_and_b32_e32 v126, 0x4040404, v126
	v_sub_u16_e32 v127, v125, v126
	v_sub_u16_sdwa v132, v125, v126 dst_sel:BYTE_1 dst_unused:UNUSED_PAD src0_sel:BYTE_1 src1_sel:BYTE_1
	v_sub_u16_sdwa v124, v124, v126 dst_sel:BYTE_1 dst_unused:UNUSED_PAD src0_sel:DWORD src1_sel:BYTE_3
	v_sub_u16_sdwa v125, v125, v126 dst_sel:DWORD dst_unused:UNUSED_PAD src0_sel:WORD_1 src1_sel:WORD_1
	v_or_b32_sdwa v127, v127, v132 dst_sel:DWORD dst_unused:UNUSED_PAD src0_sel:BYTE_0 src1_sel:DWORD
	v_or_b32_sdwa v124, v125, v124 dst_sel:WORD_1 dst_unused:UNUSED_PAD src0_sel:BYTE_0 src1_sel:DWORD
	v_add_u32_e32 v126, 0x4210, v129
	v_or_b32_sdwa v132, v127, v124 dst_sel:DWORD dst_unused:UNUSED_PAD src0_sel:WORD_0 src1_sel:DWORD
	ds_read2_b32 v[124:125], v123 offset0:4 offset1:5
	ds_read2_b32 v[126:127], v126 offset1:1
	s_waitcnt lgkmcnt(1)
	v_ashrrev_i32_e32 v124, s21, v124
	s_waitcnt lgkmcnt(0)
	v_ashrrev_i32_e32 v126, s3, v126
	v_lshlrev_b32_e32 v126, 2, v126
	v_and_b32_e32 v133, 0x3030303, v124
	v_bfe_u32 v124, v124, 24, 2
	v_and_b32_e32 v126, 0x4040404, v126
	;; [unrolled: 31-line block ×3, first 2 shown]
	v_sub_u16_e32 v129, v124, v126
	v_sub_u16_sdwa v135, v124, v126 dst_sel:BYTE_1 dst_unused:UNUSED_PAD src0_sel:BYTE_1 src1_sel:BYTE_1
	v_sub_u16_sdwa v123, v123, v126 dst_sel:BYTE_1 dst_unused:UNUSED_PAD src0_sel:DWORD src1_sel:BYTE_3
	v_sub_u16_sdwa v124, v124, v126 dst_sel:DWORD dst_unused:UNUSED_PAD src0_sel:WORD_1 src1_sel:WORD_1
	v_ashrrev_i32_e32 v126, s3, v127
	v_or_b32_sdwa v123, v124, v123 dst_sel:WORD_1 dst_unused:UNUSED_PAD src0_sel:BYTE_0 src1_sel:DWORD
	v_ashrrev_i32_e32 v124, s21, v125
	v_lshlrev_b32_e32 v126, 2, v126
	v_or_b32_sdwa v129, v129, v135 dst_sel:DWORD dst_unused:UNUSED_PAD src0_sel:BYTE_0 src1_sel:DWORD
	v_and_b32_e32 v125, 0x3030303, v124
	v_bfe_u32 v124, v124, 24, 2
	v_and_b32_e32 v126, 0x4040404, v126
	v_or_b32_sdwa v123, v129, v123 dst_sel:DWORD dst_unused:UNUSED_PAD src0_sel:WORD_0 src1_sel:DWORD
	v_sub_u16_e32 v127, v125, v126
	v_sub_u16_sdwa v129, v125, v126 dst_sel:BYTE_1 dst_unused:UNUSED_PAD src0_sel:BYTE_1 src1_sel:BYTE_1
	v_sub_u16_sdwa v124, v124, v126 dst_sel:BYTE_1 dst_unused:UNUSED_PAD src0_sel:DWORD src1_sel:BYTE_3
	v_sub_u16_sdwa v125, v125, v126 dst_sel:DWORD dst_unused:UNUSED_PAD src0_sel:WORD_1 src1_sel:WORD_1
	v_or_b32_sdwa v127, v127, v129 dst_sel:DWORD dst_unused:UNUSED_PAD src0_sel:BYTE_0 src1_sel:DWORD
	v_or_b32_sdwa v124, v125, v124 dst_sel:WORD_1 dst_unused:UNUSED_PAD src0_sel:BYTE_0 src1_sel:DWORD
	v_or_b32_sdwa v124, v127, v124 dst_sel:DWORD dst_unused:UNUSED_PAD src0_sel:WORD_0 src1_sel:DWORD
	v_add_u32_e32 v125, s35, v103
	v_add_u32_e32 v126, s37, v88
	v_mov_b32_e32 v127, 0
	ds_read_b32 v126, v126
	v_dot4c_i32_i8_e32 v127, v128, v6
	ds_read_u16 v6, v125 offset:28402
	v_dot4c_i32_i8_e32 v127, v130, v7
	v_dot4c_i32_i8_e32 v127, v131, v8
	v_mov_b32_e32 v8, 0
	v_dot4c_i32_i8_e32 v8, v133, v2
	v_dot4c_i32_i8_e32 v8, v134, v3
	;; [unrolled: 1-line block ×3, first 2 shown]
	s_waitcnt lgkmcnt(0)
	v_lshrrev_b16_e32 v7, 8, v6
	v_bfe_i32 v6, v6, 0, 8
	v_dot4c_i32_i8_e32 v8, v123, v4
	v_mul_lo_u32 v6, v127, v6
	v_dot4c_i32_i8_e32 v8, v124, v5
	v_bfe_i32 v2, v7, 0, 8
	s_add_i32 s3, s3, 1
	s_cmp_lt_u32 s20, 22
	v_mad_u64_u32 v[2:3], s[34:35], v8, v2, v[6:7]
	v_cvt_f32_i32_e32 v2, v2
	v_mul_f32_e32 v3, v122, v126
	s_mov_b32 s35, s20
	v_fmac_f32_e32 v11, v3, v2
	s_cbranch_scc1 .LBB229_28
; %bb.29:                               ;   in Loop: Header=BB229_5 Depth=1
	s_or_b32 s2, s33, 0x180
	s_cmp_ge_i32 s2, s15
	s_barrier
	s_cbranch_scc1 .LBB229_4
; %bb.30:                               ;   in Loop: Header=BB229_5 Depth=1
	v_add_u32_e32 v2, s31, v91
	v_cmp_gt_i32_e64 s[2:3], s9, v2
	s_and_b64 s[20:21], s[0:1], s[2:3]
	s_and_saveexec_b64 s[2:3], s[20:21]
	s_cbranch_execz .LBB229_32
; %bb.31:                               ;   in Loop: Header=BB229_5 Depth=1
	v_add_u32_e32 v2, v84, v2
	v_mad_i64_i32 v[2:3], s[20:21], v2, 36, v[82:83]
	global_load_dword v2, v[2:3], off offset:4
	s_waitcnt vmcnt(0)
	ds_write_b32 v59, v2
.LBB229_32:                             ;   in Loop: Header=BB229_5 Depth=1
	s_or_b64 exec, exec, s[2:3]
	s_and_saveexec_b64 s[20:21], vcc
	s_cbranch_execz .LBB229_35
; %bb.33:                               ;   in Loop: Header=BB229_5 Depth=1
	v_or_b32_e32 v2, s31, v17
	v_or_b32_e32 v3, 12, v2
	v_cmp_gt_i32_e64 s[2:3], s9, v3
	s_and_b64 s[2:3], s[0:1], s[2:3]
	s_and_b64 exec, exec, s[2:3]
	s_cbranch_execz .LBB229_35
; %bb.34:                               ;   in Loop: Header=BB229_5 Depth=1
	v_ashrrev_i32_e32 v3, 31, v2
	v_add_co_u32_e64 v2, s[2:3], v84, v2
	v_addc_co_u32_e64 v4, s[2:3], v1, v3, s[2:3]
	v_mad_u64_u32 v[2:3], s[2:3], v2, 36, s[18:19]
	v_mad_i32_i24 v3, v4, 36, v3
	global_load_dword v2, v[2:3], off
	s_waitcnt vmcnt(0)
	v_cvt_f32_f16_e32 v2, v2
	ds_write_b32 v61, v2
.LBB229_35:                             ;   in Loop: Header=BB229_5 Depth=1
	s_or_b64 exec, exec, s[20:21]
	s_mov_b32 s2, 24
	s_mov_b32 s33, 22
	;; [unrolled: 1-line block ×3, first 2 shown]
	v_mov_b32_e32 v120, v97
	v_mov_b32_e32 v121, v98
	s_waitcnt lgkmcnt(0)
	s_barrier
.LBB229_36:                             ;   Parent Loop BB229_5 Depth=1
                                        ; =>  This Inner Loop Header: Depth=2
	s_add_i32 s20, s33, 2
	s_lshr_b32 s36, s20, 4
	s_and_b32 s34, s20, 0x3ffffff8
	s_lshl_b32 s31, s36, 3
	s_lshl_b32 s34, s34, 2
	v_add_lshl_u32 v129, v65, s31, 2
	v_add_u32_e32 v123, s34, v67
	v_add_u32_e32 v126, 0x4200, v129
	ds_read_b32 v122, v121
	ds_read_b128 v[6:9], v120
	ds_read_b128 v[2:5], v120 offset:16
	ds_read2_b32 v[124:125], v123 offset1:1
	ds_read2_b32 v[126:127], v126 offset1:1
	s_sub_i32 s21, s33, 22
	s_and_b32 s35, s2, -16
	s_add_i32 s33, s33, s35
	s_waitcnt lgkmcnt(1)
	v_ashrrev_i32_e32 v124, s21, v124
	s_waitcnt lgkmcnt(0)
	v_ashrrev_i32_e32 v126, s3, v126
	v_lshlrev_b32_e32 v126, 2, v126
	v_and_b32_e32 v128, 0x3030303, v124
	v_bfe_u32 v124, v124, 24, 2
	v_and_b32_e32 v126, 0x4040404, v126
	v_sub_u16_e32 v130, v128, v126
	v_sub_u16_sdwa v131, v128, v126 dst_sel:BYTE_1 dst_unused:UNUSED_PAD src0_sel:BYTE_1 src1_sel:BYTE_1
	v_sub_u16_sdwa v124, v124, v126 dst_sel:BYTE_1 dst_unused:UNUSED_PAD src0_sel:DWORD src1_sel:BYTE_3
	v_sub_u16_sdwa v126, v128, v126 dst_sel:DWORD dst_unused:UNUSED_PAD src0_sel:WORD_1 src1_sel:WORD_1
	v_or_b32_sdwa v130, v130, v131 dst_sel:DWORD dst_unused:UNUSED_PAD src0_sel:BYTE_0 src1_sel:DWORD
	v_or_b32_sdwa v124, v126, v124 dst_sel:WORD_1 dst_unused:UNUSED_PAD src0_sel:BYTE_0 src1_sel:DWORD
	v_ashrrev_i32_e32 v126, s3, v127
	v_or_b32_sdwa v128, v130, v124 dst_sel:DWORD dst_unused:UNUSED_PAD src0_sel:WORD_0 src1_sel:DWORD
	v_ashrrev_i32_e32 v124, s21, v125
	v_lshlrev_b32_e32 v126, 2, v126
	v_and_b32_e32 v125, 0x3030303, v124
	v_bfe_u32 v124, v124, 24, 2
	v_and_b32_e32 v126, 0x4040404, v126
	v_sub_u16_e32 v127, v125, v126
	v_sub_u16_sdwa v130, v125, v126 dst_sel:BYTE_1 dst_unused:UNUSED_PAD src0_sel:BYTE_1 src1_sel:BYTE_1
	v_sub_u16_sdwa v124, v124, v126 dst_sel:BYTE_1 dst_unused:UNUSED_PAD src0_sel:DWORD src1_sel:BYTE_3
	v_sub_u16_sdwa v125, v125, v126 dst_sel:DWORD dst_unused:UNUSED_PAD src0_sel:WORD_1 src1_sel:WORD_1
	v_or_b32_sdwa v127, v127, v130 dst_sel:DWORD dst_unused:UNUSED_PAD src0_sel:BYTE_0 src1_sel:DWORD
	v_or_b32_sdwa v124, v125, v124 dst_sel:WORD_1 dst_unused:UNUSED_PAD src0_sel:BYTE_0 src1_sel:DWORD
	v_add_u32_e32 v126, 0x4208, v129
	v_or_b32_sdwa v130, v127, v124 dst_sel:DWORD dst_unused:UNUSED_PAD src0_sel:WORD_0 src1_sel:DWORD
	ds_read2_b32 v[124:125], v123 offset0:2 offset1:3
	ds_read2_b32 v[126:127], v126 offset1:1
	s_lshl_b32 s35, s36, 2
	s_add_i32 s2, s2, 2
	v_add_u32_e32 v121, 4, v121
	s_waitcnt lgkmcnt(1)
	v_ashrrev_i32_e32 v124, s21, v124
	s_waitcnt lgkmcnt(0)
	v_ashrrev_i32_e32 v126, s3, v126
	v_lshlrev_b32_e32 v126, 2, v126
	v_and_b32_e32 v131, 0x3030303, v124
	v_bfe_u32 v124, v124, 24, 2
	v_and_b32_e32 v126, 0x4040404, v126
	v_sub_u16_e32 v132, v131, v126
	v_sub_u16_sdwa v133, v131, v126 dst_sel:BYTE_1 dst_unused:UNUSED_PAD src0_sel:BYTE_1 src1_sel:BYTE_1
	v_sub_u16_sdwa v124, v124, v126 dst_sel:BYTE_1 dst_unused:UNUSED_PAD src0_sel:DWORD src1_sel:BYTE_3
	v_sub_u16_sdwa v126, v131, v126 dst_sel:DWORD dst_unused:UNUSED_PAD src0_sel:WORD_1 src1_sel:WORD_1
	v_or_b32_sdwa v132, v132, v133 dst_sel:DWORD dst_unused:UNUSED_PAD src0_sel:BYTE_0 src1_sel:DWORD
	v_or_b32_sdwa v124, v126, v124 dst_sel:WORD_1 dst_unused:UNUSED_PAD src0_sel:BYTE_0 src1_sel:DWORD
	v_ashrrev_i32_e32 v126, s3, v127
	v_or_b32_sdwa v131, v132, v124 dst_sel:DWORD dst_unused:UNUSED_PAD src0_sel:WORD_0 src1_sel:DWORD
	v_ashrrev_i32_e32 v124, s21, v125
	v_lshlrev_b32_e32 v126, 2, v126
	v_and_b32_e32 v125, 0x3030303, v124
	v_bfe_u32 v124, v124, 24, 2
	v_and_b32_e32 v126, 0x4040404, v126
	v_sub_u16_e32 v127, v125, v126
	v_sub_u16_sdwa v132, v125, v126 dst_sel:BYTE_1 dst_unused:UNUSED_PAD src0_sel:BYTE_1 src1_sel:BYTE_1
	v_sub_u16_sdwa v124, v124, v126 dst_sel:BYTE_1 dst_unused:UNUSED_PAD src0_sel:DWORD src1_sel:BYTE_3
	v_sub_u16_sdwa v125, v125, v126 dst_sel:DWORD dst_unused:UNUSED_PAD src0_sel:WORD_1 src1_sel:WORD_1
	v_or_b32_sdwa v127, v127, v132 dst_sel:DWORD dst_unused:UNUSED_PAD src0_sel:BYTE_0 src1_sel:DWORD
	v_or_b32_sdwa v124, v125, v124 dst_sel:WORD_1 dst_unused:UNUSED_PAD src0_sel:BYTE_0 src1_sel:DWORD
	v_add_u32_e32 v126, 0x4210, v129
	v_or_b32_sdwa v132, v127, v124 dst_sel:DWORD dst_unused:UNUSED_PAD src0_sel:WORD_0 src1_sel:DWORD
	ds_read2_b32 v[124:125], v123 offset0:4 offset1:5
	ds_read2_b32 v[126:127], v126 offset1:1
	v_add_u32_e32 v120, 32, v120
	s_waitcnt lgkmcnt(1)
	v_ashrrev_i32_e32 v124, s21, v124
	s_waitcnt lgkmcnt(0)
	v_ashrrev_i32_e32 v126, s3, v126
	v_lshlrev_b32_e32 v126, 2, v126
	v_and_b32_e32 v133, 0x3030303, v124
	v_bfe_u32 v124, v124, 24, 2
	v_and_b32_e32 v126, 0x4040404, v126
	v_sub_u16_e32 v134, v133, v126
	v_sub_u16_sdwa v135, v133, v126 dst_sel:BYTE_1 dst_unused:UNUSED_PAD src0_sel:BYTE_1 src1_sel:BYTE_1
	v_sub_u16_sdwa v124, v124, v126 dst_sel:BYTE_1 dst_unused:UNUSED_PAD src0_sel:DWORD src1_sel:BYTE_3
	v_sub_u16_sdwa v126, v133, v126 dst_sel:DWORD dst_unused:UNUSED_PAD src0_sel:WORD_1 src1_sel:WORD_1
	v_or_b32_sdwa v134, v134, v135 dst_sel:DWORD dst_unused:UNUSED_PAD src0_sel:BYTE_0 src1_sel:DWORD
	v_or_b32_sdwa v124, v126, v124 dst_sel:WORD_1 dst_unused:UNUSED_PAD src0_sel:BYTE_0 src1_sel:DWORD
	v_ashrrev_i32_e32 v126, s3, v127
	v_or_b32_sdwa v133, v134, v124 dst_sel:DWORD dst_unused:UNUSED_PAD src0_sel:WORD_0 src1_sel:DWORD
	v_ashrrev_i32_e32 v124, s21, v125
	v_lshlrev_b32_e32 v126, 2, v126
	v_and_b32_e32 v125, 0x3030303, v124
	v_bfe_u32 v124, v124, 24, 2
	v_and_b32_e32 v126, 0x4040404, v126
	v_sub_u16_e32 v127, v125, v126
	v_sub_u16_sdwa v134, v125, v126 dst_sel:BYTE_1 dst_unused:UNUSED_PAD src0_sel:BYTE_1 src1_sel:BYTE_1
	v_sub_u16_sdwa v124, v124, v126 dst_sel:BYTE_1 dst_unused:UNUSED_PAD src0_sel:DWORD src1_sel:BYTE_3
	v_sub_u16_sdwa v125, v125, v126 dst_sel:DWORD dst_unused:UNUSED_PAD src0_sel:WORD_1 src1_sel:WORD_1
	v_or_b32_sdwa v127, v127, v134 dst_sel:DWORD dst_unused:UNUSED_PAD src0_sel:BYTE_0 src1_sel:DWORD
	v_or_b32_sdwa v124, v125, v124 dst_sel:WORD_1 dst_unused:UNUSED_PAD src0_sel:BYTE_0 src1_sel:DWORD
	v_add_u32_e32 v126, 0x4218, v129
	v_or_b32_sdwa v134, v127, v124 dst_sel:DWORD dst_unused:UNUSED_PAD src0_sel:WORD_0 src1_sel:DWORD
	ds_read2_b32 v[124:125], v123 offset0:6 offset1:7
	ds_read2_b32 v[126:127], v126 offset1:1
	s_waitcnt lgkmcnt(1)
	v_ashrrev_i32_e32 v123, s21, v124
	s_waitcnt lgkmcnt(0)
	v_ashrrev_i32_e32 v126, s3, v126
	v_lshlrev_b32_e32 v126, 2, v126
	v_and_b32_e32 v124, 0x3030303, v123
	v_bfe_u32 v123, v123, 24, 2
	v_and_b32_e32 v126, 0x4040404, v126
	v_sub_u16_e32 v129, v124, v126
	v_sub_u16_sdwa v135, v124, v126 dst_sel:BYTE_1 dst_unused:UNUSED_PAD src0_sel:BYTE_1 src1_sel:BYTE_1
	v_sub_u16_sdwa v123, v123, v126 dst_sel:BYTE_1 dst_unused:UNUSED_PAD src0_sel:DWORD src1_sel:BYTE_3
	v_sub_u16_sdwa v124, v124, v126 dst_sel:DWORD dst_unused:UNUSED_PAD src0_sel:WORD_1 src1_sel:WORD_1
	v_ashrrev_i32_e32 v126, s3, v127
	v_or_b32_sdwa v123, v124, v123 dst_sel:WORD_1 dst_unused:UNUSED_PAD src0_sel:BYTE_0 src1_sel:DWORD
	v_ashrrev_i32_e32 v124, s21, v125
	v_lshlrev_b32_e32 v126, 2, v126
	v_or_b32_sdwa v129, v129, v135 dst_sel:DWORD dst_unused:UNUSED_PAD src0_sel:BYTE_0 src1_sel:DWORD
	v_and_b32_e32 v125, 0x3030303, v124
	v_bfe_u32 v124, v124, 24, 2
	v_and_b32_e32 v126, 0x4040404, v126
	v_or_b32_sdwa v123, v129, v123 dst_sel:DWORD dst_unused:UNUSED_PAD src0_sel:WORD_0 src1_sel:DWORD
	v_sub_u16_e32 v127, v125, v126
	v_sub_u16_sdwa v129, v125, v126 dst_sel:BYTE_1 dst_unused:UNUSED_PAD src0_sel:BYTE_1 src1_sel:BYTE_1
	v_sub_u16_sdwa v124, v124, v126 dst_sel:BYTE_1 dst_unused:UNUSED_PAD src0_sel:DWORD src1_sel:BYTE_3
	v_sub_u16_sdwa v125, v125, v126 dst_sel:DWORD dst_unused:UNUSED_PAD src0_sel:WORD_1 src1_sel:WORD_1
	v_or_b32_sdwa v127, v127, v129 dst_sel:DWORD dst_unused:UNUSED_PAD src0_sel:BYTE_0 src1_sel:DWORD
	v_or_b32_sdwa v124, v125, v124 dst_sel:WORD_1 dst_unused:UNUSED_PAD src0_sel:BYTE_0 src1_sel:DWORD
	v_or_b32_sdwa v125, v127, v124 dst_sel:DWORD dst_unused:UNUSED_PAD src0_sel:WORD_0 src1_sel:DWORD
	v_add_u32_e32 v124, s33, v106
	v_add_u32_e32 v126, s35, v69
	ds_read_b32 v126, v126
	ds_read_u16 v124, v124 offset:25330
	v_mov_b32_e32 v127, 0
	v_dot4c_i32_i8_e32 v127, v128, v6
	v_dot4c_i32_i8_e32 v127, v130, v7
	;; [unrolled: 1-line block ×4, first 2 shown]
	s_waitcnt lgkmcnt(0)
	v_lshrrev_b16_e32 v128, 8, v124
	v_bfe_i32 v124, v124, 0, 8
	v_add_lshl_u32 v129, v71, s31, 2
	v_mul_lo_u32 v124, v127, v124
	v_mov_b32_e32 v127, 0
	v_dot4c_i32_i8_e32 v127, v133, v2
	v_dot4c_i32_i8_e32 v127, v134, v3
	;; [unrolled: 1-line block ×4, first 2 shown]
	v_bfe_i32 v123, v128, 0, 8
                                        ; kill: def $vgpr125 killed $sgpr0 killed $exec
	s_nop 1
	v_mad_u64_u32 v[124:125], s[36:37], v127, v123, v[124:125]
	v_cvt_f32_i32_e32 v124, v124
	v_mul_f32_e32 v123, v122, v126
	v_add_u32_e32 v126, 0x4200, v129
	ds_read2_b32 v[126:127], v126 offset1:1
	v_fmac_f32_e32 v15, v123, v124
	v_add_u32_e32 v123, s34, v73
	ds_read2_b32 v[124:125], v123 offset1:1
	s_waitcnt lgkmcnt(1)
	v_ashrrev_i32_e32 v126, s3, v126
	v_lshlrev_b32_e32 v126, 2, v126
	v_and_b32_e32 v126, 0x4040404, v126
	s_waitcnt lgkmcnt(0)
	v_ashrrev_i32_e32 v124, s21, v124
	v_and_b32_e32 v128, 0x3030303, v124
	v_bfe_u32 v124, v124, 24, 2
	v_sub_u16_e32 v130, v128, v126
	v_sub_u16_sdwa v131, v128, v126 dst_sel:BYTE_1 dst_unused:UNUSED_PAD src0_sel:BYTE_1 src1_sel:BYTE_1
	v_sub_u16_sdwa v124, v124, v126 dst_sel:BYTE_1 dst_unused:UNUSED_PAD src0_sel:DWORD src1_sel:BYTE_3
	v_sub_u16_sdwa v126, v128, v126 dst_sel:DWORD dst_unused:UNUSED_PAD src0_sel:WORD_1 src1_sel:WORD_1
	v_or_b32_sdwa v130, v130, v131 dst_sel:DWORD dst_unused:UNUSED_PAD src0_sel:BYTE_0 src1_sel:DWORD
	v_or_b32_sdwa v124, v126, v124 dst_sel:WORD_1 dst_unused:UNUSED_PAD src0_sel:BYTE_0 src1_sel:DWORD
	v_ashrrev_i32_e32 v126, s3, v127
	v_or_b32_sdwa v128, v130, v124 dst_sel:DWORD dst_unused:UNUSED_PAD src0_sel:WORD_0 src1_sel:DWORD
	v_ashrrev_i32_e32 v124, s21, v125
	v_lshlrev_b32_e32 v126, 2, v126
	v_and_b32_e32 v125, 0x3030303, v124
	v_bfe_u32 v124, v124, 24, 2
	v_and_b32_e32 v126, 0x4040404, v126
	v_sub_u16_e32 v127, v125, v126
	v_sub_u16_sdwa v130, v125, v126 dst_sel:BYTE_1 dst_unused:UNUSED_PAD src0_sel:BYTE_1 src1_sel:BYTE_1
	v_sub_u16_sdwa v124, v124, v126 dst_sel:BYTE_1 dst_unused:UNUSED_PAD src0_sel:DWORD src1_sel:BYTE_3
	v_sub_u16_sdwa v125, v125, v126 dst_sel:DWORD dst_unused:UNUSED_PAD src0_sel:WORD_1 src1_sel:WORD_1
	v_or_b32_sdwa v127, v127, v130 dst_sel:DWORD dst_unused:UNUSED_PAD src0_sel:BYTE_0 src1_sel:DWORD
	v_or_b32_sdwa v124, v125, v124 dst_sel:WORD_1 dst_unused:UNUSED_PAD src0_sel:BYTE_0 src1_sel:DWORD
	v_add_u32_e32 v126, 0x4208, v129
	v_or_b32_sdwa v130, v127, v124 dst_sel:DWORD dst_unused:UNUSED_PAD src0_sel:WORD_0 src1_sel:DWORD
	ds_read2_b32 v[124:125], v123 offset0:2 offset1:3
	ds_read2_b32 v[126:127], v126 offset1:1
	s_waitcnt lgkmcnt(1)
	v_ashrrev_i32_e32 v124, s21, v124
	s_waitcnt lgkmcnt(0)
	v_ashrrev_i32_e32 v126, s3, v126
	v_lshlrev_b32_e32 v126, 2, v126
	v_and_b32_e32 v131, 0x3030303, v124
	v_bfe_u32 v124, v124, 24, 2
	v_and_b32_e32 v126, 0x4040404, v126
	v_sub_u16_e32 v132, v131, v126
	v_sub_u16_sdwa v133, v131, v126 dst_sel:BYTE_1 dst_unused:UNUSED_PAD src0_sel:BYTE_1 src1_sel:BYTE_1
	v_sub_u16_sdwa v124, v124, v126 dst_sel:BYTE_1 dst_unused:UNUSED_PAD src0_sel:DWORD src1_sel:BYTE_3
	v_sub_u16_sdwa v126, v131, v126 dst_sel:DWORD dst_unused:UNUSED_PAD src0_sel:WORD_1 src1_sel:WORD_1
	v_or_b32_sdwa v132, v132, v133 dst_sel:DWORD dst_unused:UNUSED_PAD src0_sel:BYTE_0 src1_sel:DWORD
	v_or_b32_sdwa v124, v126, v124 dst_sel:WORD_1 dst_unused:UNUSED_PAD src0_sel:BYTE_0 src1_sel:DWORD
	v_ashrrev_i32_e32 v126, s3, v127
	v_or_b32_sdwa v131, v132, v124 dst_sel:DWORD dst_unused:UNUSED_PAD src0_sel:WORD_0 src1_sel:DWORD
	v_ashrrev_i32_e32 v124, s21, v125
	v_lshlrev_b32_e32 v126, 2, v126
	v_and_b32_e32 v125, 0x3030303, v124
	v_bfe_u32 v124, v124, 24, 2
	v_and_b32_e32 v126, 0x4040404, v126
	v_sub_u16_e32 v127, v125, v126
	v_sub_u16_sdwa v132, v125, v126 dst_sel:BYTE_1 dst_unused:UNUSED_PAD src0_sel:BYTE_1 src1_sel:BYTE_1
	v_sub_u16_sdwa v124, v124, v126 dst_sel:BYTE_1 dst_unused:UNUSED_PAD src0_sel:DWORD src1_sel:BYTE_3
	v_sub_u16_sdwa v125, v125, v126 dst_sel:DWORD dst_unused:UNUSED_PAD src0_sel:WORD_1 src1_sel:WORD_1
	v_or_b32_sdwa v127, v127, v132 dst_sel:DWORD dst_unused:UNUSED_PAD src0_sel:BYTE_0 src1_sel:DWORD
	v_or_b32_sdwa v124, v125, v124 dst_sel:WORD_1 dst_unused:UNUSED_PAD src0_sel:BYTE_0 src1_sel:DWORD
	v_add_u32_e32 v126, 0x4210, v129
	v_or_b32_sdwa v132, v127, v124 dst_sel:DWORD dst_unused:UNUSED_PAD src0_sel:WORD_0 src1_sel:DWORD
	ds_read2_b32 v[124:125], v123 offset0:4 offset1:5
	ds_read2_b32 v[126:127], v126 offset1:1
	s_waitcnt lgkmcnt(1)
	v_ashrrev_i32_e32 v124, s21, v124
	s_waitcnt lgkmcnt(0)
	v_ashrrev_i32_e32 v126, s3, v126
	v_lshlrev_b32_e32 v126, 2, v126
	v_and_b32_e32 v133, 0x3030303, v124
	v_bfe_u32 v124, v124, 24, 2
	v_and_b32_e32 v126, 0x4040404, v126
	;; [unrolled: 31-line block ×3, first 2 shown]
	v_sub_u16_e32 v129, v124, v126
	v_sub_u16_sdwa v135, v124, v126 dst_sel:BYTE_1 dst_unused:UNUSED_PAD src0_sel:BYTE_1 src1_sel:BYTE_1
	v_sub_u16_sdwa v123, v123, v126 dst_sel:BYTE_1 dst_unused:UNUSED_PAD src0_sel:DWORD src1_sel:BYTE_3
	v_sub_u16_sdwa v124, v124, v126 dst_sel:DWORD dst_unused:UNUSED_PAD src0_sel:WORD_1 src1_sel:WORD_1
	v_ashrrev_i32_e32 v126, s3, v127
	v_or_b32_sdwa v123, v124, v123 dst_sel:WORD_1 dst_unused:UNUSED_PAD src0_sel:BYTE_0 src1_sel:DWORD
	v_ashrrev_i32_e32 v124, s21, v125
	v_lshlrev_b32_e32 v126, 2, v126
	v_or_b32_sdwa v129, v129, v135 dst_sel:DWORD dst_unused:UNUSED_PAD src0_sel:BYTE_0 src1_sel:DWORD
	v_and_b32_e32 v125, 0x3030303, v124
	v_bfe_u32 v124, v124, 24, 2
	v_and_b32_e32 v126, 0x4040404, v126
	v_or_b32_sdwa v123, v129, v123 dst_sel:DWORD dst_unused:UNUSED_PAD src0_sel:WORD_0 src1_sel:DWORD
	v_sub_u16_e32 v127, v125, v126
	v_sub_u16_sdwa v129, v125, v126 dst_sel:BYTE_1 dst_unused:UNUSED_PAD src0_sel:BYTE_1 src1_sel:BYTE_1
	v_sub_u16_sdwa v124, v124, v126 dst_sel:BYTE_1 dst_unused:UNUSED_PAD src0_sel:DWORD src1_sel:BYTE_3
	v_sub_u16_sdwa v125, v125, v126 dst_sel:DWORD dst_unused:UNUSED_PAD src0_sel:WORD_1 src1_sel:WORD_1
	v_or_b32_sdwa v127, v127, v129 dst_sel:DWORD dst_unused:UNUSED_PAD src0_sel:BYTE_0 src1_sel:DWORD
	v_or_b32_sdwa v124, v125, v124 dst_sel:WORD_1 dst_unused:UNUSED_PAD src0_sel:BYTE_0 src1_sel:DWORD
	v_or_b32_sdwa v125, v127, v124 dst_sel:DWORD dst_unused:UNUSED_PAD src0_sel:WORD_0 src1_sel:DWORD
	v_add_u32_e32 v124, s33, v105
	v_add_u32_e32 v126, s35, v75
	ds_read_b32 v126, v126
	ds_read_u16 v124, v124 offset:26354
	v_mov_b32_e32 v127, 0
	v_dot4c_i32_i8_e32 v127, v128, v6
	v_dot4c_i32_i8_e32 v127, v130, v7
	;; [unrolled: 1-line block ×4, first 2 shown]
	s_waitcnt lgkmcnt(0)
	v_lshrrev_b16_e32 v128, 8, v124
	v_bfe_i32 v124, v124, 0, 8
	v_add_lshl_u32 v129, v77, s31, 2
	v_mul_lo_u32 v124, v127, v124
	v_mov_b32_e32 v127, 0
	v_dot4c_i32_i8_e32 v127, v133, v2
	v_dot4c_i32_i8_e32 v127, v134, v3
	;; [unrolled: 1-line block ×4, first 2 shown]
	v_bfe_i32 v123, v128, 0, 8
                                        ; kill: def $vgpr125 killed $sgpr0 killed $exec
	s_nop 1
	v_mad_u64_u32 v[124:125], s[36:37], v127, v123, v[124:125]
	v_cvt_f32_i32_e32 v124, v124
	v_mul_f32_e32 v123, v122, v126
	v_add_u32_e32 v126, 0x4200, v129
	ds_read2_b32 v[126:127], v126 offset1:1
	v_fmac_f32_e32 v92, v123, v124
	v_add_u32_e32 v123, s34, v79
	ds_read2_b32 v[124:125], v123 offset1:1
	s_waitcnt lgkmcnt(1)
	v_ashrrev_i32_e32 v126, s3, v126
	v_lshlrev_b32_e32 v126, 2, v126
	v_and_b32_e32 v126, 0x4040404, v126
	s_waitcnt lgkmcnt(0)
	v_ashrrev_i32_e32 v124, s21, v124
	v_and_b32_e32 v128, 0x3030303, v124
	v_bfe_u32 v124, v124, 24, 2
	v_sub_u16_e32 v130, v128, v126
	v_sub_u16_sdwa v131, v128, v126 dst_sel:BYTE_1 dst_unused:UNUSED_PAD src0_sel:BYTE_1 src1_sel:BYTE_1
	v_sub_u16_sdwa v124, v124, v126 dst_sel:BYTE_1 dst_unused:UNUSED_PAD src0_sel:DWORD src1_sel:BYTE_3
	v_sub_u16_sdwa v126, v128, v126 dst_sel:DWORD dst_unused:UNUSED_PAD src0_sel:WORD_1 src1_sel:WORD_1
	v_or_b32_sdwa v130, v130, v131 dst_sel:DWORD dst_unused:UNUSED_PAD src0_sel:BYTE_0 src1_sel:DWORD
	v_or_b32_sdwa v124, v126, v124 dst_sel:WORD_1 dst_unused:UNUSED_PAD src0_sel:BYTE_0 src1_sel:DWORD
	v_ashrrev_i32_e32 v126, s3, v127
	v_or_b32_sdwa v128, v130, v124 dst_sel:DWORD dst_unused:UNUSED_PAD src0_sel:WORD_0 src1_sel:DWORD
	v_ashrrev_i32_e32 v124, s21, v125
	v_lshlrev_b32_e32 v126, 2, v126
	v_and_b32_e32 v125, 0x3030303, v124
	v_bfe_u32 v124, v124, 24, 2
	v_and_b32_e32 v126, 0x4040404, v126
	v_sub_u16_e32 v127, v125, v126
	v_sub_u16_sdwa v130, v125, v126 dst_sel:BYTE_1 dst_unused:UNUSED_PAD src0_sel:BYTE_1 src1_sel:BYTE_1
	v_sub_u16_sdwa v124, v124, v126 dst_sel:BYTE_1 dst_unused:UNUSED_PAD src0_sel:DWORD src1_sel:BYTE_3
	v_sub_u16_sdwa v125, v125, v126 dst_sel:DWORD dst_unused:UNUSED_PAD src0_sel:WORD_1 src1_sel:WORD_1
	v_or_b32_sdwa v127, v127, v130 dst_sel:DWORD dst_unused:UNUSED_PAD src0_sel:BYTE_0 src1_sel:DWORD
	v_or_b32_sdwa v124, v125, v124 dst_sel:WORD_1 dst_unused:UNUSED_PAD src0_sel:BYTE_0 src1_sel:DWORD
	v_add_u32_e32 v126, 0x4208, v129
	v_or_b32_sdwa v130, v127, v124 dst_sel:DWORD dst_unused:UNUSED_PAD src0_sel:WORD_0 src1_sel:DWORD
	ds_read2_b32 v[124:125], v123 offset0:2 offset1:3
	ds_read2_b32 v[126:127], v126 offset1:1
	s_waitcnt lgkmcnt(1)
	v_ashrrev_i32_e32 v124, s21, v124
	s_waitcnt lgkmcnt(0)
	v_ashrrev_i32_e32 v126, s3, v126
	v_lshlrev_b32_e32 v126, 2, v126
	v_and_b32_e32 v131, 0x3030303, v124
	v_bfe_u32 v124, v124, 24, 2
	v_and_b32_e32 v126, 0x4040404, v126
	v_sub_u16_e32 v132, v131, v126
	v_sub_u16_sdwa v133, v131, v126 dst_sel:BYTE_1 dst_unused:UNUSED_PAD src0_sel:BYTE_1 src1_sel:BYTE_1
	v_sub_u16_sdwa v124, v124, v126 dst_sel:BYTE_1 dst_unused:UNUSED_PAD src0_sel:DWORD src1_sel:BYTE_3
	v_sub_u16_sdwa v126, v131, v126 dst_sel:DWORD dst_unused:UNUSED_PAD src0_sel:WORD_1 src1_sel:WORD_1
	v_or_b32_sdwa v132, v132, v133 dst_sel:DWORD dst_unused:UNUSED_PAD src0_sel:BYTE_0 src1_sel:DWORD
	v_or_b32_sdwa v124, v126, v124 dst_sel:WORD_1 dst_unused:UNUSED_PAD src0_sel:BYTE_0 src1_sel:DWORD
	v_ashrrev_i32_e32 v126, s3, v127
	v_or_b32_sdwa v131, v132, v124 dst_sel:DWORD dst_unused:UNUSED_PAD src0_sel:WORD_0 src1_sel:DWORD
	v_ashrrev_i32_e32 v124, s21, v125
	v_lshlrev_b32_e32 v126, 2, v126
	v_and_b32_e32 v125, 0x3030303, v124
	v_bfe_u32 v124, v124, 24, 2
	v_and_b32_e32 v126, 0x4040404, v126
	v_sub_u16_e32 v127, v125, v126
	v_sub_u16_sdwa v132, v125, v126 dst_sel:BYTE_1 dst_unused:UNUSED_PAD src0_sel:BYTE_1 src1_sel:BYTE_1
	v_sub_u16_sdwa v124, v124, v126 dst_sel:BYTE_1 dst_unused:UNUSED_PAD src0_sel:DWORD src1_sel:BYTE_3
	v_sub_u16_sdwa v125, v125, v126 dst_sel:DWORD dst_unused:UNUSED_PAD src0_sel:WORD_1 src1_sel:WORD_1
	v_or_b32_sdwa v127, v127, v132 dst_sel:DWORD dst_unused:UNUSED_PAD src0_sel:BYTE_0 src1_sel:DWORD
	v_or_b32_sdwa v124, v125, v124 dst_sel:WORD_1 dst_unused:UNUSED_PAD src0_sel:BYTE_0 src1_sel:DWORD
	v_add_u32_e32 v126, 0x4210, v129
	v_or_b32_sdwa v132, v127, v124 dst_sel:DWORD dst_unused:UNUSED_PAD src0_sel:WORD_0 src1_sel:DWORD
	ds_read2_b32 v[124:125], v123 offset0:4 offset1:5
	ds_read2_b32 v[126:127], v126 offset1:1
	s_waitcnt lgkmcnt(1)
	v_ashrrev_i32_e32 v124, s21, v124
	s_waitcnt lgkmcnt(0)
	v_ashrrev_i32_e32 v126, s3, v126
	v_lshlrev_b32_e32 v126, 2, v126
	v_and_b32_e32 v133, 0x3030303, v124
	v_bfe_u32 v124, v124, 24, 2
	v_and_b32_e32 v126, 0x4040404, v126
	;; [unrolled: 31-line block ×3, first 2 shown]
	v_sub_u16_e32 v129, v124, v126
	v_sub_u16_sdwa v135, v124, v126 dst_sel:BYTE_1 dst_unused:UNUSED_PAD src0_sel:BYTE_1 src1_sel:BYTE_1
	v_sub_u16_sdwa v123, v123, v126 dst_sel:BYTE_1 dst_unused:UNUSED_PAD src0_sel:DWORD src1_sel:BYTE_3
	v_sub_u16_sdwa v124, v124, v126 dst_sel:DWORD dst_unused:UNUSED_PAD src0_sel:WORD_1 src1_sel:WORD_1
	v_ashrrev_i32_e32 v126, s3, v127
	v_or_b32_sdwa v123, v124, v123 dst_sel:WORD_1 dst_unused:UNUSED_PAD src0_sel:BYTE_0 src1_sel:DWORD
	v_ashrrev_i32_e32 v124, s21, v125
	v_lshlrev_b32_e32 v126, 2, v126
	v_or_b32_sdwa v129, v129, v135 dst_sel:DWORD dst_unused:UNUSED_PAD src0_sel:BYTE_0 src1_sel:DWORD
	v_and_b32_e32 v125, 0x3030303, v124
	v_bfe_u32 v124, v124, 24, 2
	v_and_b32_e32 v126, 0x4040404, v126
	v_or_b32_sdwa v123, v129, v123 dst_sel:DWORD dst_unused:UNUSED_PAD src0_sel:WORD_0 src1_sel:DWORD
	v_sub_u16_e32 v127, v125, v126
	v_sub_u16_sdwa v129, v125, v126 dst_sel:BYTE_1 dst_unused:UNUSED_PAD src0_sel:BYTE_1 src1_sel:BYTE_1
	v_sub_u16_sdwa v124, v124, v126 dst_sel:BYTE_1 dst_unused:UNUSED_PAD src0_sel:DWORD src1_sel:BYTE_3
	v_sub_u16_sdwa v125, v125, v126 dst_sel:DWORD dst_unused:UNUSED_PAD src0_sel:WORD_1 src1_sel:WORD_1
	v_or_b32_sdwa v127, v127, v129 dst_sel:DWORD dst_unused:UNUSED_PAD src0_sel:BYTE_0 src1_sel:DWORD
	v_or_b32_sdwa v124, v125, v124 dst_sel:WORD_1 dst_unused:UNUSED_PAD src0_sel:BYTE_0 src1_sel:DWORD
	v_or_b32_sdwa v125, v127, v124 dst_sel:DWORD dst_unused:UNUSED_PAD src0_sel:WORD_0 src1_sel:DWORD
	v_add_u32_e32 v124, s33, v104
	v_add_u32_e32 v126, s35, v85
	ds_read_b32 v126, v126
	ds_read_u16 v124, v124 offset:27378
	v_mov_b32_e32 v127, 0
	v_dot4c_i32_i8_e32 v127, v128, v6
	v_dot4c_i32_i8_e32 v127, v130, v7
	;; [unrolled: 1-line block ×4, first 2 shown]
	s_waitcnt lgkmcnt(0)
	v_lshrrev_b16_e32 v128, 8, v124
	v_bfe_i32 v124, v124, 0, 8
	v_add_lshl_u32 v129, v86, s31, 2
	v_mul_lo_u32 v124, v127, v124
	v_mov_b32_e32 v127, 0
	v_dot4c_i32_i8_e32 v127, v133, v2
	v_dot4c_i32_i8_e32 v127, v134, v3
	;; [unrolled: 1-line block ×4, first 2 shown]
	v_bfe_i32 v123, v128, 0, 8
                                        ; kill: def $vgpr125 killed $sgpr0 killed $exec
	s_nop 1
	v_mad_u64_u32 v[124:125], s[36:37], v127, v123, v[124:125]
	v_cvt_f32_i32_e32 v124, v124
	v_mul_f32_e32 v123, v122, v126
	v_add_u32_e32 v126, 0x4200, v129
	ds_read2_b32 v[126:127], v126 offset1:1
	v_fmac_f32_e32 v81, v123, v124
	v_add_u32_e32 v123, s34, v87
	ds_read2_b32 v[124:125], v123 offset1:1
	s_waitcnt lgkmcnt(1)
	v_ashrrev_i32_e32 v126, s3, v126
	v_lshlrev_b32_e32 v126, 2, v126
	v_and_b32_e32 v126, 0x4040404, v126
	s_waitcnt lgkmcnt(0)
	v_ashrrev_i32_e32 v124, s21, v124
	v_and_b32_e32 v128, 0x3030303, v124
	v_bfe_u32 v124, v124, 24, 2
	v_sub_u16_e32 v130, v128, v126
	v_sub_u16_sdwa v131, v128, v126 dst_sel:BYTE_1 dst_unused:UNUSED_PAD src0_sel:BYTE_1 src1_sel:BYTE_1
	v_sub_u16_sdwa v124, v124, v126 dst_sel:BYTE_1 dst_unused:UNUSED_PAD src0_sel:DWORD src1_sel:BYTE_3
	v_sub_u16_sdwa v126, v128, v126 dst_sel:DWORD dst_unused:UNUSED_PAD src0_sel:WORD_1 src1_sel:WORD_1
	v_or_b32_sdwa v130, v130, v131 dst_sel:DWORD dst_unused:UNUSED_PAD src0_sel:BYTE_0 src1_sel:DWORD
	v_or_b32_sdwa v124, v126, v124 dst_sel:WORD_1 dst_unused:UNUSED_PAD src0_sel:BYTE_0 src1_sel:DWORD
	v_ashrrev_i32_e32 v126, s3, v127
	v_or_b32_sdwa v128, v130, v124 dst_sel:DWORD dst_unused:UNUSED_PAD src0_sel:WORD_0 src1_sel:DWORD
	v_ashrrev_i32_e32 v124, s21, v125
	v_lshlrev_b32_e32 v126, 2, v126
	v_and_b32_e32 v125, 0x3030303, v124
	v_bfe_u32 v124, v124, 24, 2
	v_and_b32_e32 v126, 0x4040404, v126
	v_sub_u16_e32 v127, v125, v126
	v_sub_u16_sdwa v130, v125, v126 dst_sel:BYTE_1 dst_unused:UNUSED_PAD src0_sel:BYTE_1 src1_sel:BYTE_1
	v_sub_u16_sdwa v124, v124, v126 dst_sel:BYTE_1 dst_unused:UNUSED_PAD src0_sel:DWORD src1_sel:BYTE_3
	v_sub_u16_sdwa v125, v125, v126 dst_sel:DWORD dst_unused:UNUSED_PAD src0_sel:WORD_1 src1_sel:WORD_1
	v_or_b32_sdwa v127, v127, v130 dst_sel:DWORD dst_unused:UNUSED_PAD src0_sel:BYTE_0 src1_sel:DWORD
	v_or_b32_sdwa v124, v125, v124 dst_sel:WORD_1 dst_unused:UNUSED_PAD src0_sel:BYTE_0 src1_sel:DWORD
	v_add_u32_e32 v126, 0x4208, v129
	v_or_b32_sdwa v130, v127, v124 dst_sel:DWORD dst_unused:UNUSED_PAD src0_sel:WORD_0 src1_sel:DWORD
	ds_read2_b32 v[124:125], v123 offset0:2 offset1:3
	ds_read2_b32 v[126:127], v126 offset1:1
	s_waitcnt lgkmcnt(1)
	v_ashrrev_i32_e32 v124, s21, v124
	s_waitcnt lgkmcnt(0)
	v_ashrrev_i32_e32 v126, s3, v126
	v_lshlrev_b32_e32 v126, 2, v126
	v_and_b32_e32 v131, 0x3030303, v124
	v_bfe_u32 v124, v124, 24, 2
	v_and_b32_e32 v126, 0x4040404, v126
	v_sub_u16_e32 v132, v131, v126
	v_sub_u16_sdwa v133, v131, v126 dst_sel:BYTE_1 dst_unused:UNUSED_PAD src0_sel:BYTE_1 src1_sel:BYTE_1
	v_sub_u16_sdwa v124, v124, v126 dst_sel:BYTE_1 dst_unused:UNUSED_PAD src0_sel:DWORD src1_sel:BYTE_3
	v_sub_u16_sdwa v126, v131, v126 dst_sel:DWORD dst_unused:UNUSED_PAD src0_sel:WORD_1 src1_sel:WORD_1
	v_or_b32_sdwa v132, v132, v133 dst_sel:DWORD dst_unused:UNUSED_PAD src0_sel:BYTE_0 src1_sel:DWORD
	v_or_b32_sdwa v124, v126, v124 dst_sel:WORD_1 dst_unused:UNUSED_PAD src0_sel:BYTE_0 src1_sel:DWORD
	v_ashrrev_i32_e32 v126, s3, v127
	v_or_b32_sdwa v131, v132, v124 dst_sel:DWORD dst_unused:UNUSED_PAD src0_sel:WORD_0 src1_sel:DWORD
	v_ashrrev_i32_e32 v124, s21, v125
	v_lshlrev_b32_e32 v126, 2, v126
	v_and_b32_e32 v125, 0x3030303, v124
	v_bfe_u32 v124, v124, 24, 2
	v_and_b32_e32 v126, 0x4040404, v126
	v_sub_u16_e32 v127, v125, v126
	v_sub_u16_sdwa v132, v125, v126 dst_sel:BYTE_1 dst_unused:UNUSED_PAD src0_sel:BYTE_1 src1_sel:BYTE_1
	v_sub_u16_sdwa v124, v124, v126 dst_sel:BYTE_1 dst_unused:UNUSED_PAD src0_sel:DWORD src1_sel:BYTE_3
	v_sub_u16_sdwa v125, v125, v126 dst_sel:DWORD dst_unused:UNUSED_PAD src0_sel:WORD_1 src1_sel:WORD_1
	v_or_b32_sdwa v127, v127, v132 dst_sel:DWORD dst_unused:UNUSED_PAD src0_sel:BYTE_0 src1_sel:DWORD
	v_or_b32_sdwa v124, v125, v124 dst_sel:WORD_1 dst_unused:UNUSED_PAD src0_sel:BYTE_0 src1_sel:DWORD
	v_add_u32_e32 v126, 0x4210, v129
	v_or_b32_sdwa v132, v127, v124 dst_sel:DWORD dst_unused:UNUSED_PAD src0_sel:WORD_0 src1_sel:DWORD
	ds_read2_b32 v[124:125], v123 offset0:4 offset1:5
	ds_read2_b32 v[126:127], v126 offset1:1
	s_waitcnt lgkmcnt(1)
	v_ashrrev_i32_e32 v124, s21, v124
	s_waitcnt lgkmcnt(0)
	v_ashrrev_i32_e32 v126, s3, v126
	v_lshlrev_b32_e32 v126, 2, v126
	v_and_b32_e32 v133, 0x3030303, v124
	v_bfe_u32 v124, v124, 24, 2
	v_and_b32_e32 v126, 0x4040404, v126
	;; [unrolled: 31-line block ×3, first 2 shown]
	v_sub_u16_e32 v129, v124, v126
	v_sub_u16_sdwa v135, v124, v126 dst_sel:BYTE_1 dst_unused:UNUSED_PAD src0_sel:BYTE_1 src1_sel:BYTE_1
	v_sub_u16_sdwa v123, v123, v126 dst_sel:BYTE_1 dst_unused:UNUSED_PAD src0_sel:DWORD src1_sel:BYTE_3
	v_sub_u16_sdwa v124, v124, v126 dst_sel:DWORD dst_unused:UNUSED_PAD src0_sel:WORD_1 src1_sel:WORD_1
	v_ashrrev_i32_e32 v126, s3, v127
	v_or_b32_sdwa v123, v124, v123 dst_sel:WORD_1 dst_unused:UNUSED_PAD src0_sel:BYTE_0 src1_sel:DWORD
	v_ashrrev_i32_e32 v124, s21, v125
	v_lshlrev_b32_e32 v126, 2, v126
	v_or_b32_sdwa v129, v129, v135 dst_sel:DWORD dst_unused:UNUSED_PAD src0_sel:BYTE_0 src1_sel:DWORD
	v_and_b32_e32 v125, 0x3030303, v124
	v_bfe_u32 v124, v124, 24, 2
	v_and_b32_e32 v126, 0x4040404, v126
	v_or_b32_sdwa v123, v129, v123 dst_sel:DWORD dst_unused:UNUSED_PAD src0_sel:WORD_0 src1_sel:DWORD
	v_sub_u16_e32 v127, v125, v126
	v_sub_u16_sdwa v129, v125, v126 dst_sel:BYTE_1 dst_unused:UNUSED_PAD src0_sel:BYTE_1 src1_sel:BYTE_1
	v_sub_u16_sdwa v124, v124, v126 dst_sel:BYTE_1 dst_unused:UNUSED_PAD src0_sel:DWORD src1_sel:BYTE_3
	v_sub_u16_sdwa v125, v125, v126 dst_sel:DWORD dst_unused:UNUSED_PAD src0_sel:WORD_1 src1_sel:WORD_1
	v_or_b32_sdwa v127, v127, v129 dst_sel:DWORD dst_unused:UNUSED_PAD src0_sel:BYTE_0 src1_sel:DWORD
	v_or_b32_sdwa v124, v125, v124 dst_sel:WORD_1 dst_unused:UNUSED_PAD src0_sel:BYTE_0 src1_sel:DWORD
	v_or_b32_sdwa v124, v127, v124 dst_sel:DWORD dst_unused:UNUSED_PAD src0_sel:WORD_0 src1_sel:DWORD
	v_add_u32_e32 v125, s33, v103
	v_add_u32_e32 v126, s35, v88
	v_mov_b32_e32 v127, 0
	ds_read_b32 v126, v126
	v_dot4c_i32_i8_e32 v127, v128, v6
	ds_read_u16 v6, v125 offset:28402
	v_dot4c_i32_i8_e32 v127, v130, v7
	v_dot4c_i32_i8_e32 v127, v131, v8
	v_mov_b32_e32 v8, 0
	v_dot4c_i32_i8_e32 v8, v133, v2
	v_dot4c_i32_i8_e32 v8, v134, v3
	;; [unrolled: 1-line block ×3, first 2 shown]
	s_waitcnt lgkmcnt(0)
	v_lshrrev_b16_e32 v7, 8, v6
	v_bfe_i32 v6, v6, 0, 8
	v_dot4c_i32_i8_e32 v8, v123, v4
	v_mul_lo_u32 v6, v127, v6
	v_dot4c_i32_i8_e32 v8, v124, v5
	v_bfe_i32 v2, v7, 0, 8
	s_add_i32 s3, s3, 1
	s_cmp_lt_u32 s20, 30
	v_mad_u64_u32 v[2:3], s[34:35], v8, v2, v[6:7]
	v_cvt_f32_i32_e32 v2, v2
	v_mul_f32_e32 v3, v122, v126
	s_mov_b32 s33, s20
	v_fmac_f32_e32 v11, v3, v2
	s_cbranch_scc1 .LBB229_36
; %bb.37:                               ;   in Loop: Header=BB229_5 Depth=1
	s_barrier
	s_branch .LBB229_4
.LBB229_38:
	v_mov_b32_e32 v81, 0
	v_mov_b32_e32 v92, 0
	;; [unrolled: 1-line block ×3, first 2 shown]
.LBB229_39:
	s_mul_i32 s0, s11, s8
	s_waitcnt vmcnt(0)
	v_cmp_gt_i32_e32 vcc, s0, v13
	s_and_saveexec_b64 s[0:1], vcc
	s_cbranch_execz .LBB229_48
; %bb.40:
	v_and_b32_e32 v0, 0x3ff, v0
	v_add_u32_e32 v1, s22, v0
	v_mul_lo_u32 v0, v13, s10
	v_cmp_gt_u32_e32 vcc, s10, v1
	s_and_saveexec_b64 s[0:1], vcc
	s_cbranch_execz .LBB229_42
; %bb.41:
	v_bfe_u32 v2, v15, 16, 1
	s_movk_i32 s2, 0x7fff
	v_add3_u32 v2, v15, v2, s2
	v_lshrrev_b32_e32 v2, 16, v2
	v_mov_b32_e32 v3, 0x7fc0
	v_cmp_o_f32_e32 vcc, v15, v15
	v_cndmask_b32_e32 v4, v3, v2, vcc
	v_add_u32_e32 v2, v0, v1
	v_mov_b32_e32 v3, 0
	v_lshlrev_b64 v[2:3], 1, v[2:3]
	v_mov_b32_e32 v5, s13
	v_add_co_u32_e32 v2, vcc, s12, v2
	v_addc_co_u32_e32 v3, vcc, v5, v3, vcc
	global_store_short v[2:3], v4, off
.LBB229_42:
	s_or_b64 exec, exec, s[0:1]
	v_add_u32_e32 v2, 32, v1
	v_cmp_gt_u32_e32 vcc, s10, v2
	s_and_saveexec_b64 s[0:1], vcc
	s_cbranch_execz .LBB229_44
; %bb.43:
	v_bfe_u32 v3, v92, 16, 1
	s_movk_i32 s2, 0x7fff
	v_add3_u32 v3, v92, v3, s2
	v_lshrrev_b32_e32 v3, 16, v3
	v_mov_b32_e32 v4, 0x7fc0
	v_cmp_o_f32_e32 vcc, v92, v92
	v_cndmask_b32_e32 v4, v4, v3, vcc
	v_add_u32_e32 v2, v0, v2
	v_mov_b32_e32 v3, 0
	v_lshlrev_b64 v[2:3], 1, v[2:3]
	v_mov_b32_e32 v5, s13
	v_add_co_u32_e32 v2, vcc, s12, v2
	v_addc_co_u32_e32 v3, vcc, v5, v3, vcc
	global_store_short v[2:3], v4, off
.LBB229_44:
	s_or_b64 exec, exec, s[0:1]
	v_add_u32_e32 v2, 64, v1
	;; [unrolled: 21-line block ×3, first 2 shown]
	v_cmp_gt_u32_e32 vcc, s10, v1
	s_and_b64 exec, exec, vcc
	s_cbranch_execz .LBB229_48
; %bb.47:
	v_bfe_u32 v2, v11, 16, 1
	s_movk_i32 s0, 0x7fff
	v_add3_u32 v2, v11, v2, s0
	v_add_u32_e32 v0, v0, v1
	v_mov_b32_e32 v1, 0
	v_lshrrev_b32_e32 v2, 16, v2
	v_mov_b32_e32 v3, 0x7fc0
	v_cmp_o_f32_e32 vcc, v11, v11
	v_lshlrev_b64 v[0:1], 1, v[0:1]
	v_cndmask_b32_e32 v2, v3, v2, vcc
	v_mov_b32_e32 v3, s13
	v_add_co_u32_e32 v0, vcc, s12, v0
	v_addc_co_u32_e32 v1, vcc, v3, v1, vcc
	global_store_short v[0:1], v2, off
.LBB229_48:
	s_endpgm
	.section	.rodata,"a",@progbits
	.p2align	6, 0x0
	.amdhsa_kernel _ZL8moe_q3_KIN3c108BFloat16ELb0EEvPKvS3_PT_PKiS7_S7_iiiiiii
		.amdhsa_group_segment_fixed_size 31776
		.amdhsa_private_segment_fixed_size 0
		.amdhsa_kernarg_size 76
		.amdhsa_user_sgpr_count 6
		.amdhsa_user_sgpr_private_segment_buffer 1
		.amdhsa_user_sgpr_dispatch_ptr 0
		.amdhsa_user_sgpr_queue_ptr 0
		.amdhsa_user_sgpr_kernarg_segment_ptr 1
		.amdhsa_user_sgpr_dispatch_id 0
		.amdhsa_user_sgpr_flat_scratch_init 0
		.amdhsa_user_sgpr_kernarg_preload_length 0
		.amdhsa_user_sgpr_kernarg_preload_offset 0
		.amdhsa_user_sgpr_private_segment_size 0
		.amdhsa_uses_dynamic_stack 0
		.amdhsa_system_sgpr_private_segment_wavefront_offset 0
		.amdhsa_system_sgpr_workgroup_id_x 1
		.amdhsa_system_sgpr_workgroup_id_y 1
		.amdhsa_system_sgpr_workgroup_id_z 0
		.amdhsa_system_sgpr_workgroup_info 0
		.amdhsa_system_vgpr_workitem_id 1
		.amdhsa_next_free_vgpr 150
		.amdhsa_next_free_sgpr 40
		.amdhsa_accum_offset 152
		.amdhsa_reserve_vcc 1
		.amdhsa_reserve_flat_scratch 0
		.amdhsa_float_round_mode_32 0
		.amdhsa_float_round_mode_16_64 0
		.amdhsa_float_denorm_mode_32 3
		.amdhsa_float_denorm_mode_16_64 3
		.amdhsa_dx10_clamp 1
		.amdhsa_ieee_mode 1
		.amdhsa_fp16_overflow 0
		.amdhsa_tg_split 0
		.amdhsa_exception_fp_ieee_invalid_op 0
		.amdhsa_exception_fp_denorm_src 0
		.amdhsa_exception_fp_ieee_div_zero 0
		.amdhsa_exception_fp_ieee_overflow 0
		.amdhsa_exception_fp_ieee_underflow 0
		.amdhsa_exception_fp_ieee_inexact 0
		.amdhsa_exception_int_div_zero 0
	.end_amdhsa_kernel
	.section	.text._ZL8moe_q3_KIN3c108BFloat16ELb0EEvPKvS3_PT_PKiS7_S7_iiiiiii,"axG",@progbits,_ZL8moe_q3_KIN3c108BFloat16ELb0EEvPKvS3_PT_PKiS7_S7_iiiiiii,comdat
.Lfunc_end229:
	.size	_ZL8moe_q3_KIN3c108BFloat16ELb0EEvPKvS3_PT_PKiS7_S7_iiiiiii, .Lfunc_end229-_ZL8moe_q3_KIN3c108BFloat16ELb0EEvPKvS3_PT_PKiS7_S7_iiiiiii
                                        ; -- End function
	.section	.AMDGPU.csdata,"",@progbits
; Kernel info:
; codeLenInByte = 20296
; NumSgprs: 44
; NumVgprs: 150
; NumAgprs: 0
; TotalNumVgprs: 150
; ScratchSize: 0
; MemoryBound: 0
; FloatMode: 240
; IeeeMode: 1
; LDSByteSize: 31776 bytes/workgroup (compile time only)
; SGPRBlocks: 5
; VGPRBlocks: 18
; NumSGPRsForWavesPerEU: 44
; NumVGPRsForWavesPerEU: 150
; AccumOffset: 152
; Occupancy: 2
; WaveLimiterHint : 1
; COMPUTE_PGM_RSRC2:SCRATCH_EN: 0
; COMPUTE_PGM_RSRC2:USER_SGPR: 6
; COMPUTE_PGM_RSRC2:TRAP_HANDLER: 0
; COMPUTE_PGM_RSRC2:TGID_X_EN: 1
; COMPUTE_PGM_RSRC2:TGID_Y_EN: 1
; COMPUTE_PGM_RSRC2:TGID_Z_EN: 0
; COMPUTE_PGM_RSRC2:TIDIG_COMP_CNT: 1
; COMPUTE_PGM_RSRC3_GFX90A:ACCUM_OFFSET: 37
; COMPUTE_PGM_RSRC3_GFX90A:TG_SPLIT: 0
	.section	.text._ZL8moe_q3_KIN3c108BFloat16ELb1EEvPKvS3_PT_PKiS7_S7_iiiiiii,"axG",@progbits,_ZL8moe_q3_KIN3c108BFloat16ELb1EEvPKvS3_PT_PKiS7_S7_iiiiiii,comdat
	.globl	_ZL8moe_q3_KIN3c108BFloat16ELb1EEvPKvS3_PT_PKiS7_S7_iiiiiii ; -- Begin function _ZL8moe_q3_KIN3c108BFloat16ELb1EEvPKvS3_PT_PKiS7_S7_iiiiiii
	.p2align	8
	.type	_ZL8moe_q3_KIN3c108BFloat16ELb1EEvPKvS3_PT_PKiS7_S7_iiiiiii,@function
_ZL8moe_q3_KIN3c108BFloat16ELb1EEvPKvS3_PT_PKiS7_S7_iiiiiii: ; @_ZL8moe_q3_KIN3c108BFloat16ELb1EEvPKvS3_PT_PKiS7_S7_iiiiiii
; %bb.0:
	s_load_dwordx4 s[0:3], s[4:5], 0x18
	s_mov_b32 s8, s7
	s_mov_b32 s9, 0
	s_lshl_b64 s[10:11], s[8:9], 2
	s_waitcnt lgkmcnt(0)
	s_add_u32 s2, s2, s10
	s_addc_u32 s3, s3, s11
	s_load_dword s2, s[2:3], 0x0
	s_waitcnt lgkmcnt(0)
	s_cmpk_gt_u32 s2, 0xff
	s_cbranch_scc1 .LBB230_48
; %bb.1:
	s_load_dwordx2 s[10:11], s[4:5], 0x28
	s_lshl_b32 s3, s8, 3
	s_waitcnt lgkmcnt(0)
	s_load_dword s7, s[10:11], 0x0
	s_waitcnt lgkmcnt(0)
	s_cmp_gt_u32 s3, s7
	s_cbranch_scc1 .LBB230_48
; %bb.2:
	v_bfe_u32 v1, v0, 10, 10
	v_add_u32_e32 v10, s3, v1
	v_mov_b32_e32 v11, 0
	v_lshlrev_b64 v[2:3], 2, v[10:11]
	v_mov_b32_e32 v4, s1
	v_add_co_u32_e32 v2, vcc, s0, v2
	v_addc_co_u32_e32 v3, vcc, v4, v3, vcc
	global_load_dword v13, v[2:3], off
	s_load_dwordx8 s[8:15], s[4:5], 0x30
	s_load_dwordx2 s[16:17], s[4:5], 0x10
	s_waitcnt lgkmcnt(0)
	s_lshl_b32 s15, s6, 7
	s_mov_b32 s24, 0
	s_cmpk_lt_i32 s9, 0x100
	s_cbranch_scc1 .LBB230_38
; %bb.3:
	s_ashr_i32 s0, s9, 31
	s_lshr_b32 s0, s0, 24
	s_load_dwordx4 s[4:7], s[4:5], 0x0
	s_add_i32 s0, s9, s0
	s_ashr_i32 s25, s0, 8
	s_ashr_i32 s0, s12, 31
	s_lshr_b32 s0, s0, 27
	s_add_i32 s0, s12, s0
	s_mul_i32 s2, s2, s8
	s_ashr_i32 s12, s0, 5
	s_ashr_i32 s0, s2, 31
	s_waitcnt lgkmcnt(0)
	s_add_u32 s1, s4, s2
	s_mul_i32 s2, s25, s15
	s_addc_u32 s0, s5, s0
	s_mul_hi_i32 s3, s2, 0x6e
	s_mulk_i32 s2, 0x6e
	s_add_u32 s26, s1, s2
	s_addc_u32 s27, s0, s3
	s_not_b32 s1, s15
	s_add_i32 s1, s1, s10
	v_and_b32_e32 v19, 0x3ff, v0
	v_and_b32_e32 v3, 15, v19
	v_min_i32_e32 v4, s1, v1
	v_lshlrev_b32_e32 v2, 2, v19
	s_movk_i32 s0, 0x84
	v_mul_lo_u32 v14, v4, s25
	v_mad_u64_u32 v[16:17], s[2:3], v4, s0, v[2:3]
	v_add_u32_e32 v4, 8, v1
	v_min_i32_e32 v4, s1, v4
	v_mul_lo_u32 v18, v4, s25
	v_mad_u64_u32 v[20:21], s[2:3], v4, s0, v[2:3]
	v_add_u32_e32 v4, 16, v1
	v_min_i32_e32 v4, s1, v4
	v_mul_lo_u32 v22, v4, s25
	v_mad_u64_u32 v[24:25], s[2:3], v4, s0, v[2:3]
	v_add_u32_e32 v4, 24, v1
	v_min_i32_e32 v4, s1, v4
	v_mul_lo_u32 v26, v4, s25
	v_mad_u64_u32 v[28:29], s[2:3], v4, s0, v[2:3]
	v_add_u32_e32 v4, 32, v1
	v_min_i32_e32 v4, s1, v4
	v_mul_lo_u32 v30, v4, s25
	v_mad_u64_u32 v[32:33], s[2:3], v4, s0, v[2:3]
	v_add_u32_e32 v4, 40, v1
	v_min_i32_e32 v4, s1, v4
	v_mul_lo_u32 v34, v4, s25
	v_mad_u64_u32 v[36:37], s[2:3], v4, s0, v[2:3]
	v_add_u32_e32 v4, 48, v1
	v_min_i32_e32 v4, s1, v4
	v_mul_lo_u32 v38, v4, s25
	v_mad_u64_u32 v[40:41], s[2:3], v4, s0, v[2:3]
	v_add_u32_e32 v4, 56, v1
	v_min_i32_e32 v4, s1, v4
	v_mul_lo_u32 v42, v4, s25
	v_mad_u64_u32 v[44:45], s[2:3], v4, s0, v[2:3]
	v_add_u32_e32 v4, 64, v1
	v_min_i32_e32 v4, s1, v4
	v_mul_lo_u32 v46, v4, s25
	v_mad_u64_u32 v[48:49], s[2:3], v4, s0, v[2:3]
	v_add_u32_e32 v4, 0x48, v1
	v_min_i32_e32 v4, s1, v4
	v_mul_lo_u32 v50, v4, s25
	v_mad_u64_u32 v[52:53], s[2:3], v4, s0, v[2:3]
	v_add_u32_e32 v4, 0x50, v1
	v_min_i32_e32 v4, s1, v4
	v_mul_lo_u32 v54, v4, s25
	v_mad_u64_u32 v[56:57], s[2:3], v4, s0, v[2:3]
	v_add_u32_e32 v4, 0x58, v1
	v_min_i32_e32 v4, s1, v4
	v_mul_lo_u32 v58, v4, s25
	v_mad_u64_u32 v[60:61], s[2:3], v4, s0, v[2:3]
	v_add_u32_e32 v4, 0x60, v1
	v_min_i32_e32 v4, s1, v4
	v_mul_lo_u32 v62, v4, s25
	v_mad_u64_u32 v[64:65], s[2:3], v4, s0, v[2:3]
	v_add_u32_e32 v4, 0x68, v1
	v_min_i32_e32 v4, s1, v4
	v_mul_lo_u32 v66, v4, s25
	v_mad_u64_u32 v[68:69], s[2:3], v4, s0, v[2:3]
	v_add_u32_e32 v4, 0x70, v1
	v_min_i32_e32 v4, s1, v4
	v_mul_lo_u32 v70, v4, s25
	v_mad_u64_u32 v[72:73], s[2:3], v4, s0, v[2:3]
	v_add_u32_e32 v4, 0x78, v1
	v_min_i32_e32 v4, s1, v4
	v_mul_lo_u32 v74, v4, s25
	v_mad_u64_u32 v[76:77], s[2:3], v4, s0, v[2:3]
	v_lshlrev_b32_e32 v4, 4, v1
	v_lshrrev_b32_e32 v5, 1, v19
	v_add_u32_e32 v6, v5, v4
	v_and_b32_e32 v6, 0x7f, v6
	v_min_i32_e32 v6, s1, v6
	v_ashrrev_i32_e32 v7, 31, v6
	v_lshrrev_b32_e32 v7, 28, v7
	v_add_u32_e32 v7, v6, v7
	v_and_b32_e32 v78, 1, v19
	v_ashrrev_i32_e32 v7, 4, v7
	v_lshrrev_b32_e32 v10, 4, v19
	v_lshlrev_b32_e32 v7, 2, v7
	v_lshlrev_b32_e32 v8, 2, v78
	s_movk_i32 s2, 0x7380
	v_add3_u32 v7, v7, v8, s2
	v_lshl_add_u32 v8, v1, 1, v10
	v_add_u32_e32 v17, 16, v8
	v_min_i32_e32 v17, s1, v17
	v_lshrrev_b32_e32 v21, 31, v17
	v_mul_lo_u32 v88, v17, s25
	v_add_lshl_u32 v21, v17, v21, 1
	v_lshlrev_b32_e32 v63, 6, v17
	v_add_u32_e32 v17, 32, v8
	v_lshlrev_b32_e32 v12, 2, v3
	s_movk_i32 s3, 0x4200
	v_and_b32_e32 v21, -4, v21
	v_min_i32_e32 v17, s1, v17
	v_add3_u32 v47, v21, v12, s3
	v_lshrrev_b32_e32 v21, 31, v17
	v_mul_lo_u32 v90, v17, s25
	v_add_lshl_u32 v21, v17, v21, 1
	v_lshlrev_b32_e32 v101, 6, v17
	v_add_u32_e32 v17, 48, v8
	v_and_b32_e32 v21, -4, v21
	v_min_i32_e32 v17, s1, v17
	v_add3_u32 v99, v21, v12, s3
	v_lshrrev_b32_e32 v21, 31, v17
	v_mul_lo_u32 v92, v17, s25
	v_add_lshl_u32 v21, v17, v21, 1
	v_lshlrev_b32_e32 v105, 6, v17
	v_add_u32_e32 v17, 64, v8
	;; [unrolled: 8-line block ×4, first 2 shown]
	v_min_i32_e32 v9, s1, v8
	v_and_b32_e32 v21, -4, v21
	v_min_i32_e32 v17, s1, v17
	v_add_u32_e32 v8, 0x70, v8
	v_add3_u32 v111, v21, v12, s3
	v_lshrrev_b32_e32 v21, 31, v17
	v_min_i32_e32 v8, s1, v8
	v_mul_lo_u32 v98, v17, s25
	v_add_lshl_u32 v21, v17, v21, 1
	v_lshlrev_b32_e32 v118, 6, v17
	v_lshrrev_b32_e32 v17, 31, v8
	v_cmp_lt_u32_e32 vcc, 7, v3
	v_and_b32_e32 v3, 7, v19
	v_add_lshl_u32 v17, v8, v17, 1
	v_cndmask_b32_e64 v82, 0, 1, vcc
	v_lshlrev_b32_e32 v84, 2, v3
	v_and_b32_e32 v21, -4, v21
	v_and_b32_e32 v17, -4, v17
	v_cmp_lt_u32_e32 vcc, 3, v3
	v_and_b32_e32 v3, 3, v19
	v_add3_u32 v117, v21, v12, s3
	v_add3_u32 v119, v17, v12, s3
	v_lshlrev_b32_e32 v27, 2, v1
	v_lshrrev_b32_e32 v17, 3, v19
	v_cndmask_b32_e64 v102, 0, 1, vcc
	v_add_u16_e32 v21, -2, v3
	v_cmp_gt_u32_e32 vcc, 2, v3
	v_add_u32_e32 v25, v17, v27
	v_cndmask_b32_e32 v23, v21, v3, vcc
	v_mov_b32_e32 v29, 2
	v_cmp_lt_u32_e32 vcc, 1, v3
	v_lshlrev_b32_sdwa v104, v29, v23 dst_sel:DWORD dst_unused:UNUSED_PAD src0_sel:DWORD src1_sel:BYTE_0
	v_lshlrev_b32_e32 v23, 1, v3
	v_min_i32_e32 v3, s1, v25
	v_lshrrev_b32_e32 v11, 31, v9
	v_ashrrev_i32_e32 v29, 31, v3
	v_add_lshl_u32 v11, v9, v11, 1
	v_lshrrev_b32_e32 v29, 30, v29
	v_and_b32_e32 v11, -4, v11
	v_add_u32_e32 v29, v3, v29
	v_add3_u32 v11, v11, v12, s3
	v_and_b32_e32 v29, -4, v29
	s_movk_i32 s3, 0x6300
	v_add3_u32 v120, v29, v84, s3
	v_add_u32_e32 v29, 32, v25
	v_min_i32_e32 v29, s1, v29
	v_ashrrev_i32_e32 v31, 31, v29
	v_lshrrev_b32_e32 v31, 30, v31
	v_mul_lo_u32 v108, v29, s25
	v_add_u32_e32 v31, v29, v31
	v_lshlrev_b32_e32 v122, 5, v29
	v_add_u32_e32 v29, 64, v25
	v_and_b32_e32 v31, -4, v31
	v_min_i32_e32 v29, s1, v29
	v_add3_u32 v121, v31, v84, s3
	v_ashrrev_i32_e32 v31, 31, v29
	v_add_u32_e32 v25, 0x60, v25
	v_lshrrev_b32_e32 v31, 30, v31
	v_min_i32_e32 v25, s1, v25
	v_mul_lo_u32 v110, v29, s25
	v_add_u32_e32 v31, v29, v31
	v_lshlrev_b32_e32 v124, 5, v29
	v_ashrrev_i32_e32 v29, 31, v25
	v_lshrrev_b32_e32 v29, 30, v29
	v_and_b32_e32 v2, 28, v2
	v_cndmask_b32_e64 v21, 0, 1, vcc
	v_mul_lo_u32 v112, v25, s25
	v_add_u32_e32 v29, v25, v29
	v_lshlrev_b32_e32 v126, 5, v25
	v_and_b32_e32 v25, 31, v19
	v_add_co_u32_e32 v114, vcc, s6, v2
	v_lshlrev_b32_e32 v2, 7, v1
	v_lshl_or_b32 v1, v25, 2, v2
	v_add_u32_e32 v25, 0x77a0, v1
	v_or_b32_e32 v1, v27, v19
	v_mov_b32_e32 v27, 0x7ba0
	v_add_u32_e32 v69, 32, v19
	v_lshl_add_u32 v27, v1, 2, v27
	v_lshrrev_b32_e32 v1, 1, v69
	v_and_b32_e32 v31, -4, v31
	v_lshl_add_u32 v37, v69, 4, v1
	v_mov_b32_e32 v1, 0x1080
	v_add3_u32 v123, v31, v84, s3
	v_lshl_add_u32 v31, v19, 4, v5
	v_lshlrev_b32_e32 v5, 2, v10
	v_lshlrev_b32_e32 v35, 3, v19
	v_mad_u32_u24 v39, v19, s0, v1
	v_lshrrev_b32_e32 v1, 2, v69
	v_add3_u32 v35, v5, v35, s2
	v_and_b32_e32 v1, 0x7c, v1
	v_lshlrev_b32_e32 v5, 3, v69
	v_and_b32_e32 v29, -4, v29
	v_add_u32_e32 v67, 64, v19
	v_add3_u32 v41, v5, v1, s2
	v_mov_b32_e32 v1, 0x2100
	v_add3_u32 v125, v29, v84, s3
	v_mad_u32_u24 v45, v19, s0, v1
	v_lshrrev_b32_e32 v1, 2, v67
	s_abs_i32 s3, s14
	v_and_b32_e32 v1, 0x7c, v1
	v_lshlrev_b32_e32 v5, 3, v67
	v_cvt_f32_u32_e32 v61, s3
	v_add_u32_e32 v65, 0x60, v19
	v_add3_u32 v49, v5, v1, s2
	v_mov_b32_e32 v1, 0x3180
	v_mad_u32_u24 v53, v19, s0, v1
	v_lshrrev_b32_e32 v1, 2, v65
	v_and_b32_e32 v1, 0x7c, v1
	v_lshlrev_b32_e32 v5, 3, v65
	v_add3_u32 v55, v5, v1, s2
	v_rcp_iflag_f32_e32 v1, v61
	s_sub_i32 s0, 0, s3
	s_waitcnt vmcnt(0)
	v_sub_u32_e32 v71, 0, v13
	v_max_i32_e32 v71, v13, v71
	v_mul_f32_e32 v1, 0x4f7ffffe, v1
	v_cvt_u32_f32_e32 v1, v1
	v_xor_b32_e32 v5, s14, v13
	s_add_u32 s4, s6, 0x90
	v_ashrrev_i32_e32 v5, 31, v5
	v_mul_lo_u32 v73, s0, v1
	v_mul_hi_u32 v73, v1, v73
	v_add_u32_e32 v1, v1, v73
	v_mul_hi_u32 v1, v71, v1
	v_mul_lo_u32 v73, v1, s3
	v_sub_u32_e32 v71, v71, v73
	v_add_u32_e32 v73, 1, v1
	v_cmp_le_u32_e64 s[0:1], s3, v71
	v_cndmask_b32_e64 v1, v1, v73, s[0:1]
	v_subrev_u32_e32 v73, s3, v71
	v_cndmask_b32_e64 v71, v71, v73, s[0:1]
	v_add_u32_e32 v73, 1, v1
	v_cmp_le_u32_e64 s[0:1], s3, v71
	v_cndmask_b32_e64 v1, v1, v73, s[0:1]
	s_addc_u32 s5, s7, 0
	v_xor_b32_e32 v1, v1, v5
	s_add_u32 s18, s6, 0x120
	v_mov_b32_e32 v29, s7
	v_lshrrev_b32_e32 v43, 1, v67
	v_lshrrev_b32_e32 v51, 1, v65
	v_sub_u32_e32 v1, v1, v5
	s_addc_u32 s19, s7, 0
	v_mul_lo_u32 v80, v6, s25
	v_lshlrev_b32_e32 v6, 3, v6
	v_mul_lo_u32 v86, v9, s25
	v_lshlrev_b32_e32 v9, 6, v9
	;; [unrolled: 2-line block ×4, first 2 shown]
	v_addc_co_u32_e32 v115, vcc, 0, v29, vcc
	v_lshlrev_b32_e32 v29, 5, v19
	v_lshl_add_u32 v43, v67, 4, v43
	v_lshl_add_u32 v51, v65, 4, v51
	v_lshrrev_b32_e32 v57, 3, v69
	v_lshrrev_b32_e32 v59, 3, v67
	;; [unrolled: 1-line block ×3, first 2 shown]
	v_mul_lo_u32 v116, v1, s12
	s_add_u32 s20, s6, 0x1b0
	v_and_b32_e32 v65, 0x1fc, v65
	v_and_b32_e32 v67, 0x1fc, v67
	;; [unrolled: 1-line block ×4, first 2 shown]
	s_movk_i32 s8, 0x6e
	v_mov_b32_e32 v15, 0
	s_movk_i32 s10, 0x60
	v_lshlrev_b32_e32 v21, 2, v21
	v_cmp_gt_u32_e32 vcc, 4, v19
	v_mul_u32_u24_e32 v33, 0x84, v19
	v_cmp_gt_i32_e64 s[0:1], s11, v1
	v_ashrrev_i32_e32 v1, 31, v116
	s_addc_u32 s21, s7, 0
	v_add_u32_e32 v73, 0x77a0, v2
	v_add_u32_e32 v75, 0x7ba0, v4
	;; [unrolled: 1-line block ×19, first 2 shown]
	s_mov_b32 s28, 0x30303030
	s_movk_i32 s29, 0x3f00
	s_movk_i32 s30, 0xe000
	v_add_u32_e32 v111, v120, v3
	v_add_u32_e32 v113, v121, v122
	;; [unrolled: 1-line block ×4, first 2 shown]
	v_mov_b32_e32 v119, 8
	v_mov_b32_e32 v63, 0
	;; [unrolled: 1-line block ×4, first 2 shown]
	s_branch .LBB230_5
.LBB230_4:                              ;   in Loop: Header=BB230_5 Depth=1
	s_add_i32 s24, s24, 2
	s_cmp_ge_i32 s24, s25
	s_cbranch_scc1 .LBB230_39
.LBB230_5:                              ; =>This Loop Header: Depth=1
                                        ;     Child Loop BB230_12 Depth 2
                                        ;     Child Loop BB230_20 Depth 2
	;; [unrolled: 1-line block ×4, first 2 shown]
	s_mul_i32 s2, s24, 0x6e
	s_mul_hi_u32 s3, s24, 0x6e
	s_add_u32 s2, s26, s2
	s_addc_u32 s3, s27, s3
	v_pk_mov_b32 v[2:3], s[2:3], s[2:3] op_sel:[0,1]
	v_mad_u64_u32 v[4:5], s[2:3], v10, s8, v[2:3]
	v_add_co_u32_e64 v4, s[2:3], v4, v12
	v_addc_co_u32_e64 v5, s[2:3], 0, v5, s[2:3]
	v_add_co_u32_e64 v4, s[2:3], 32, v4
	v_addc_co_u32_e64 v5, s[2:3], 0, v5, s[2:3]
	v_mad_i64_i32 v[6:7], s[2:3], v14, s8, v[4:5]
	v_mad_i64_i32 v[8:9], s[2:3], v18, s8, v[4:5]
	;; [unrolled: 1-line block ×8, first 2 shown]
	global_load_dword v132, v[6:7], off
	global_load_dword v133, v[8:9], off
	;; [unrolled: 1-line block ×8, first 2 shown]
	v_mad_i64_i32 v[6:7], s[2:3], v46, s8, v[4:5]
	v_mad_i64_i32 v[8:9], s[2:3], v50, s8, v[4:5]
	;; [unrolled: 1-line block ×8, first 2 shown]
	global_load_dword v140, v[6:7], off
	global_load_dword v141, v[8:9], off
	;; [unrolled: 1-line block ×8, first 2 shown]
	v_mad_i64_i32 v[4:5], s[2:3], v80, s8, v[2:3]
	v_mad_u64_u32 v[4:5], s[2:3], v78, s8, v[4:5]
	v_mad_u64_u32 v[6:7], s[2:3], v82, s8, v[2:3]
	v_add_co_u32_e64 v6, s[2:3], v6, v84
	v_addc_co_u32_e64 v7, s[2:3], 0, v7, s[2:3]
	v_mad_i64_i32 v[120:121], s[2:3], v88, s8, v[6:7]
	v_mad_i64_i32 v[122:123], s[2:3], v90, s8, v[6:7]
	v_mad_i64_i32 v[124:125], s[2:3], v92, s8, v[6:7]
	v_mad_i64_i32 v[8:9], s[2:3], v86, s8, v[6:7]
	v_mad_i64_i32 v[126:127], s[2:3], v94, s8, v[6:7]
	v_mad_i64_i32 v[128:129], s[2:3], v96, s8, v[6:7]
	v_mad_i64_i32 v[130:131], s[2:3], v98, s8, v[6:7]
	global_load_ushort v148, v[4:5], off offset:108
	global_load_dword v149, v[8:9], off
	s_nop 0
	global_load_dword v120, v[120:121], off
	s_nop 0
	;; [unrolled: 2-line block ×3, first 2 shown]
	global_load_dword v122, v[124:125], off
	global_load_dword v123, v[126:127], off
	s_nop 0
	global_load_dword v124, v[128:129], off
	global_load_dword v125, v[130:131], off
	v_mad_i64_i32 v[4:5], s[2:3], v100, s8, v[6:7]
	v_mad_u64_u32 v[2:3], s[2:3], v102, s8, v[2:3]
	v_add_co_u32_e64 v2, s[2:3], s10, v2
	v_addc_co_u32_e64 v3, s[2:3], 0, v3, s[2:3]
	global_load_dword v126, v[4:5], off
	v_mad_i64_i32 v[4:5], s[2:3], v106, s8, v[2:3]
	v_add_co_u32_e64 v6, s[2:3], v4, v104
	v_addc_co_u32_e64 v7, s[2:3], 0, v5, s[2:3]
	global_load_dword v127, v[6:7], off
	v_mad_i64_i32 v[6:7], s[2:3], v108, s8, v[2:3]
	v_mad_i64_i32 v[8:9], s[2:3], v110, s8, v[2:3]
	;; [unrolled: 1-line block ×3, first 2 shown]
	global_load_dword v128, v[2:3], off offset:8
	global_load_dword v129, v[8:9], off offset:8
	;; [unrolled: 1-line block ×4, first 2 shown]
	v_add_co_u32_e64 v4, s[2:3], v6, v104
	v_addc_co_u32_e64 v5, s[2:3], 0, v7, s[2:3]
	global_load_dword v6, v[4:5], off
	v_add_co_u32_e64 v4, s[2:3], v8, v104
	v_addc_co_u32_e64 v5, s[2:3], 0, v9, s[2:3]
	global_load_dword v4, v[4:5], off
	v_add_co_u32_e64 v2, s[2:3], v2, v104
	s_waitcnt vmcnt(31)
	ds_write_b32 v16, v132
	s_waitcnt vmcnt(30)
	ds_write_b32 v20, v133
	;; [unrolled: 2-line block ×6, first 2 shown]
	v_addc_co_u32_e64 v3, s[2:3], 0, v3, s[2:3]
	global_load_dword v2, v[2:3], off
	s_waitcnt vmcnt(26)
	ds_write_b32 v40, v138
	s_waitcnt vmcnt(25)
	ds_write_b32 v44, v139
	s_waitcnt vmcnt(24)
	ds_write_b32 v48, v140
	s_waitcnt vmcnt(23)
	ds_write_b32 v52, v141
	s_waitcnt vmcnt(22)
	ds_write_b32 v56, v142
	s_waitcnt vmcnt(21)
	ds_write_b32 v60, v143
	s_waitcnt vmcnt(20)
	ds_write_b32 v64, v144
	s_lshl_b32 s33, s24, 8
	s_cmp_lt_i32 s33, s9
	s_waitcnt vmcnt(16)
	v_cvt_f32_f16_e32 v3, v148
	ds_write_b32 v68, v145
	ds_write_b32 v72, v146
	;; [unrolled: 1-line block ×4, first 2 shown]
	s_waitcnt vmcnt(15)
	v_not_b32_e32 v3, v149
	ds_write_b32 v95, v3
	s_waitcnt vmcnt(14)
	v_not_b32_e32 v3, v120
	ds_write_b32 v97, v3
	s_waitcnt vmcnt(13)
	v_not_b32_e32 v3, v121
	ds_write_b32 v99, v3
	s_waitcnt vmcnt(12)
	v_not_b32_e32 v3, v122
	ds_write_b32 v101, v3
	s_waitcnt vmcnt(11)
	v_not_b32_e32 v3, v123
	ds_write_b32 v103, v3
	s_waitcnt vmcnt(10)
	v_not_b32_e32 v3, v124
	ds_write_b32 v105, v3
	s_waitcnt vmcnt(9)
	v_not_b32_e32 v3, v125
	ds_write_b32 v107, v3
	s_waitcnt vmcnt(8)
	v_not_b32_e32 v3, v126
	ds_write_b32 v109, v3
	s_waitcnt vmcnt(7)
	v_ashrrev_i32_e32 v3, v21, v127
	v_and_b32_e32 v3, 0xf0f0f0f, v3
	s_waitcnt vmcnt(3)
	v_ashrrev_i32_e32 v5, v23, v131
	v_lshlrev_b32_e32 v5, 4, v5
	v_and_or_b32 v3, v5, s28, v3
	v_lshlrev_b16_e32 v7, 8, v3
	v_and_b32_e32 v5, 0x3f00, v3
	v_add_u16_e32 v7, 0xe000, v7
	v_or_b32_sdwa v5, v5, v7 dst_sel:DWORD dst_unused:UNUSED_PAD src0_sel:DWORD src1_sel:BYTE_1
	v_and_b32_sdwa v7, v3, s29 dst_sel:DWORD dst_unused:UNUSED_PAD src0_sel:WORD_1 src1_sel:DWORD
	v_lshlrev_b16_sdwa v3, v119, v3 dst_sel:DWORD dst_unused:UNUSED_PAD src0_sel:DWORD src1_sel:WORD_1
	v_add_u16_e32 v3, 0xe000, v3
	v_or_b32_sdwa v3, v7, v3 dst_sel:DWORD dst_unused:UNUSED_PAD src0_sel:DWORD src1_sel:BYTE_1
	v_add_u16_e32 v5, 0xe000, v5
	v_add_u16_sdwa v3, v3, s30 dst_sel:WORD_1 dst_unused:UNUSED_PAD src0_sel:DWORD src1_sel:DWORD
	v_or_b32_e32 v3, v5, v3
	ds_write_b32 v111, v3
	s_waitcnt vmcnt(2)
	v_ashrrev_i32_e32 v3, v21, v6
	v_ashrrev_i32_e32 v5, v23, v130
	v_and_b32_e32 v3, 0xf0f0f0f, v3
	v_lshlrev_b32_e32 v5, 4, v5
	v_and_or_b32 v3, v5, s28, v3
	v_lshlrev_b16_e32 v6, 8, v3
	v_and_b32_e32 v5, 0x3f00, v3
	v_add_u16_e32 v6, 0xe000, v6
	v_or_b32_sdwa v5, v5, v6 dst_sel:DWORD dst_unused:UNUSED_PAD src0_sel:DWORD src1_sel:BYTE_1
	v_and_b32_sdwa v6, v3, s29 dst_sel:DWORD dst_unused:UNUSED_PAD src0_sel:WORD_1 src1_sel:DWORD
	v_lshlrev_b16_sdwa v3, v119, v3 dst_sel:DWORD dst_unused:UNUSED_PAD src0_sel:DWORD src1_sel:WORD_1
	v_add_u16_e32 v3, 0xe000, v3
	v_or_b32_sdwa v3, v6, v3 dst_sel:DWORD dst_unused:UNUSED_PAD src0_sel:DWORD src1_sel:BYTE_1
	v_add_u16_e32 v5, 0xe000, v5
	v_add_u16_sdwa v3, v3, s30 dst_sel:WORD_1 dst_unused:UNUSED_PAD src0_sel:DWORD src1_sel:DWORD
	v_or_b32_e32 v3, v5, v3
	ds_write_b32 v113, v3
	s_waitcnt vmcnt(1)
	v_ashrrev_i32_e32 v3, v21, v4
	v_ashrrev_i32_e32 v4, v23, v129
	v_and_b32_e32 v3, 0xf0f0f0f, v3
	;; [unrolled: 18-line block ×3, first 2 shown]
	v_lshlrev_b32_e32 v3, 4, v3
	v_and_or_b32 v2, v3, s28, v2
	v_lshlrev_b16_e32 v4, 8, v2
	v_and_b32_e32 v3, 0x3f00, v2
	v_add_u16_e32 v4, 0xe000, v4
	v_or_b32_sdwa v3, v3, v4 dst_sel:DWORD dst_unused:UNUSED_PAD src0_sel:DWORD src1_sel:BYTE_1
	v_and_b32_sdwa v4, v2, s29 dst_sel:DWORD dst_unused:UNUSED_PAD src0_sel:WORD_1 src1_sel:DWORD
	v_lshlrev_b16_sdwa v2, v119, v2 dst_sel:DWORD dst_unused:UNUSED_PAD src0_sel:DWORD src1_sel:WORD_1
	v_add_u16_e32 v2, 0xe000, v2
	v_or_b32_sdwa v2, v4, v2 dst_sel:DWORD dst_unused:UNUSED_PAD src0_sel:DWORD src1_sel:BYTE_1
	v_add_u16_e32 v3, 0xe000, v3
	v_add_u16_sdwa v2, v2, s30 dst_sel:WORD_1 dst_unused:UNUSED_PAD src0_sel:DWORD src1_sel:DWORD
	v_or_b32_e32 v2, v3, v2
	ds_write_b32 v118, v2
	s_cbranch_scc0 .LBB230_4
; %bb.6:                                ;   in Loop: Header=BB230_5 Depth=1
	s_lshl_b32 s31, s24, 3
	v_add_u32_e32 v2, s31, v17
	v_cmp_gt_i32_e64 s[2:3], s12, v2
	s_and_b64 s[22:23], s[0:1], s[2:3]
	s_and_saveexec_b64 s[2:3], s[22:23]
	s_cbranch_execz .LBB230_8
; %bb.7:                                ;   in Loop: Header=BB230_5 Depth=1
	v_add_u32_e32 v2, v116, v2
	v_mad_i64_i32 v[2:3], s[22:23], v2, 36, v[114:115]
	global_load_dword v2, v[2:3], off offset:4
	s_waitcnt vmcnt(0)
	ds_write_b32 v25, v2
.LBB230_8:                              ;   in Loop: Header=BB230_5 Depth=1
	s_or_b64 exec, exec, s[2:3]
	s_and_saveexec_b64 s[22:23], vcc
	s_cbranch_execz .LBB230_11
; %bb.9:                                ;   in Loop: Header=BB230_5 Depth=1
	v_or_b32_e32 v2, s31, v19
	v_cmp_gt_i32_e64 s[2:3], s12, v2
	s_and_b64 s[2:3], s[0:1], s[2:3]
	s_and_b64 exec, exec, s[2:3]
	s_cbranch_execz .LBB230_11
; %bb.10:                               ;   in Loop: Header=BB230_5 Depth=1
	v_add_u32_e32 v2, v116, v2
	v_mad_i64_i32 v[2:3], s[2:3], v2, 36, s[6:7]
	global_load_dword v2, v[2:3], off
	s_waitcnt vmcnt(0)
	v_cvt_f32_f16_e32 v2, v2
	ds_write_b32 v27, v2
.LBB230_11:                             ;   in Loop: Header=BB230_5 Depth=1
	s_or_b64 exec, exec, s[22:23]
	s_mov_b32 s22, -2
	s_mov_b32 s2, 0
	v_mov_b32_e32 v120, v75
	v_mov_b32_e32 v121, v73
	s_mov_b32 s3, 0
	s_waitcnt lgkmcnt(0)
	s_barrier
.LBB230_12:                             ;   Parent Loop BB230_5 Depth=1
                                        ; =>  This Inner Loop Header: Depth=2
	s_and_b32 s23, s3, -16
	v_add_u32_e32 v123, s23, v29
	s_add_i32 s23, s22, 2
	s_lshr_b32 s36, s23, 4
	s_and_b32 s35, s23, 0x3ffffff8
	s_lshl_b32 s34, s36, 3
	s_lshl_b32 s35, s35, 2
	v_add_lshl_u32 v130, v31, s34, 2
	v_add_u32_e32 v128, s35, v33
	v_add_u32_e32 v126, 0x4200, v130
	ds_read_b32 v122, v120
	ds_read_b128 v[6:9], v121
	ds_read_b128 v[2:5], v121 offset:16
	ds_read2_b32 v[124:125], v128 offset1:1
	ds_read2_b32 v[126:127], v126 offset1:1
	s_lshl_b32 s36, s36, 2
	s_add_i32 s3, s3, 2
	v_add_u32_e32 v121, 32, v121
	s_waitcnt lgkmcnt(1)
	v_ashrrev_i32_e32 v124, s23, v124
	s_waitcnt lgkmcnt(0)
	v_ashrrev_i32_e32 v126, s2, v126
	v_lshlrev_b32_e32 v126, 2, v126
	v_and_b32_e32 v129, 0x3030303, v124
	v_bfe_u32 v124, v124, 24, 2
	v_and_b32_e32 v126, 0x4040404, v126
	v_sub_u16_e32 v131, v129, v126
	v_sub_u16_sdwa v132, v129, v126 dst_sel:BYTE_1 dst_unused:UNUSED_PAD src0_sel:BYTE_1 src1_sel:BYTE_1
	v_sub_u16_sdwa v124, v124, v126 dst_sel:BYTE_1 dst_unused:UNUSED_PAD src0_sel:DWORD src1_sel:BYTE_3
	v_sub_u16_sdwa v126, v129, v126 dst_sel:DWORD dst_unused:UNUSED_PAD src0_sel:WORD_1 src1_sel:WORD_1
	v_or_b32_sdwa v131, v131, v132 dst_sel:DWORD dst_unused:UNUSED_PAD src0_sel:BYTE_0 src1_sel:DWORD
	v_or_b32_sdwa v124, v126, v124 dst_sel:WORD_1 dst_unused:UNUSED_PAD src0_sel:BYTE_0 src1_sel:DWORD
	v_ashrrev_i32_e32 v126, s2, v127
	v_or_b32_sdwa v129, v131, v124 dst_sel:DWORD dst_unused:UNUSED_PAD src0_sel:WORD_0 src1_sel:DWORD
	v_ashrrev_i32_e32 v124, s23, v125
	v_lshlrev_b32_e32 v126, 2, v126
	v_and_b32_e32 v125, 0x3030303, v124
	v_bfe_u32 v124, v124, 24, 2
	v_and_b32_e32 v126, 0x4040404, v126
	v_sub_u16_e32 v127, v125, v126
	v_sub_u16_sdwa v131, v125, v126 dst_sel:BYTE_1 dst_unused:UNUSED_PAD src0_sel:BYTE_1 src1_sel:BYTE_1
	v_sub_u16_sdwa v124, v124, v126 dst_sel:BYTE_1 dst_unused:UNUSED_PAD src0_sel:DWORD src1_sel:BYTE_3
	v_sub_u16_sdwa v125, v125, v126 dst_sel:DWORD dst_unused:UNUSED_PAD src0_sel:WORD_1 src1_sel:WORD_1
	v_or_b32_sdwa v127, v127, v131 dst_sel:DWORD dst_unused:UNUSED_PAD src0_sel:BYTE_0 src1_sel:DWORD
	v_or_b32_sdwa v124, v125, v124 dst_sel:WORD_1 dst_unused:UNUSED_PAD src0_sel:BYTE_0 src1_sel:DWORD
	v_add_u32_e32 v126, 0x4208, v130
	v_or_b32_sdwa v131, v127, v124 dst_sel:DWORD dst_unused:UNUSED_PAD src0_sel:WORD_0 src1_sel:DWORD
	ds_read2_b32 v[124:125], v128 offset0:2 offset1:3
	ds_read2_b32 v[126:127], v126 offset1:1
	v_add_u32_e32 v120, 4, v120
	s_waitcnt lgkmcnt(1)
	v_ashrrev_i32_e32 v124, s23, v124
	s_waitcnt lgkmcnt(0)
	v_ashrrev_i32_e32 v126, s2, v126
	v_lshlrev_b32_e32 v126, 2, v126
	v_and_b32_e32 v132, 0x3030303, v124
	v_bfe_u32 v124, v124, 24, 2
	v_and_b32_e32 v126, 0x4040404, v126
	v_sub_u16_e32 v133, v132, v126
	v_sub_u16_sdwa v134, v132, v126 dst_sel:BYTE_1 dst_unused:UNUSED_PAD src0_sel:BYTE_1 src1_sel:BYTE_1
	v_sub_u16_sdwa v124, v124, v126 dst_sel:BYTE_1 dst_unused:UNUSED_PAD src0_sel:DWORD src1_sel:BYTE_3
	v_sub_u16_sdwa v126, v132, v126 dst_sel:DWORD dst_unused:UNUSED_PAD src0_sel:WORD_1 src1_sel:WORD_1
	v_or_b32_sdwa v133, v133, v134 dst_sel:DWORD dst_unused:UNUSED_PAD src0_sel:BYTE_0 src1_sel:DWORD
	v_or_b32_sdwa v124, v126, v124 dst_sel:WORD_1 dst_unused:UNUSED_PAD src0_sel:BYTE_0 src1_sel:DWORD
	v_ashrrev_i32_e32 v126, s2, v127
	v_or_b32_sdwa v132, v133, v124 dst_sel:DWORD dst_unused:UNUSED_PAD src0_sel:WORD_0 src1_sel:DWORD
	v_ashrrev_i32_e32 v124, s23, v125
	v_lshlrev_b32_e32 v126, 2, v126
	v_and_b32_e32 v125, 0x3030303, v124
	v_bfe_u32 v124, v124, 24, 2
	v_and_b32_e32 v126, 0x4040404, v126
	v_sub_u16_e32 v127, v125, v126
	v_sub_u16_sdwa v133, v125, v126 dst_sel:BYTE_1 dst_unused:UNUSED_PAD src0_sel:BYTE_1 src1_sel:BYTE_1
	v_sub_u16_sdwa v124, v124, v126 dst_sel:BYTE_1 dst_unused:UNUSED_PAD src0_sel:DWORD src1_sel:BYTE_3
	v_sub_u16_sdwa v125, v125, v126 dst_sel:DWORD dst_unused:UNUSED_PAD src0_sel:WORD_1 src1_sel:WORD_1
	v_or_b32_sdwa v127, v127, v133 dst_sel:DWORD dst_unused:UNUSED_PAD src0_sel:BYTE_0 src1_sel:DWORD
	v_or_b32_sdwa v124, v125, v124 dst_sel:WORD_1 dst_unused:UNUSED_PAD src0_sel:BYTE_0 src1_sel:DWORD
	v_add_u32_e32 v126, 0x4210, v130
	v_or_b32_sdwa v133, v127, v124 dst_sel:DWORD dst_unused:UNUSED_PAD src0_sel:WORD_0 src1_sel:DWORD
	ds_read2_b32 v[124:125], v128 offset0:4 offset1:5
	ds_read2_b32 v[126:127], v126 offset1:1
	s_waitcnt lgkmcnt(1)
	v_ashrrev_i32_e32 v124, s23, v124
	s_waitcnt lgkmcnt(0)
	v_ashrrev_i32_e32 v126, s2, v126
	v_lshlrev_b32_e32 v126, 2, v126
	v_and_b32_e32 v134, 0x3030303, v124
	v_bfe_u32 v124, v124, 24, 2
	v_and_b32_e32 v126, 0x4040404, v126
	v_sub_u16_e32 v135, v134, v126
	v_sub_u16_sdwa v136, v134, v126 dst_sel:BYTE_1 dst_unused:UNUSED_PAD src0_sel:BYTE_1 src1_sel:BYTE_1
	v_sub_u16_sdwa v124, v124, v126 dst_sel:BYTE_1 dst_unused:UNUSED_PAD src0_sel:DWORD src1_sel:BYTE_3
	v_sub_u16_sdwa v126, v134, v126 dst_sel:DWORD dst_unused:UNUSED_PAD src0_sel:WORD_1 src1_sel:WORD_1
	v_or_b32_sdwa v135, v135, v136 dst_sel:DWORD dst_unused:UNUSED_PAD src0_sel:BYTE_0 src1_sel:DWORD
	v_or_b32_sdwa v124, v126, v124 dst_sel:WORD_1 dst_unused:UNUSED_PAD src0_sel:BYTE_0 src1_sel:DWORD
	v_ashrrev_i32_e32 v126, s2, v127
	v_or_b32_sdwa v134, v135, v124 dst_sel:DWORD dst_unused:UNUSED_PAD src0_sel:WORD_0 src1_sel:DWORD
	v_ashrrev_i32_e32 v124, s23, v125
	v_lshlrev_b32_e32 v126, 2, v126
	v_and_b32_e32 v125, 0x3030303, v124
	v_bfe_u32 v124, v124, 24, 2
	v_and_b32_e32 v126, 0x4040404, v126
	v_sub_u16_e32 v127, v125, v126
	v_sub_u16_sdwa v135, v125, v126 dst_sel:BYTE_1 dst_unused:UNUSED_PAD src0_sel:BYTE_1 src1_sel:BYTE_1
	v_sub_u16_sdwa v124, v124, v126 dst_sel:BYTE_1 dst_unused:UNUSED_PAD src0_sel:DWORD src1_sel:BYTE_3
	v_sub_u16_sdwa v125, v125, v126 dst_sel:DWORD dst_unused:UNUSED_PAD src0_sel:WORD_1 src1_sel:WORD_1
	v_or_b32_sdwa v127, v127, v135 dst_sel:DWORD dst_unused:UNUSED_PAD src0_sel:BYTE_0 src1_sel:DWORD
	v_or_b32_sdwa v124, v125, v124 dst_sel:WORD_1 dst_unused:UNUSED_PAD src0_sel:BYTE_0 src1_sel:DWORD
	v_add_u32_e32 v126, 0x4218, v130
	v_or_b32_sdwa v135, v127, v124 dst_sel:DWORD dst_unused:UNUSED_PAD src0_sel:WORD_0 src1_sel:DWORD
	ds_read2_b32 v[124:125], v128 offset0:6 offset1:7
	ds_read2_b32 v[126:127], v126 offset1:1
	s_waitcnt lgkmcnt(1)
	v_ashrrev_i32_e32 v124, s23, v124
	s_waitcnt lgkmcnt(0)
	v_ashrrev_i32_e32 v126, s2, v126
	v_lshlrev_b32_e32 v126, 2, v126
	v_and_b32_e32 v128, 0x3030303, v124
	v_bfe_u32 v124, v124, 24, 2
	v_and_b32_e32 v126, 0x4040404, v126
	v_sub_u16_e32 v130, v128, v126
	v_sub_u16_sdwa v136, v128, v126 dst_sel:BYTE_1 dst_unused:UNUSED_PAD src0_sel:BYTE_1 src1_sel:BYTE_1
	v_sub_u16_sdwa v124, v124, v126 dst_sel:BYTE_1 dst_unused:UNUSED_PAD src0_sel:DWORD src1_sel:BYTE_3
	v_sub_u16_sdwa v126, v128, v126 dst_sel:DWORD dst_unused:UNUSED_PAD src0_sel:WORD_1 src1_sel:WORD_1
	v_or_b32_sdwa v130, v130, v136 dst_sel:DWORD dst_unused:UNUSED_PAD src0_sel:BYTE_0 src1_sel:DWORD
	v_or_b32_sdwa v124, v126, v124 dst_sel:WORD_1 dst_unused:UNUSED_PAD src0_sel:BYTE_0 src1_sel:DWORD
	v_ashrrev_i32_e32 v127, s2, v127
	v_or_b32_sdwa v126, v130, v124 dst_sel:DWORD dst_unused:UNUSED_PAD src0_sel:WORD_0 src1_sel:DWORD
	v_ashrrev_i32_e32 v124, s23, v125
	v_lshlrev_b32_e32 v127, 2, v127
	v_and_b32_e32 v125, 0x3030303, v124
	v_bfe_u32 v124, v124, 24, 2
	v_and_b32_e32 v127, 0x4040404, v127
	v_sub_u16_e32 v128, v125, v127
	v_sub_u16_sdwa v130, v125, v127 dst_sel:BYTE_1 dst_unused:UNUSED_PAD src0_sel:BYTE_1 src1_sel:BYTE_1
	v_sub_u16_sdwa v124, v124, v127 dst_sel:BYTE_1 dst_unused:UNUSED_PAD src0_sel:DWORD src1_sel:BYTE_3
	v_sub_u16_sdwa v125, v125, v127 dst_sel:DWORD dst_unused:UNUSED_PAD src0_sel:WORD_1 src1_sel:WORD_1
	v_or_b32_sdwa v128, v128, v130 dst_sel:DWORD dst_unused:UNUSED_PAD src0_sel:BYTE_0 src1_sel:DWORD
	v_or_b32_sdwa v124, v125, v124 dst_sel:WORD_1 dst_unused:UNUSED_PAD src0_sel:BYTE_0 src1_sel:DWORD
	v_or_b32_sdwa v125, v128, v124 dst_sel:DWORD dst_unused:UNUSED_PAD src0_sel:WORD_0 src1_sel:DWORD
	v_add3_u32 v124, v71, s22, v123
	v_add_u32_e32 v127, s36, v35
	ds_read_b32 v127, v127
	ds_read_u16 v124, v124 offset:25346
	v_mov_b32_e32 v128, 0
	v_dot4c_i32_i8_e32 v128, v129, v6
	v_dot4c_i32_i8_e32 v128, v131, v7
	;; [unrolled: 1-line block ×4, first 2 shown]
	s_waitcnt lgkmcnt(0)
	v_lshrrev_b16_e32 v129, 8, v124
	v_bfe_i32 v124, v124, 0, 8
	v_add_lshl_u32 v130, v37, s34, 2
	v_mul_lo_u32 v124, v128, v124
	v_mov_b32_e32 v128, 0
	v_dot4c_i32_i8_e32 v128, v134, v2
	v_dot4c_i32_i8_e32 v128, v135, v3
	;; [unrolled: 1-line block ×4, first 2 shown]
	v_bfe_i32 v125, v129, 0, 8
	v_add_u32_e32 v126, 0x4200, v130
	s_nop 0
	v_mad_u64_u32 v[124:125], s[38:39], v128, v125, v[124:125]
	v_cvt_f32_i32_e32 v124, v124
	v_mul_f32_e32 v125, v122, v127
	v_add_u32_e32 v128, s35, v39
	ds_read2_b32 v[126:127], v126 offset1:1
	v_fmac_f32_e32 v15, v125, v124
	ds_read2_b32 v[124:125], v128 offset1:1
	s_waitcnt lgkmcnt(1)
	v_ashrrev_i32_e32 v126, s2, v126
	v_lshlrev_b32_e32 v126, 2, v126
	s_waitcnt lgkmcnt(0)
	v_ashrrev_i32_e32 v124, s23, v124
	v_and_b32_e32 v129, 0x3030303, v124
	v_bfe_u32 v124, v124, 24, 2
	v_and_b32_e32 v126, 0x4040404, v126
	v_sub_u16_e32 v131, v129, v126
	v_sub_u16_sdwa v132, v129, v126 dst_sel:BYTE_1 dst_unused:UNUSED_PAD src0_sel:BYTE_1 src1_sel:BYTE_1
	v_sub_u16_sdwa v124, v124, v126 dst_sel:BYTE_1 dst_unused:UNUSED_PAD src0_sel:DWORD src1_sel:BYTE_3
	v_sub_u16_sdwa v126, v129, v126 dst_sel:DWORD dst_unused:UNUSED_PAD src0_sel:WORD_1 src1_sel:WORD_1
	v_or_b32_sdwa v131, v131, v132 dst_sel:DWORD dst_unused:UNUSED_PAD src0_sel:BYTE_0 src1_sel:DWORD
	v_or_b32_sdwa v124, v126, v124 dst_sel:WORD_1 dst_unused:UNUSED_PAD src0_sel:BYTE_0 src1_sel:DWORD
	v_ashrrev_i32_e32 v126, s2, v127
	v_or_b32_sdwa v129, v131, v124 dst_sel:DWORD dst_unused:UNUSED_PAD src0_sel:WORD_0 src1_sel:DWORD
	v_ashrrev_i32_e32 v124, s23, v125
	v_lshlrev_b32_e32 v126, 2, v126
	v_and_b32_e32 v125, 0x3030303, v124
	v_bfe_u32 v124, v124, 24, 2
	v_and_b32_e32 v126, 0x4040404, v126
	v_sub_u16_e32 v127, v125, v126
	v_sub_u16_sdwa v131, v125, v126 dst_sel:BYTE_1 dst_unused:UNUSED_PAD src0_sel:BYTE_1 src1_sel:BYTE_1
	v_sub_u16_sdwa v124, v124, v126 dst_sel:BYTE_1 dst_unused:UNUSED_PAD src0_sel:DWORD src1_sel:BYTE_3
	v_sub_u16_sdwa v125, v125, v126 dst_sel:DWORD dst_unused:UNUSED_PAD src0_sel:WORD_1 src1_sel:WORD_1
	v_or_b32_sdwa v127, v127, v131 dst_sel:DWORD dst_unused:UNUSED_PAD src0_sel:BYTE_0 src1_sel:DWORD
	v_or_b32_sdwa v124, v125, v124 dst_sel:WORD_1 dst_unused:UNUSED_PAD src0_sel:BYTE_0 src1_sel:DWORD
	v_add_u32_e32 v126, 0x4208, v130
	v_or_b32_sdwa v131, v127, v124 dst_sel:DWORD dst_unused:UNUSED_PAD src0_sel:WORD_0 src1_sel:DWORD
	ds_read2_b32 v[124:125], v128 offset0:2 offset1:3
	ds_read2_b32 v[126:127], v126 offset1:1
	s_waitcnt lgkmcnt(1)
	v_ashrrev_i32_e32 v124, s23, v124
	s_waitcnt lgkmcnt(0)
	v_ashrrev_i32_e32 v126, s2, v126
	v_lshlrev_b32_e32 v126, 2, v126
	v_and_b32_e32 v132, 0x3030303, v124
	v_bfe_u32 v124, v124, 24, 2
	v_and_b32_e32 v126, 0x4040404, v126
	v_sub_u16_e32 v133, v132, v126
	v_sub_u16_sdwa v134, v132, v126 dst_sel:BYTE_1 dst_unused:UNUSED_PAD src0_sel:BYTE_1 src1_sel:BYTE_1
	v_sub_u16_sdwa v124, v124, v126 dst_sel:BYTE_1 dst_unused:UNUSED_PAD src0_sel:DWORD src1_sel:BYTE_3
	v_sub_u16_sdwa v126, v132, v126 dst_sel:DWORD dst_unused:UNUSED_PAD src0_sel:WORD_1 src1_sel:WORD_1
	v_or_b32_sdwa v133, v133, v134 dst_sel:DWORD dst_unused:UNUSED_PAD src0_sel:BYTE_0 src1_sel:DWORD
	v_or_b32_sdwa v124, v126, v124 dst_sel:WORD_1 dst_unused:UNUSED_PAD src0_sel:BYTE_0 src1_sel:DWORD
	v_ashrrev_i32_e32 v126, s2, v127
	v_or_b32_sdwa v132, v133, v124 dst_sel:DWORD dst_unused:UNUSED_PAD src0_sel:WORD_0 src1_sel:DWORD
	v_ashrrev_i32_e32 v124, s23, v125
	v_lshlrev_b32_e32 v126, 2, v126
	v_and_b32_e32 v125, 0x3030303, v124
	v_bfe_u32 v124, v124, 24, 2
	v_and_b32_e32 v126, 0x4040404, v126
	v_sub_u16_e32 v127, v125, v126
	v_sub_u16_sdwa v133, v125, v126 dst_sel:BYTE_1 dst_unused:UNUSED_PAD src0_sel:BYTE_1 src1_sel:BYTE_1
	v_sub_u16_sdwa v124, v124, v126 dst_sel:BYTE_1 dst_unused:UNUSED_PAD src0_sel:DWORD src1_sel:BYTE_3
	v_sub_u16_sdwa v125, v125, v126 dst_sel:DWORD dst_unused:UNUSED_PAD src0_sel:WORD_1 src1_sel:WORD_1
	v_or_b32_sdwa v127, v127, v133 dst_sel:DWORD dst_unused:UNUSED_PAD src0_sel:BYTE_0 src1_sel:DWORD
	v_or_b32_sdwa v124, v125, v124 dst_sel:WORD_1 dst_unused:UNUSED_PAD src0_sel:BYTE_0 src1_sel:DWORD
	v_add_u32_e32 v126, 0x4210, v130
	v_or_b32_sdwa v133, v127, v124 dst_sel:DWORD dst_unused:UNUSED_PAD src0_sel:WORD_0 src1_sel:DWORD
	ds_read2_b32 v[124:125], v128 offset0:4 offset1:5
	ds_read2_b32 v[126:127], v126 offset1:1
	s_waitcnt lgkmcnt(1)
	v_ashrrev_i32_e32 v124, s23, v124
	s_waitcnt lgkmcnt(0)
	v_ashrrev_i32_e32 v126, s2, v126
	v_lshlrev_b32_e32 v126, 2, v126
	;; [unrolled: 31-line block ×3, first 2 shown]
	v_and_b32_e32 v128, 0x3030303, v124
	v_bfe_u32 v124, v124, 24, 2
	v_and_b32_e32 v126, 0x4040404, v126
	v_sub_u16_e32 v130, v128, v126
	v_sub_u16_sdwa v136, v128, v126 dst_sel:BYTE_1 dst_unused:UNUSED_PAD src0_sel:BYTE_1 src1_sel:BYTE_1
	v_sub_u16_sdwa v124, v124, v126 dst_sel:BYTE_1 dst_unused:UNUSED_PAD src0_sel:DWORD src1_sel:BYTE_3
	v_sub_u16_sdwa v126, v128, v126 dst_sel:DWORD dst_unused:UNUSED_PAD src0_sel:WORD_1 src1_sel:WORD_1
	v_or_b32_sdwa v130, v130, v136 dst_sel:DWORD dst_unused:UNUSED_PAD src0_sel:BYTE_0 src1_sel:DWORD
	v_or_b32_sdwa v124, v126, v124 dst_sel:WORD_1 dst_unused:UNUSED_PAD src0_sel:BYTE_0 src1_sel:DWORD
	v_ashrrev_i32_e32 v127, s2, v127
	v_or_b32_sdwa v126, v130, v124 dst_sel:DWORD dst_unused:UNUSED_PAD src0_sel:WORD_0 src1_sel:DWORD
	v_ashrrev_i32_e32 v124, s23, v125
	v_lshlrev_b32_e32 v127, 2, v127
	v_and_b32_e32 v125, 0x3030303, v124
	v_bfe_u32 v124, v124, 24, 2
	v_and_b32_e32 v127, 0x4040404, v127
	v_sub_u16_e32 v128, v125, v127
	v_sub_u16_sdwa v130, v125, v127 dst_sel:BYTE_1 dst_unused:UNUSED_PAD src0_sel:BYTE_1 src1_sel:BYTE_1
	v_sub_u16_sdwa v124, v124, v127 dst_sel:BYTE_1 dst_unused:UNUSED_PAD src0_sel:DWORD src1_sel:BYTE_3
	v_sub_u16_sdwa v125, v125, v127 dst_sel:DWORD dst_unused:UNUSED_PAD src0_sel:WORD_1 src1_sel:WORD_1
	v_or_b32_sdwa v128, v128, v130 dst_sel:DWORD dst_unused:UNUSED_PAD src0_sel:BYTE_0 src1_sel:DWORD
	v_or_b32_sdwa v124, v125, v124 dst_sel:WORD_1 dst_unused:UNUSED_PAD src0_sel:BYTE_0 src1_sel:DWORD
	v_or_b32_sdwa v125, v128, v124 dst_sel:DWORD dst_unused:UNUSED_PAD src0_sel:WORD_0 src1_sel:DWORD
	v_add3_u32 v124, v69, s22, v123
	v_add_u32_e32 v127, s36, v41
	ds_read_b32 v127, v127
	ds_read_u16 v124, v124 offset:26370
	v_mov_b32_e32 v128, 0
	v_dot4c_i32_i8_e32 v128, v129, v6
	v_dot4c_i32_i8_e32 v128, v131, v7
	;; [unrolled: 1-line block ×4, first 2 shown]
	s_waitcnt lgkmcnt(0)
	v_lshrrev_b16_e32 v129, 8, v124
	v_bfe_i32 v124, v124, 0, 8
	v_add_lshl_u32 v130, v43, s34, 2
	v_mul_lo_u32 v124, v128, v124
	v_mov_b32_e32 v128, 0
	v_dot4c_i32_i8_e32 v128, v134, v2
	v_dot4c_i32_i8_e32 v128, v135, v3
	v_dot4c_i32_i8_e32 v128, v126, v4
	v_dot4c_i32_i8_e32 v128, v125, v5
	v_bfe_i32 v125, v129, 0, 8
	v_add_u32_e32 v126, 0x4200, v130
	s_nop 0
	v_mad_u64_u32 v[124:125], s[38:39], v128, v125, v[124:125]
	v_cvt_f32_i32_e32 v124, v124
	v_mul_f32_e32 v125, v122, v127
	v_add_u32_e32 v128, s35, v45
	ds_read2_b32 v[126:127], v126 offset1:1
	v_fmac_f32_e32 v63, v125, v124
	ds_read2_b32 v[124:125], v128 offset1:1
	s_waitcnt lgkmcnt(1)
	v_ashrrev_i32_e32 v126, s2, v126
	v_lshlrev_b32_e32 v126, 2, v126
	s_waitcnt lgkmcnt(0)
	v_ashrrev_i32_e32 v124, s23, v124
	v_and_b32_e32 v129, 0x3030303, v124
	v_bfe_u32 v124, v124, 24, 2
	v_and_b32_e32 v126, 0x4040404, v126
	v_sub_u16_e32 v131, v129, v126
	v_sub_u16_sdwa v132, v129, v126 dst_sel:BYTE_1 dst_unused:UNUSED_PAD src0_sel:BYTE_1 src1_sel:BYTE_1
	v_sub_u16_sdwa v124, v124, v126 dst_sel:BYTE_1 dst_unused:UNUSED_PAD src0_sel:DWORD src1_sel:BYTE_3
	v_sub_u16_sdwa v126, v129, v126 dst_sel:DWORD dst_unused:UNUSED_PAD src0_sel:WORD_1 src1_sel:WORD_1
	v_or_b32_sdwa v131, v131, v132 dst_sel:DWORD dst_unused:UNUSED_PAD src0_sel:BYTE_0 src1_sel:DWORD
	v_or_b32_sdwa v124, v126, v124 dst_sel:WORD_1 dst_unused:UNUSED_PAD src0_sel:BYTE_0 src1_sel:DWORD
	v_ashrrev_i32_e32 v126, s2, v127
	v_or_b32_sdwa v129, v131, v124 dst_sel:DWORD dst_unused:UNUSED_PAD src0_sel:WORD_0 src1_sel:DWORD
	v_ashrrev_i32_e32 v124, s23, v125
	v_lshlrev_b32_e32 v126, 2, v126
	v_and_b32_e32 v125, 0x3030303, v124
	v_bfe_u32 v124, v124, 24, 2
	v_and_b32_e32 v126, 0x4040404, v126
	v_sub_u16_e32 v127, v125, v126
	v_sub_u16_sdwa v131, v125, v126 dst_sel:BYTE_1 dst_unused:UNUSED_PAD src0_sel:BYTE_1 src1_sel:BYTE_1
	v_sub_u16_sdwa v124, v124, v126 dst_sel:BYTE_1 dst_unused:UNUSED_PAD src0_sel:DWORD src1_sel:BYTE_3
	v_sub_u16_sdwa v125, v125, v126 dst_sel:DWORD dst_unused:UNUSED_PAD src0_sel:WORD_1 src1_sel:WORD_1
	v_or_b32_sdwa v127, v127, v131 dst_sel:DWORD dst_unused:UNUSED_PAD src0_sel:BYTE_0 src1_sel:DWORD
	v_or_b32_sdwa v124, v125, v124 dst_sel:WORD_1 dst_unused:UNUSED_PAD src0_sel:BYTE_0 src1_sel:DWORD
	v_add_u32_e32 v126, 0x4208, v130
	v_or_b32_sdwa v131, v127, v124 dst_sel:DWORD dst_unused:UNUSED_PAD src0_sel:WORD_0 src1_sel:DWORD
	ds_read2_b32 v[124:125], v128 offset0:2 offset1:3
	ds_read2_b32 v[126:127], v126 offset1:1
	s_waitcnt lgkmcnt(1)
	v_ashrrev_i32_e32 v124, s23, v124
	s_waitcnt lgkmcnt(0)
	v_ashrrev_i32_e32 v126, s2, v126
	v_lshlrev_b32_e32 v126, 2, v126
	v_and_b32_e32 v132, 0x3030303, v124
	v_bfe_u32 v124, v124, 24, 2
	v_and_b32_e32 v126, 0x4040404, v126
	v_sub_u16_e32 v133, v132, v126
	v_sub_u16_sdwa v134, v132, v126 dst_sel:BYTE_1 dst_unused:UNUSED_PAD src0_sel:BYTE_1 src1_sel:BYTE_1
	v_sub_u16_sdwa v124, v124, v126 dst_sel:BYTE_1 dst_unused:UNUSED_PAD src0_sel:DWORD src1_sel:BYTE_3
	v_sub_u16_sdwa v126, v132, v126 dst_sel:DWORD dst_unused:UNUSED_PAD src0_sel:WORD_1 src1_sel:WORD_1
	v_or_b32_sdwa v133, v133, v134 dst_sel:DWORD dst_unused:UNUSED_PAD src0_sel:BYTE_0 src1_sel:DWORD
	v_or_b32_sdwa v124, v126, v124 dst_sel:WORD_1 dst_unused:UNUSED_PAD src0_sel:BYTE_0 src1_sel:DWORD
	v_ashrrev_i32_e32 v126, s2, v127
	v_or_b32_sdwa v132, v133, v124 dst_sel:DWORD dst_unused:UNUSED_PAD src0_sel:WORD_0 src1_sel:DWORD
	v_ashrrev_i32_e32 v124, s23, v125
	v_lshlrev_b32_e32 v126, 2, v126
	v_and_b32_e32 v125, 0x3030303, v124
	v_bfe_u32 v124, v124, 24, 2
	v_and_b32_e32 v126, 0x4040404, v126
	v_sub_u16_e32 v127, v125, v126
	v_sub_u16_sdwa v133, v125, v126 dst_sel:BYTE_1 dst_unused:UNUSED_PAD src0_sel:BYTE_1 src1_sel:BYTE_1
	v_sub_u16_sdwa v124, v124, v126 dst_sel:BYTE_1 dst_unused:UNUSED_PAD src0_sel:DWORD src1_sel:BYTE_3
	v_sub_u16_sdwa v125, v125, v126 dst_sel:DWORD dst_unused:UNUSED_PAD src0_sel:WORD_1 src1_sel:WORD_1
	v_or_b32_sdwa v127, v127, v133 dst_sel:DWORD dst_unused:UNUSED_PAD src0_sel:BYTE_0 src1_sel:DWORD
	v_or_b32_sdwa v124, v125, v124 dst_sel:WORD_1 dst_unused:UNUSED_PAD src0_sel:BYTE_0 src1_sel:DWORD
	v_add_u32_e32 v126, 0x4210, v130
	v_or_b32_sdwa v133, v127, v124 dst_sel:DWORD dst_unused:UNUSED_PAD src0_sel:WORD_0 src1_sel:DWORD
	ds_read2_b32 v[124:125], v128 offset0:4 offset1:5
	ds_read2_b32 v[126:127], v126 offset1:1
	s_waitcnt lgkmcnt(1)
	v_ashrrev_i32_e32 v124, s23, v124
	s_waitcnt lgkmcnt(0)
	v_ashrrev_i32_e32 v126, s2, v126
	v_lshlrev_b32_e32 v126, 2, v126
	;; [unrolled: 31-line block ×3, first 2 shown]
	v_and_b32_e32 v128, 0x3030303, v124
	v_bfe_u32 v124, v124, 24, 2
	v_and_b32_e32 v126, 0x4040404, v126
	v_sub_u16_e32 v130, v128, v126
	v_sub_u16_sdwa v136, v128, v126 dst_sel:BYTE_1 dst_unused:UNUSED_PAD src0_sel:BYTE_1 src1_sel:BYTE_1
	v_sub_u16_sdwa v124, v124, v126 dst_sel:BYTE_1 dst_unused:UNUSED_PAD src0_sel:DWORD src1_sel:BYTE_3
	v_sub_u16_sdwa v126, v128, v126 dst_sel:DWORD dst_unused:UNUSED_PAD src0_sel:WORD_1 src1_sel:WORD_1
	v_or_b32_sdwa v130, v130, v136 dst_sel:DWORD dst_unused:UNUSED_PAD src0_sel:BYTE_0 src1_sel:DWORD
	v_or_b32_sdwa v124, v126, v124 dst_sel:WORD_1 dst_unused:UNUSED_PAD src0_sel:BYTE_0 src1_sel:DWORD
	v_ashrrev_i32_e32 v127, s2, v127
	v_or_b32_sdwa v126, v130, v124 dst_sel:DWORD dst_unused:UNUSED_PAD src0_sel:WORD_0 src1_sel:DWORD
	v_ashrrev_i32_e32 v124, s23, v125
	v_lshlrev_b32_e32 v127, 2, v127
	v_and_b32_e32 v125, 0x3030303, v124
	v_bfe_u32 v124, v124, 24, 2
	v_and_b32_e32 v127, 0x4040404, v127
	v_sub_u16_e32 v128, v125, v127
	v_sub_u16_sdwa v130, v125, v127 dst_sel:BYTE_1 dst_unused:UNUSED_PAD src0_sel:BYTE_1 src1_sel:BYTE_1
	v_sub_u16_sdwa v124, v124, v127 dst_sel:BYTE_1 dst_unused:UNUSED_PAD src0_sel:DWORD src1_sel:BYTE_3
	v_sub_u16_sdwa v125, v125, v127 dst_sel:DWORD dst_unused:UNUSED_PAD src0_sel:WORD_1 src1_sel:WORD_1
	v_or_b32_sdwa v128, v128, v130 dst_sel:DWORD dst_unused:UNUSED_PAD src0_sel:BYTE_0 src1_sel:DWORD
	v_or_b32_sdwa v124, v125, v124 dst_sel:WORD_1 dst_unused:UNUSED_PAD src0_sel:BYTE_0 src1_sel:DWORD
	v_or_b32_sdwa v125, v128, v124 dst_sel:DWORD dst_unused:UNUSED_PAD src0_sel:WORD_0 src1_sel:DWORD
	v_add3_u32 v124, v67, s22, v123
	v_add_u32_e32 v127, s36, v49
	ds_read_b32 v127, v127
	ds_read_u16 v124, v124 offset:27394
	v_mov_b32_e32 v128, 0
	v_dot4c_i32_i8_e32 v128, v129, v6
	v_dot4c_i32_i8_e32 v128, v131, v7
	;; [unrolled: 1-line block ×4, first 2 shown]
	s_waitcnt lgkmcnt(0)
	v_lshrrev_b16_e32 v129, 8, v124
	v_bfe_i32 v124, v124, 0, 8
	v_add_lshl_u32 v130, v51, s34, 2
	v_mul_lo_u32 v124, v128, v124
	v_mov_b32_e32 v128, 0
	v_dot4c_i32_i8_e32 v128, v134, v2
	v_dot4c_i32_i8_e32 v128, v135, v3
	;; [unrolled: 1-line block ×4, first 2 shown]
	v_bfe_i32 v125, v129, 0, 8
	v_add_u32_e32 v126, 0x4200, v130
	v_add3_u32 v123, v65, s22, v123
	v_mad_u64_u32 v[124:125], s[38:39], v128, v125, v[124:125]
	v_cvt_f32_i32_e32 v124, v124
	v_mul_f32_e32 v125, v122, v127
	v_add_u32_e32 v128, s35, v53
	ds_read2_b32 v[126:127], v126 offset1:1
	v_fmac_f32_e32 v47, v125, v124
	ds_read2_b32 v[124:125], v128 offset1:1
	s_mov_b32 s22, s23
	s_waitcnt lgkmcnt(1)
	v_ashrrev_i32_e32 v126, s2, v126
	v_lshlrev_b32_e32 v126, 2, v126
	s_waitcnt lgkmcnt(0)
	v_ashrrev_i32_e32 v124, s23, v124
	v_and_b32_e32 v129, 0x3030303, v124
	v_bfe_u32 v124, v124, 24, 2
	v_and_b32_e32 v126, 0x4040404, v126
	v_sub_u16_e32 v131, v129, v126
	v_sub_u16_sdwa v132, v129, v126 dst_sel:BYTE_1 dst_unused:UNUSED_PAD src0_sel:BYTE_1 src1_sel:BYTE_1
	v_sub_u16_sdwa v124, v124, v126 dst_sel:BYTE_1 dst_unused:UNUSED_PAD src0_sel:DWORD src1_sel:BYTE_3
	v_sub_u16_sdwa v126, v129, v126 dst_sel:DWORD dst_unused:UNUSED_PAD src0_sel:WORD_1 src1_sel:WORD_1
	v_or_b32_sdwa v131, v131, v132 dst_sel:DWORD dst_unused:UNUSED_PAD src0_sel:BYTE_0 src1_sel:DWORD
	v_or_b32_sdwa v124, v126, v124 dst_sel:WORD_1 dst_unused:UNUSED_PAD src0_sel:BYTE_0 src1_sel:DWORD
	v_ashrrev_i32_e32 v126, s2, v127
	v_or_b32_sdwa v129, v131, v124 dst_sel:DWORD dst_unused:UNUSED_PAD src0_sel:WORD_0 src1_sel:DWORD
	v_ashrrev_i32_e32 v124, s23, v125
	v_lshlrev_b32_e32 v126, 2, v126
	v_and_b32_e32 v125, 0x3030303, v124
	v_bfe_u32 v124, v124, 24, 2
	v_and_b32_e32 v126, 0x4040404, v126
	v_sub_u16_e32 v127, v125, v126
	v_sub_u16_sdwa v131, v125, v126 dst_sel:BYTE_1 dst_unused:UNUSED_PAD src0_sel:BYTE_1 src1_sel:BYTE_1
	v_sub_u16_sdwa v124, v124, v126 dst_sel:BYTE_1 dst_unused:UNUSED_PAD src0_sel:DWORD src1_sel:BYTE_3
	v_sub_u16_sdwa v125, v125, v126 dst_sel:DWORD dst_unused:UNUSED_PAD src0_sel:WORD_1 src1_sel:WORD_1
	v_or_b32_sdwa v127, v127, v131 dst_sel:DWORD dst_unused:UNUSED_PAD src0_sel:BYTE_0 src1_sel:DWORD
	v_or_b32_sdwa v124, v125, v124 dst_sel:WORD_1 dst_unused:UNUSED_PAD src0_sel:BYTE_0 src1_sel:DWORD
	v_add_u32_e32 v126, 0x4208, v130
	v_or_b32_sdwa v131, v127, v124 dst_sel:DWORD dst_unused:UNUSED_PAD src0_sel:WORD_0 src1_sel:DWORD
	ds_read2_b32 v[124:125], v128 offset0:2 offset1:3
	ds_read2_b32 v[126:127], v126 offset1:1
	s_waitcnt lgkmcnt(1)
	v_ashrrev_i32_e32 v124, s23, v124
	s_waitcnt lgkmcnt(0)
	v_ashrrev_i32_e32 v126, s2, v126
	v_lshlrev_b32_e32 v126, 2, v126
	v_and_b32_e32 v132, 0x3030303, v124
	v_bfe_u32 v124, v124, 24, 2
	v_and_b32_e32 v126, 0x4040404, v126
	v_sub_u16_e32 v133, v132, v126
	v_sub_u16_sdwa v134, v132, v126 dst_sel:BYTE_1 dst_unused:UNUSED_PAD src0_sel:BYTE_1 src1_sel:BYTE_1
	v_sub_u16_sdwa v124, v124, v126 dst_sel:BYTE_1 dst_unused:UNUSED_PAD src0_sel:DWORD src1_sel:BYTE_3
	v_sub_u16_sdwa v126, v132, v126 dst_sel:DWORD dst_unused:UNUSED_PAD src0_sel:WORD_1 src1_sel:WORD_1
	v_or_b32_sdwa v133, v133, v134 dst_sel:DWORD dst_unused:UNUSED_PAD src0_sel:BYTE_0 src1_sel:DWORD
	v_or_b32_sdwa v124, v126, v124 dst_sel:WORD_1 dst_unused:UNUSED_PAD src0_sel:BYTE_0 src1_sel:DWORD
	v_ashrrev_i32_e32 v126, s2, v127
	v_or_b32_sdwa v132, v133, v124 dst_sel:DWORD dst_unused:UNUSED_PAD src0_sel:WORD_0 src1_sel:DWORD
	v_ashrrev_i32_e32 v124, s23, v125
	v_lshlrev_b32_e32 v126, 2, v126
	v_and_b32_e32 v125, 0x3030303, v124
	v_bfe_u32 v124, v124, 24, 2
	v_and_b32_e32 v126, 0x4040404, v126
	v_sub_u16_e32 v127, v125, v126
	v_sub_u16_sdwa v133, v125, v126 dst_sel:BYTE_1 dst_unused:UNUSED_PAD src0_sel:BYTE_1 src1_sel:BYTE_1
	v_sub_u16_sdwa v124, v124, v126 dst_sel:BYTE_1 dst_unused:UNUSED_PAD src0_sel:DWORD src1_sel:BYTE_3
	v_sub_u16_sdwa v125, v125, v126 dst_sel:DWORD dst_unused:UNUSED_PAD src0_sel:WORD_1 src1_sel:WORD_1
	v_or_b32_sdwa v127, v127, v133 dst_sel:DWORD dst_unused:UNUSED_PAD src0_sel:BYTE_0 src1_sel:DWORD
	v_or_b32_sdwa v124, v125, v124 dst_sel:WORD_1 dst_unused:UNUSED_PAD src0_sel:BYTE_0 src1_sel:DWORD
	v_add_u32_e32 v126, 0x4210, v130
	v_or_b32_sdwa v133, v127, v124 dst_sel:DWORD dst_unused:UNUSED_PAD src0_sel:WORD_0 src1_sel:DWORD
	ds_read2_b32 v[124:125], v128 offset0:4 offset1:5
	ds_read2_b32 v[126:127], v126 offset1:1
	s_waitcnt lgkmcnt(1)
	v_ashrrev_i32_e32 v124, s23, v124
	s_waitcnt lgkmcnt(0)
	v_ashrrev_i32_e32 v126, s2, v126
	v_lshlrev_b32_e32 v126, 2, v126
	;; [unrolled: 31-line block ×3, first 2 shown]
	v_and_b32_e32 v128, 0x3030303, v124
	v_bfe_u32 v124, v124, 24, 2
	v_and_b32_e32 v126, 0x4040404, v126
	v_ashrrev_i32_e32 v127, s2, v127
	v_sub_u16_e32 v130, v128, v126
	v_sub_u16_sdwa v136, v128, v126 dst_sel:BYTE_1 dst_unused:UNUSED_PAD src0_sel:BYTE_1 src1_sel:BYTE_1
	v_sub_u16_sdwa v124, v124, v126 dst_sel:BYTE_1 dst_unused:UNUSED_PAD src0_sel:DWORD src1_sel:BYTE_3
	v_sub_u16_sdwa v126, v128, v126 dst_sel:DWORD dst_unused:UNUSED_PAD src0_sel:WORD_1 src1_sel:WORD_1
	v_ashrrev_i32_e32 v125, s23, v125
	v_lshlrev_b32_e32 v127, 2, v127
	v_or_b32_sdwa v130, v130, v136 dst_sel:DWORD dst_unused:UNUSED_PAD src0_sel:BYTE_0 src1_sel:DWORD
	v_or_b32_sdwa v124, v126, v124 dst_sel:WORD_1 dst_unused:UNUSED_PAD src0_sel:BYTE_0 src1_sel:DWORD
	v_and_b32_e32 v126, 0x3030303, v125
	v_bfe_u32 v125, v125, 24, 2
	v_and_b32_e32 v127, 0x4040404, v127
	v_or_b32_sdwa v124, v130, v124 dst_sel:DWORD dst_unused:UNUSED_PAD src0_sel:WORD_0 src1_sel:DWORD
	v_sub_u16_e32 v128, v126, v127
	v_sub_u16_sdwa v130, v126, v127 dst_sel:BYTE_1 dst_unused:UNUSED_PAD src0_sel:BYTE_1 src1_sel:BYTE_1
	v_sub_u16_sdwa v125, v125, v127 dst_sel:BYTE_1 dst_unused:UNUSED_PAD src0_sel:DWORD src1_sel:BYTE_3
	v_sub_u16_sdwa v126, v126, v127 dst_sel:DWORD dst_unused:UNUSED_PAD src0_sel:WORD_1 src1_sel:WORD_1
	v_or_b32_sdwa v125, v126, v125 dst_sel:WORD_1 dst_unused:UNUSED_PAD src0_sel:BYTE_0 src1_sel:DWORD
	v_add_u32_e32 v126, s36, v55
	v_mov_b32_e32 v127, 0
	ds_read_b32 v126, v126
	v_dot4c_i32_i8_e32 v127, v129, v6
	ds_read_u16 v6, v123 offset:28418
	v_dot4c_i32_i8_e32 v127, v131, v7
	v_dot4c_i32_i8_e32 v127, v132, v8
	v_mov_b32_e32 v8, 0
	v_dot4c_i32_i8_e32 v8, v134, v2
	v_or_b32_sdwa v128, v128, v130 dst_sel:DWORD dst_unused:UNUSED_PAD src0_sel:BYTE_0 src1_sel:DWORD
	v_dot4c_i32_i8_e32 v8, v135, v3
	v_or_b32_sdwa v125, v128, v125 dst_sel:DWORD dst_unused:UNUSED_PAD src0_sel:WORD_0 src1_sel:DWORD
	v_dot4c_i32_i8_e32 v127, v133, v9
	s_waitcnt lgkmcnt(0)
	v_lshrrev_b16_e32 v7, 8, v6
	v_bfe_i32 v6, v6, 0, 8
	v_dot4c_i32_i8_e32 v8, v124, v4
	v_mul_lo_u32 v6, v127, v6
	v_dot4c_i32_i8_e32 v8, v125, v5
	v_bfe_i32 v2, v7, 0, 8
	s_add_i32 s2, s2, 1
	s_cmp_lt_u32 s23, 6
	v_mad_u64_u32 v[2:3], s[34:35], v8, v2, v[6:7]
	v_cvt_f32_i32_e32 v2, v2
	v_mul_f32_e32 v3, v122, v126
	v_fmac_f32_e32 v11, v3, v2
	s_cbranch_scc1 .LBB230_12
; %bb.13:                               ;   in Loop: Header=BB230_5 Depth=1
	s_or_b32 s2, s33, 0x80
	s_cmp_ge_i32 s2, s9
	s_barrier
	s_cbranch_scc1 .LBB230_4
; %bb.14:                               ;   in Loop: Header=BB230_5 Depth=1
	v_add_u32_e32 v2, s31, v57
	v_cmp_gt_i32_e64 s[2:3], s12, v2
	s_and_b64 s[22:23], s[0:1], s[2:3]
	s_and_saveexec_b64 s[2:3], s[22:23]
	s_cbranch_execz .LBB230_16
; %bb.15:                               ;   in Loop: Header=BB230_5 Depth=1
	v_add_u32_e32 v2, v116, v2
	v_mad_i64_i32 v[2:3], s[22:23], v2, 36, v[114:115]
	global_load_dword v2, v[2:3], off offset:4
	s_waitcnt vmcnt(0)
	ds_write_b32 v25, v2
.LBB230_16:                             ;   in Loop: Header=BB230_5 Depth=1
	s_or_b64 exec, exec, s[2:3]
	s_and_saveexec_b64 s[22:23], vcc
	s_cbranch_execz .LBB230_19
; %bb.17:                               ;   in Loop: Header=BB230_5 Depth=1
	v_or_b32_e32 v2, s31, v19
	v_or_b32_e32 v3, 4, v2
	v_cmp_gt_i32_e64 s[2:3], s12, v3
	s_and_b64 s[2:3], s[0:1], s[2:3]
	s_and_b64 exec, exec, s[2:3]
	s_cbranch_execz .LBB230_19
; %bb.18:                               ;   in Loop: Header=BB230_5 Depth=1
	v_ashrrev_i32_e32 v3, 31, v2
	v_add_co_u32_e64 v2, s[2:3], v116, v2
	v_addc_co_u32_e64 v4, s[2:3], v1, v3, s[2:3]
	v_mad_u64_u32 v[2:3], s[2:3], v2, 36, s[4:5]
	v_mad_i32_i24 v3, v4, 36, v3
	global_load_dword v2, v[2:3], off
	s_waitcnt vmcnt(0)
	v_cvt_f32_f16_e32 v2, v2
	ds_write_b32 v27, v2
.LBB230_19:                             ;   in Loop: Header=BB230_5 Depth=1
	s_or_b64 exec, exec, s[22:23]
	s_mov_b32 s2, 8
	s_mov_b32 s3, 0
	;; [unrolled: 1-line block ×3, first 2 shown]
	v_mov_b32_e32 v120, v73
	v_mov_b32_e32 v121, v75
	s_waitcnt lgkmcnt(0)
	s_barrier
.LBB230_20:                             ;   Parent Loop BB230_5 Depth=1
                                        ; =>  This Inner Loop Header: Depth=2
	s_add_i32 s23, s3, 8
	s_lshr_b32 s37, s23, 4
	s_and_b32 s36, s23, 0x3ffffff8
	s_lshl_b32 s35, s37, 3
	s_lshl_b32 s36, s36, 2
	v_add_lshl_u32 v129, v31, s35, 2
	v_add_u32_e32 v123, s36, v33
	v_add_u32_e32 v126, 0x4200, v129
	ds_read_b32 v122, v121
	ds_read_b128 v[6:9], v120
	ds_read_b128 v[2:5], v120 offset:16
	ds_read2_b32 v[124:125], v123 offset1:1
	ds_read2_b32 v[126:127], v126 offset1:1
	s_and_b32 s34, s2, -16
	s_lshl_b32 s37, s37, 2
	s_add_i32 s2, s2, 2
	s_waitcnt lgkmcnt(1)
	v_ashrrev_i32_e32 v124, s3, v124
	s_waitcnt lgkmcnt(0)
	v_ashrrev_i32_e32 v126, s22, v126
	v_lshlrev_b32_e32 v126, 2, v126
	v_and_b32_e32 v128, 0x3030303, v124
	v_bfe_u32 v124, v124, 24, 2
	v_and_b32_e32 v126, 0x4040404, v126
	v_sub_u16_e32 v130, v128, v126
	v_sub_u16_sdwa v131, v128, v126 dst_sel:BYTE_1 dst_unused:UNUSED_PAD src0_sel:BYTE_1 src1_sel:BYTE_1
	v_sub_u16_sdwa v124, v124, v126 dst_sel:BYTE_1 dst_unused:UNUSED_PAD src0_sel:DWORD src1_sel:BYTE_3
	v_sub_u16_sdwa v126, v128, v126 dst_sel:DWORD dst_unused:UNUSED_PAD src0_sel:WORD_1 src1_sel:WORD_1
	v_or_b32_sdwa v130, v130, v131 dst_sel:DWORD dst_unused:UNUSED_PAD src0_sel:BYTE_0 src1_sel:DWORD
	v_or_b32_sdwa v124, v126, v124 dst_sel:WORD_1 dst_unused:UNUSED_PAD src0_sel:BYTE_0 src1_sel:DWORD
	v_ashrrev_i32_e32 v126, s22, v127
	v_or_b32_sdwa v128, v130, v124 dst_sel:DWORD dst_unused:UNUSED_PAD src0_sel:WORD_0 src1_sel:DWORD
	v_ashrrev_i32_e32 v124, s3, v125
	v_lshlrev_b32_e32 v126, 2, v126
	v_and_b32_e32 v125, 0x3030303, v124
	v_bfe_u32 v124, v124, 24, 2
	v_and_b32_e32 v126, 0x4040404, v126
	v_sub_u16_e32 v127, v125, v126
	v_sub_u16_sdwa v130, v125, v126 dst_sel:BYTE_1 dst_unused:UNUSED_PAD src0_sel:BYTE_1 src1_sel:BYTE_1
	v_sub_u16_sdwa v124, v124, v126 dst_sel:BYTE_1 dst_unused:UNUSED_PAD src0_sel:DWORD src1_sel:BYTE_3
	v_sub_u16_sdwa v125, v125, v126 dst_sel:DWORD dst_unused:UNUSED_PAD src0_sel:WORD_1 src1_sel:WORD_1
	v_or_b32_sdwa v127, v127, v130 dst_sel:DWORD dst_unused:UNUSED_PAD src0_sel:BYTE_0 src1_sel:DWORD
	v_or_b32_sdwa v124, v125, v124 dst_sel:WORD_1 dst_unused:UNUSED_PAD src0_sel:BYTE_0 src1_sel:DWORD
	v_add_u32_e32 v126, 0x4208, v129
	v_or_b32_sdwa v130, v127, v124 dst_sel:DWORD dst_unused:UNUSED_PAD src0_sel:WORD_0 src1_sel:DWORD
	ds_read2_b32 v[124:125], v123 offset0:2 offset1:3
	ds_read2_b32 v[126:127], v126 offset1:1
	v_add_u32_e32 v121, 4, v121
	v_add_u32_e32 v120, 32, v120
	s_waitcnt lgkmcnt(1)
	v_ashrrev_i32_e32 v124, s3, v124
	s_waitcnt lgkmcnt(0)
	v_ashrrev_i32_e32 v126, s22, v126
	v_lshlrev_b32_e32 v126, 2, v126
	v_and_b32_e32 v131, 0x3030303, v124
	v_bfe_u32 v124, v124, 24, 2
	v_and_b32_e32 v126, 0x4040404, v126
	v_sub_u16_e32 v132, v131, v126
	v_sub_u16_sdwa v133, v131, v126 dst_sel:BYTE_1 dst_unused:UNUSED_PAD src0_sel:BYTE_1 src1_sel:BYTE_1
	v_sub_u16_sdwa v124, v124, v126 dst_sel:BYTE_1 dst_unused:UNUSED_PAD src0_sel:DWORD src1_sel:BYTE_3
	v_sub_u16_sdwa v126, v131, v126 dst_sel:DWORD dst_unused:UNUSED_PAD src0_sel:WORD_1 src1_sel:WORD_1
	v_or_b32_sdwa v132, v132, v133 dst_sel:DWORD dst_unused:UNUSED_PAD src0_sel:BYTE_0 src1_sel:DWORD
	v_or_b32_sdwa v124, v126, v124 dst_sel:WORD_1 dst_unused:UNUSED_PAD src0_sel:BYTE_0 src1_sel:DWORD
	v_ashrrev_i32_e32 v126, s22, v127
	v_or_b32_sdwa v131, v132, v124 dst_sel:DWORD dst_unused:UNUSED_PAD src0_sel:WORD_0 src1_sel:DWORD
	v_ashrrev_i32_e32 v124, s3, v125
	v_lshlrev_b32_e32 v126, 2, v126
	v_and_b32_e32 v125, 0x3030303, v124
	v_bfe_u32 v124, v124, 24, 2
	v_and_b32_e32 v126, 0x4040404, v126
	v_sub_u16_e32 v127, v125, v126
	v_sub_u16_sdwa v132, v125, v126 dst_sel:BYTE_1 dst_unused:UNUSED_PAD src0_sel:BYTE_1 src1_sel:BYTE_1
	v_sub_u16_sdwa v124, v124, v126 dst_sel:BYTE_1 dst_unused:UNUSED_PAD src0_sel:DWORD src1_sel:BYTE_3
	v_sub_u16_sdwa v125, v125, v126 dst_sel:DWORD dst_unused:UNUSED_PAD src0_sel:WORD_1 src1_sel:WORD_1
	v_or_b32_sdwa v127, v127, v132 dst_sel:DWORD dst_unused:UNUSED_PAD src0_sel:BYTE_0 src1_sel:DWORD
	v_or_b32_sdwa v124, v125, v124 dst_sel:WORD_1 dst_unused:UNUSED_PAD src0_sel:BYTE_0 src1_sel:DWORD
	v_add_u32_e32 v126, 0x4210, v129
	v_or_b32_sdwa v132, v127, v124 dst_sel:DWORD dst_unused:UNUSED_PAD src0_sel:WORD_0 src1_sel:DWORD
	ds_read2_b32 v[124:125], v123 offset0:4 offset1:5
	ds_read2_b32 v[126:127], v126 offset1:1
	s_waitcnt lgkmcnt(1)
	v_ashrrev_i32_e32 v124, s3, v124
	s_waitcnt lgkmcnt(0)
	v_ashrrev_i32_e32 v126, s22, v126
	v_lshlrev_b32_e32 v126, 2, v126
	v_and_b32_e32 v133, 0x3030303, v124
	v_bfe_u32 v124, v124, 24, 2
	v_and_b32_e32 v126, 0x4040404, v126
	v_sub_u16_e32 v134, v133, v126
	v_sub_u16_sdwa v135, v133, v126 dst_sel:BYTE_1 dst_unused:UNUSED_PAD src0_sel:BYTE_1 src1_sel:BYTE_1
	v_sub_u16_sdwa v124, v124, v126 dst_sel:BYTE_1 dst_unused:UNUSED_PAD src0_sel:DWORD src1_sel:BYTE_3
	v_sub_u16_sdwa v126, v133, v126 dst_sel:DWORD dst_unused:UNUSED_PAD src0_sel:WORD_1 src1_sel:WORD_1
	v_or_b32_sdwa v134, v134, v135 dst_sel:DWORD dst_unused:UNUSED_PAD src0_sel:BYTE_0 src1_sel:DWORD
	v_or_b32_sdwa v124, v126, v124 dst_sel:WORD_1 dst_unused:UNUSED_PAD src0_sel:BYTE_0 src1_sel:DWORD
	v_ashrrev_i32_e32 v126, s22, v127
	v_or_b32_sdwa v133, v134, v124 dst_sel:DWORD dst_unused:UNUSED_PAD src0_sel:WORD_0 src1_sel:DWORD
	v_ashrrev_i32_e32 v124, s3, v125
	v_lshlrev_b32_e32 v126, 2, v126
	v_and_b32_e32 v125, 0x3030303, v124
	v_bfe_u32 v124, v124, 24, 2
	v_and_b32_e32 v126, 0x4040404, v126
	v_sub_u16_e32 v127, v125, v126
	v_sub_u16_sdwa v134, v125, v126 dst_sel:BYTE_1 dst_unused:UNUSED_PAD src0_sel:BYTE_1 src1_sel:BYTE_1
	v_sub_u16_sdwa v124, v124, v126 dst_sel:BYTE_1 dst_unused:UNUSED_PAD src0_sel:DWORD src1_sel:BYTE_3
	v_sub_u16_sdwa v125, v125, v126 dst_sel:DWORD dst_unused:UNUSED_PAD src0_sel:WORD_1 src1_sel:WORD_1
	v_or_b32_sdwa v127, v127, v134 dst_sel:DWORD dst_unused:UNUSED_PAD src0_sel:BYTE_0 src1_sel:DWORD
	v_or_b32_sdwa v124, v125, v124 dst_sel:WORD_1 dst_unused:UNUSED_PAD src0_sel:BYTE_0 src1_sel:DWORD
	v_add_u32_e32 v126, 0x4218, v129
	v_or_b32_sdwa v134, v127, v124 dst_sel:DWORD dst_unused:UNUSED_PAD src0_sel:WORD_0 src1_sel:DWORD
	ds_read2_b32 v[124:125], v123 offset0:6 offset1:7
	ds_read2_b32 v[126:127], v126 offset1:1
	s_waitcnt lgkmcnt(1)
	v_ashrrev_i32_e32 v123, s3, v124
	s_waitcnt lgkmcnt(0)
	v_ashrrev_i32_e32 v126, s22, v126
	v_lshlrev_b32_e32 v126, 2, v126
	v_and_b32_e32 v124, 0x3030303, v123
	v_bfe_u32 v123, v123, 24, 2
	v_and_b32_e32 v126, 0x4040404, v126
	v_sub_u16_e32 v129, v124, v126
	v_sub_u16_sdwa v135, v124, v126 dst_sel:BYTE_1 dst_unused:UNUSED_PAD src0_sel:BYTE_1 src1_sel:BYTE_1
	v_sub_u16_sdwa v123, v123, v126 dst_sel:BYTE_1 dst_unused:UNUSED_PAD src0_sel:DWORD src1_sel:BYTE_3
	v_sub_u16_sdwa v124, v124, v126 dst_sel:DWORD dst_unused:UNUSED_PAD src0_sel:WORD_1 src1_sel:WORD_1
	v_or_b32_sdwa v129, v129, v135 dst_sel:DWORD dst_unused:UNUSED_PAD src0_sel:BYTE_0 src1_sel:DWORD
	v_or_b32_sdwa v123, v124, v123 dst_sel:WORD_1 dst_unused:UNUSED_PAD src0_sel:BYTE_0 src1_sel:DWORD
	v_or_b32_sdwa v126, v129, v123 dst_sel:DWORD dst_unused:UNUSED_PAD src0_sel:WORD_0 src1_sel:DWORD
	v_ashrrev_i32_e32 v123, s3, v125
	v_ashrrev_i32_e32 v125, s22, v127
	v_lshlrev_b32_e32 v125, 2, v125
	v_and_b32_e32 v124, 0x3030303, v123
	v_bfe_u32 v123, v123, 24, 2
	v_and_b32_e32 v125, 0x4040404, v125
	v_sub_u16_e32 v127, v124, v125
	v_sub_u16_sdwa v129, v124, v125 dst_sel:BYTE_1 dst_unused:UNUSED_PAD src0_sel:BYTE_1 src1_sel:BYTE_1
	v_sub_u16_sdwa v123, v123, v125 dst_sel:BYTE_1 dst_unused:UNUSED_PAD src0_sel:DWORD src1_sel:BYTE_3
	v_sub_u16_sdwa v124, v124, v125 dst_sel:DWORD dst_unused:UNUSED_PAD src0_sel:WORD_1 src1_sel:WORD_1
	v_or_b32_sdwa v127, v127, v129 dst_sel:DWORD dst_unused:UNUSED_PAD src0_sel:BYTE_0 src1_sel:DWORD
	v_or_b32_sdwa v123, v124, v123 dst_sel:WORD_1 dst_unused:UNUSED_PAD src0_sel:BYTE_0 src1_sel:DWORD
	v_or_b32_sdwa v125, v127, v123 dst_sel:DWORD dst_unused:UNUSED_PAD src0_sel:WORD_0 src1_sel:DWORD
	v_add_u32_e32 v123, s3, v29
	v_add3_u32 v124, v83, s34, v123
	v_add_u32_e32 v127, s37, v35
	ds_read_b32 v127, v127
	ds_read_u16 v124, v124
	v_mov_b32_e32 v129, 0
	v_dot4c_i32_i8_e32 v129, v128, v6
	v_dot4c_i32_i8_e32 v129, v130, v7
	;; [unrolled: 1-line block ×4, first 2 shown]
	s_waitcnt lgkmcnt(0)
	v_lshrrev_b16_e32 v128, 8, v124
	v_bfe_i32 v124, v124, 0, 8
	v_add_lshl_u32 v130, v37, s35, 2
	v_mul_lo_u32 v124, v129, v124
	v_mov_b32_e32 v129, 0
	v_dot4c_i32_i8_e32 v129, v133, v2
	v_dot4c_i32_i8_e32 v129, v134, v3
	;; [unrolled: 1-line block ×4, first 2 shown]
	v_bfe_i32 v125, v128, 0, 8
	v_add_u32_e32 v128, s36, v39
	v_add_u32_e32 v126, 0x4200, v130
	v_mad_u64_u32 v[124:125], s[38:39], v129, v125, v[124:125]
	v_cvt_f32_i32_e32 v124, v124
	v_mul_f32_e32 v125, v122, v127
	ds_read2_b32 v[126:127], v126 offset1:1
	v_fmac_f32_e32 v15, v125, v124
	ds_read2_b32 v[124:125], v128 offset1:1
	s_waitcnt lgkmcnt(1)
	v_ashrrev_i32_e32 v126, s22, v126
	v_lshlrev_b32_e32 v126, 2, v126
	v_and_b32_e32 v126, 0x4040404, v126
	s_waitcnt lgkmcnt(0)
	v_ashrrev_i32_e32 v124, s3, v124
	v_and_b32_e32 v129, 0x3030303, v124
	v_bfe_u32 v124, v124, 24, 2
	v_sub_u16_e32 v131, v129, v126
	v_sub_u16_sdwa v132, v129, v126 dst_sel:BYTE_1 dst_unused:UNUSED_PAD src0_sel:BYTE_1 src1_sel:BYTE_1
	v_sub_u16_sdwa v124, v124, v126 dst_sel:BYTE_1 dst_unused:UNUSED_PAD src0_sel:DWORD src1_sel:BYTE_3
	v_sub_u16_sdwa v126, v129, v126 dst_sel:DWORD dst_unused:UNUSED_PAD src0_sel:WORD_1 src1_sel:WORD_1
	v_or_b32_sdwa v131, v131, v132 dst_sel:DWORD dst_unused:UNUSED_PAD src0_sel:BYTE_0 src1_sel:DWORD
	v_or_b32_sdwa v124, v126, v124 dst_sel:WORD_1 dst_unused:UNUSED_PAD src0_sel:BYTE_0 src1_sel:DWORD
	v_ashrrev_i32_e32 v126, s22, v127
	v_or_b32_sdwa v129, v131, v124 dst_sel:DWORD dst_unused:UNUSED_PAD src0_sel:WORD_0 src1_sel:DWORD
	v_ashrrev_i32_e32 v124, s3, v125
	v_lshlrev_b32_e32 v126, 2, v126
	v_and_b32_e32 v125, 0x3030303, v124
	v_bfe_u32 v124, v124, 24, 2
	v_and_b32_e32 v126, 0x4040404, v126
	v_sub_u16_e32 v127, v125, v126
	v_sub_u16_sdwa v131, v125, v126 dst_sel:BYTE_1 dst_unused:UNUSED_PAD src0_sel:BYTE_1 src1_sel:BYTE_1
	v_sub_u16_sdwa v124, v124, v126 dst_sel:BYTE_1 dst_unused:UNUSED_PAD src0_sel:DWORD src1_sel:BYTE_3
	v_sub_u16_sdwa v125, v125, v126 dst_sel:DWORD dst_unused:UNUSED_PAD src0_sel:WORD_1 src1_sel:WORD_1
	v_or_b32_sdwa v127, v127, v131 dst_sel:DWORD dst_unused:UNUSED_PAD src0_sel:BYTE_0 src1_sel:DWORD
	v_or_b32_sdwa v124, v125, v124 dst_sel:WORD_1 dst_unused:UNUSED_PAD src0_sel:BYTE_0 src1_sel:DWORD
	v_add_u32_e32 v126, 0x4208, v130
	v_or_b32_sdwa v131, v127, v124 dst_sel:DWORD dst_unused:UNUSED_PAD src0_sel:WORD_0 src1_sel:DWORD
	ds_read2_b32 v[124:125], v128 offset0:2 offset1:3
	ds_read2_b32 v[126:127], v126 offset1:1
	s_waitcnt lgkmcnt(1)
	v_ashrrev_i32_e32 v124, s3, v124
	s_waitcnt lgkmcnt(0)
	v_ashrrev_i32_e32 v126, s22, v126
	v_lshlrev_b32_e32 v126, 2, v126
	v_and_b32_e32 v132, 0x3030303, v124
	v_bfe_u32 v124, v124, 24, 2
	v_and_b32_e32 v126, 0x4040404, v126
	v_sub_u16_e32 v133, v132, v126
	v_sub_u16_sdwa v134, v132, v126 dst_sel:BYTE_1 dst_unused:UNUSED_PAD src0_sel:BYTE_1 src1_sel:BYTE_1
	v_sub_u16_sdwa v124, v124, v126 dst_sel:BYTE_1 dst_unused:UNUSED_PAD src0_sel:DWORD src1_sel:BYTE_3
	v_sub_u16_sdwa v126, v132, v126 dst_sel:DWORD dst_unused:UNUSED_PAD src0_sel:WORD_1 src1_sel:WORD_1
	v_or_b32_sdwa v133, v133, v134 dst_sel:DWORD dst_unused:UNUSED_PAD src0_sel:BYTE_0 src1_sel:DWORD
	v_or_b32_sdwa v124, v126, v124 dst_sel:WORD_1 dst_unused:UNUSED_PAD src0_sel:BYTE_0 src1_sel:DWORD
	v_ashrrev_i32_e32 v126, s22, v127
	v_or_b32_sdwa v132, v133, v124 dst_sel:DWORD dst_unused:UNUSED_PAD src0_sel:WORD_0 src1_sel:DWORD
	v_ashrrev_i32_e32 v124, s3, v125
	v_lshlrev_b32_e32 v126, 2, v126
	v_and_b32_e32 v125, 0x3030303, v124
	v_bfe_u32 v124, v124, 24, 2
	v_and_b32_e32 v126, 0x4040404, v126
	v_sub_u16_e32 v127, v125, v126
	v_sub_u16_sdwa v133, v125, v126 dst_sel:BYTE_1 dst_unused:UNUSED_PAD src0_sel:BYTE_1 src1_sel:BYTE_1
	v_sub_u16_sdwa v124, v124, v126 dst_sel:BYTE_1 dst_unused:UNUSED_PAD src0_sel:DWORD src1_sel:BYTE_3
	v_sub_u16_sdwa v125, v125, v126 dst_sel:DWORD dst_unused:UNUSED_PAD src0_sel:WORD_1 src1_sel:WORD_1
	v_or_b32_sdwa v127, v127, v133 dst_sel:DWORD dst_unused:UNUSED_PAD src0_sel:BYTE_0 src1_sel:DWORD
	v_or_b32_sdwa v124, v125, v124 dst_sel:WORD_1 dst_unused:UNUSED_PAD src0_sel:BYTE_0 src1_sel:DWORD
	v_add_u32_e32 v126, 0x4210, v130
	v_or_b32_sdwa v133, v127, v124 dst_sel:DWORD dst_unused:UNUSED_PAD src0_sel:WORD_0 src1_sel:DWORD
	ds_read2_b32 v[124:125], v128 offset0:4 offset1:5
	ds_read2_b32 v[126:127], v126 offset1:1
	s_waitcnt lgkmcnt(1)
	v_ashrrev_i32_e32 v124, s3, v124
	s_waitcnt lgkmcnt(0)
	v_ashrrev_i32_e32 v126, s22, v126
	v_lshlrev_b32_e32 v126, 2, v126
	v_and_b32_e32 v134, 0x3030303, v124
	v_bfe_u32 v124, v124, 24, 2
	v_and_b32_e32 v126, 0x4040404, v126
	;; [unrolled: 31-line block ×3, first 2 shown]
	v_sub_u16_e32 v130, v128, v126
	v_sub_u16_sdwa v136, v128, v126 dst_sel:BYTE_1 dst_unused:UNUSED_PAD src0_sel:BYTE_1 src1_sel:BYTE_1
	v_sub_u16_sdwa v124, v124, v126 dst_sel:BYTE_1 dst_unused:UNUSED_PAD src0_sel:DWORD src1_sel:BYTE_3
	v_sub_u16_sdwa v126, v128, v126 dst_sel:DWORD dst_unused:UNUSED_PAD src0_sel:WORD_1 src1_sel:WORD_1
	v_or_b32_sdwa v130, v130, v136 dst_sel:DWORD dst_unused:UNUSED_PAD src0_sel:BYTE_0 src1_sel:DWORD
	v_or_b32_sdwa v124, v126, v124 dst_sel:WORD_1 dst_unused:UNUSED_PAD src0_sel:BYTE_0 src1_sel:DWORD
	v_ashrrev_i32_e32 v127, s22, v127
	v_or_b32_sdwa v126, v130, v124 dst_sel:DWORD dst_unused:UNUSED_PAD src0_sel:WORD_0 src1_sel:DWORD
	v_ashrrev_i32_e32 v124, s3, v125
	v_lshlrev_b32_e32 v127, 2, v127
	v_and_b32_e32 v125, 0x3030303, v124
	v_bfe_u32 v124, v124, 24, 2
	v_and_b32_e32 v127, 0x4040404, v127
	v_sub_u16_e32 v128, v125, v127
	v_sub_u16_sdwa v130, v125, v127 dst_sel:BYTE_1 dst_unused:UNUSED_PAD src0_sel:BYTE_1 src1_sel:BYTE_1
	v_sub_u16_sdwa v124, v124, v127 dst_sel:BYTE_1 dst_unused:UNUSED_PAD src0_sel:DWORD src1_sel:BYTE_3
	v_sub_u16_sdwa v125, v125, v127 dst_sel:DWORD dst_unused:UNUSED_PAD src0_sel:WORD_1 src1_sel:WORD_1
	v_or_b32_sdwa v128, v128, v130 dst_sel:DWORD dst_unused:UNUSED_PAD src0_sel:BYTE_0 src1_sel:DWORD
	v_or_b32_sdwa v124, v125, v124 dst_sel:WORD_1 dst_unused:UNUSED_PAD src0_sel:BYTE_0 src1_sel:DWORD
	v_or_b32_sdwa v125, v128, v124 dst_sel:DWORD dst_unused:UNUSED_PAD src0_sel:WORD_0 src1_sel:DWORD
	v_add3_u32 v124, v81, s34, v123
	v_add_u32_e32 v127, s37, v41
	ds_read_b32 v127, v127
	ds_read_u16 v124, v124
	v_mov_b32_e32 v128, 0
	v_dot4c_i32_i8_e32 v128, v129, v6
	v_dot4c_i32_i8_e32 v128, v131, v7
	;; [unrolled: 1-line block ×4, first 2 shown]
	s_waitcnt lgkmcnt(0)
	v_lshrrev_b16_e32 v129, 8, v124
	v_bfe_i32 v124, v124, 0, 8
	v_add_lshl_u32 v130, v43, s35, 2
	v_mul_lo_u32 v124, v128, v124
	v_mov_b32_e32 v128, 0
	v_dot4c_i32_i8_e32 v128, v134, v2
	v_dot4c_i32_i8_e32 v128, v135, v3
	;; [unrolled: 1-line block ×4, first 2 shown]
	v_bfe_i32 v125, v129, 0, 8
	v_add_u32_e32 v126, 0x4200, v130
	s_nop 0
	v_mad_u64_u32 v[124:125], s[38:39], v128, v125, v[124:125]
	v_cvt_f32_i32_e32 v124, v124
	v_mul_f32_e32 v125, v122, v127
	v_add_u32_e32 v128, s36, v45
	ds_read2_b32 v[126:127], v126 offset1:1
	v_fmac_f32_e32 v63, v125, v124
	ds_read2_b32 v[124:125], v128 offset1:1
	s_waitcnt lgkmcnt(1)
	v_ashrrev_i32_e32 v126, s22, v126
	v_lshlrev_b32_e32 v126, 2, v126
	s_waitcnt lgkmcnt(0)
	v_ashrrev_i32_e32 v124, s3, v124
	v_and_b32_e32 v129, 0x3030303, v124
	v_bfe_u32 v124, v124, 24, 2
	v_and_b32_e32 v126, 0x4040404, v126
	v_sub_u16_e32 v131, v129, v126
	v_sub_u16_sdwa v132, v129, v126 dst_sel:BYTE_1 dst_unused:UNUSED_PAD src0_sel:BYTE_1 src1_sel:BYTE_1
	v_sub_u16_sdwa v124, v124, v126 dst_sel:BYTE_1 dst_unused:UNUSED_PAD src0_sel:DWORD src1_sel:BYTE_3
	v_sub_u16_sdwa v126, v129, v126 dst_sel:DWORD dst_unused:UNUSED_PAD src0_sel:WORD_1 src1_sel:WORD_1
	v_or_b32_sdwa v131, v131, v132 dst_sel:DWORD dst_unused:UNUSED_PAD src0_sel:BYTE_0 src1_sel:DWORD
	v_or_b32_sdwa v124, v126, v124 dst_sel:WORD_1 dst_unused:UNUSED_PAD src0_sel:BYTE_0 src1_sel:DWORD
	v_ashrrev_i32_e32 v126, s22, v127
	v_or_b32_sdwa v129, v131, v124 dst_sel:DWORD dst_unused:UNUSED_PAD src0_sel:WORD_0 src1_sel:DWORD
	v_ashrrev_i32_e32 v124, s3, v125
	v_lshlrev_b32_e32 v126, 2, v126
	v_and_b32_e32 v125, 0x3030303, v124
	v_bfe_u32 v124, v124, 24, 2
	v_and_b32_e32 v126, 0x4040404, v126
	v_sub_u16_e32 v127, v125, v126
	v_sub_u16_sdwa v131, v125, v126 dst_sel:BYTE_1 dst_unused:UNUSED_PAD src0_sel:BYTE_1 src1_sel:BYTE_1
	v_sub_u16_sdwa v124, v124, v126 dst_sel:BYTE_1 dst_unused:UNUSED_PAD src0_sel:DWORD src1_sel:BYTE_3
	v_sub_u16_sdwa v125, v125, v126 dst_sel:DWORD dst_unused:UNUSED_PAD src0_sel:WORD_1 src1_sel:WORD_1
	v_or_b32_sdwa v127, v127, v131 dst_sel:DWORD dst_unused:UNUSED_PAD src0_sel:BYTE_0 src1_sel:DWORD
	v_or_b32_sdwa v124, v125, v124 dst_sel:WORD_1 dst_unused:UNUSED_PAD src0_sel:BYTE_0 src1_sel:DWORD
	v_add_u32_e32 v126, 0x4208, v130
	v_or_b32_sdwa v131, v127, v124 dst_sel:DWORD dst_unused:UNUSED_PAD src0_sel:WORD_0 src1_sel:DWORD
	ds_read2_b32 v[124:125], v128 offset0:2 offset1:3
	ds_read2_b32 v[126:127], v126 offset1:1
	s_waitcnt lgkmcnt(1)
	v_ashrrev_i32_e32 v124, s3, v124
	s_waitcnt lgkmcnt(0)
	v_ashrrev_i32_e32 v126, s22, v126
	v_lshlrev_b32_e32 v126, 2, v126
	v_and_b32_e32 v132, 0x3030303, v124
	v_bfe_u32 v124, v124, 24, 2
	v_and_b32_e32 v126, 0x4040404, v126
	v_sub_u16_e32 v133, v132, v126
	v_sub_u16_sdwa v134, v132, v126 dst_sel:BYTE_1 dst_unused:UNUSED_PAD src0_sel:BYTE_1 src1_sel:BYTE_1
	v_sub_u16_sdwa v124, v124, v126 dst_sel:BYTE_1 dst_unused:UNUSED_PAD src0_sel:DWORD src1_sel:BYTE_3
	v_sub_u16_sdwa v126, v132, v126 dst_sel:DWORD dst_unused:UNUSED_PAD src0_sel:WORD_1 src1_sel:WORD_1
	v_or_b32_sdwa v133, v133, v134 dst_sel:DWORD dst_unused:UNUSED_PAD src0_sel:BYTE_0 src1_sel:DWORD
	v_or_b32_sdwa v124, v126, v124 dst_sel:WORD_1 dst_unused:UNUSED_PAD src0_sel:BYTE_0 src1_sel:DWORD
	v_ashrrev_i32_e32 v126, s22, v127
	v_or_b32_sdwa v132, v133, v124 dst_sel:DWORD dst_unused:UNUSED_PAD src0_sel:WORD_0 src1_sel:DWORD
	v_ashrrev_i32_e32 v124, s3, v125
	v_lshlrev_b32_e32 v126, 2, v126
	v_and_b32_e32 v125, 0x3030303, v124
	v_bfe_u32 v124, v124, 24, 2
	v_and_b32_e32 v126, 0x4040404, v126
	v_sub_u16_e32 v127, v125, v126
	v_sub_u16_sdwa v133, v125, v126 dst_sel:BYTE_1 dst_unused:UNUSED_PAD src0_sel:BYTE_1 src1_sel:BYTE_1
	v_sub_u16_sdwa v124, v124, v126 dst_sel:BYTE_1 dst_unused:UNUSED_PAD src0_sel:DWORD src1_sel:BYTE_3
	v_sub_u16_sdwa v125, v125, v126 dst_sel:DWORD dst_unused:UNUSED_PAD src0_sel:WORD_1 src1_sel:WORD_1
	v_or_b32_sdwa v127, v127, v133 dst_sel:DWORD dst_unused:UNUSED_PAD src0_sel:BYTE_0 src1_sel:DWORD
	v_or_b32_sdwa v124, v125, v124 dst_sel:WORD_1 dst_unused:UNUSED_PAD src0_sel:BYTE_0 src1_sel:DWORD
	v_add_u32_e32 v126, 0x4210, v130
	v_or_b32_sdwa v133, v127, v124 dst_sel:DWORD dst_unused:UNUSED_PAD src0_sel:WORD_0 src1_sel:DWORD
	ds_read2_b32 v[124:125], v128 offset0:4 offset1:5
	ds_read2_b32 v[126:127], v126 offset1:1
	s_waitcnt lgkmcnt(1)
	v_ashrrev_i32_e32 v124, s3, v124
	s_waitcnt lgkmcnt(0)
	v_ashrrev_i32_e32 v126, s22, v126
	v_lshlrev_b32_e32 v126, 2, v126
	;; [unrolled: 31-line block ×3, first 2 shown]
	v_and_b32_e32 v128, 0x3030303, v124
	v_bfe_u32 v124, v124, 24, 2
	v_and_b32_e32 v126, 0x4040404, v126
	v_sub_u16_e32 v130, v128, v126
	v_sub_u16_sdwa v136, v128, v126 dst_sel:BYTE_1 dst_unused:UNUSED_PAD src0_sel:BYTE_1 src1_sel:BYTE_1
	v_sub_u16_sdwa v124, v124, v126 dst_sel:BYTE_1 dst_unused:UNUSED_PAD src0_sel:DWORD src1_sel:BYTE_3
	v_sub_u16_sdwa v126, v128, v126 dst_sel:DWORD dst_unused:UNUSED_PAD src0_sel:WORD_1 src1_sel:WORD_1
	v_or_b32_sdwa v130, v130, v136 dst_sel:DWORD dst_unused:UNUSED_PAD src0_sel:BYTE_0 src1_sel:DWORD
	v_or_b32_sdwa v124, v126, v124 dst_sel:WORD_1 dst_unused:UNUSED_PAD src0_sel:BYTE_0 src1_sel:DWORD
	v_ashrrev_i32_e32 v127, s22, v127
	v_or_b32_sdwa v126, v130, v124 dst_sel:DWORD dst_unused:UNUSED_PAD src0_sel:WORD_0 src1_sel:DWORD
	v_ashrrev_i32_e32 v124, s3, v125
	v_lshlrev_b32_e32 v127, 2, v127
	v_and_b32_e32 v125, 0x3030303, v124
	v_bfe_u32 v124, v124, 24, 2
	v_and_b32_e32 v127, 0x4040404, v127
	v_sub_u16_e32 v128, v125, v127
	v_sub_u16_sdwa v130, v125, v127 dst_sel:BYTE_1 dst_unused:UNUSED_PAD src0_sel:BYTE_1 src1_sel:BYTE_1
	v_sub_u16_sdwa v124, v124, v127 dst_sel:BYTE_1 dst_unused:UNUSED_PAD src0_sel:DWORD src1_sel:BYTE_3
	v_sub_u16_sdwa v125, v125, v127 dst_sel:DWORD dst_unused:UNUSED_PAD src0_sel:WORD_1 src1_sel:WORD_1
	v_or_b32_sdwa v128, v128, v130 dst_sel:DWORD dst_unused:UNUSED_PAD src0_sel:BYTE_0 src1_sel:DWORD
	v_or_b32_sdwa v124, v125, v124 dst_sel:WORD_1 dst_unused:UNUSED_PAD src0_sel:BYTE_0 src1_sel:DWORD
	v_or_b32_sdwa v125, v128, v124 dst_sel:DWORD dst_unused:UNUSED_PAD src0_sel:WORD_0 src1_sel:DWORD
	v_add3_u32 v124, v79, s34, v123
	v_add_u32_e32 v127, s37, v49
	ds_read_b32 v127, v127
	ds_read_u16 v124, v124
	v_mov_b32_e32 v128, 0
	v_dot4c_i32_i8_e32 v128, v129, v6
	v_dot4c_i32_i8_e32 v128, v131, v7
	;; [unrolled: 1-line block ×4, first 2 shown]
	s_waitcnt lgkmcnt(0)
	v_lshrrev_b16_e32 v129, 8, v124
	v_bfe_i32 v124, v124, 0, 8
	v_add_lshl_u32 v130, v51, s35, 2
	v_mul_lo_u32 v124, v128, v124
	v_mov_b32_e32 v128, 0
	v_dot4c_i32_i8_e32 v128, v134, v2
	v_dot4c_i32_i8_e32 v128, v135, v3
	;; [unrolled: 1-line block ×4, first 2 shown]
	v_bfe_i32 v125, v129, 0, 8
	v_add_u32_e32 v126, 0x4200, v130
	v_add3_u32 v123, v77, s34, v123
	v_mad_u64_u32 v[124:125], s[38:39], v128, v125, v[124:125]
	v_cvt_f32_i32_e32 v124, v124
	v_mul_f32_e32 v125, v122, v127
	v_add_u32_e32 v128, s36, v53
	ds_read2_b32 v[126:127], v126 offset1:1
	v_fmac_f32_e32 v47, v125, v124
	ds_read2_b32 v[124:125], v128 offset1:1
	s_waitcnt lgkmcnt(1)
	v_ashrrev_i32_e32 v126, s22, v126
	v_lshlrev_b32_e32 v126, 2, v126
	s_waitcnt lgkmcnt(0)
	v_ashrrev_i32_e32 v124, s3, v124
	v_and_b32_e32 v129, 0x3030303, v124
	v_bfe_u32 v124, v124, 24, 2
	v_and_b32_e32 v126, 0x4040404, v126
	v_sub_u16_e32 v131, v129, v126
	v_sub_u16_sdwa v132, v129, v126 dst_sel:BYTE_1 dst_unused:UNUSED_PAD src0_sel:BYTE_1 src1_sel:BYTE_1
	v_sub_u16_sdwa v124, v124, v126 dst_sel:BYTE_1 dst_unused:UNUSED_PAD src0_sel:DWORD src1_sel:BYTE_3
	v_sub_u16_sdwa v126, v129, v126 dst_sel:DWORD dst_unused:UNUSED_PAD src0_sel:WORD_1 src1_sel:WORD_1
	v_or_b32_sdwa v131, v131, v132 dst_sel:DWORD dst_unused:UNUSED_PAD src0_sel:BYTE_0 src1_sel:DWORD
	v_or_b32_sdwa v124, v126, v124 dst_sel:WORD_1 dst_unused:UNUSED_PAD src0_sel:BYTE_0 src1_sel:DWORD
	v_ashrrev_i32_e32 v126, s22, v127
	v_or_b32_sdwa v129, v131, v124 dst_sel:DWORD dst_unused:UNUSED_PAD src0_sel:WORD_0 src1_sel:DWORD
	v_ashrrev_i32_e32 v124, s3, v125
	v_lshlrev_b32_e32 v126, 2, v126
	v_and_b32_e32 v125, 0x3030303, v124
	v_bfe_u32 v124, v124, 24, 2
	v_and_b32_e32 v126, 0x4040404, v126
	v_sub_u16_e32 v127, v125, v126
	v_sub_u16_sdwa v131, v125, v126 dst_sel:BYTE_1 dst_unused:UNUSED_PAD src0_sel:BYTE_1 src1_sel:BYTE_1
	v_sub_u16_sdwa v124, v124, v126 dst_sel:BYTE_1 dst_unused:UNUSED_PAD src0_sel:DWORD src1_sel:BYTE_3
	v_sub_u16_sdwa v125, v125, v126 dst_sel:DWORD dst_unused:UNUSED_PAD src0_sel:WORD_1 src1_sel:WORD_1
	v_or_b32_sdwa v127, v127, v131 dst_sel:DWORD dst_unused:UNUSED_PAD src0_sel:BYTE_0 src1_sel:DWORD
	v_or_b32_sdwa v124, v125, v124 dst_sel:WORD_1 dst_unused:UNUSED_PAD src0_sel:BYTE_0 src1_sel:DWORD
	v_add_u32_e32 v126, 0x4208, v130
	v_or_b32_sdwa v131, v127, v124 dst_sel:DWORD dst_unused:UNUSED_PAD src0_sel:WORD_0 src1_sel:DWORD
	ds_read2_b32 v[124:125], v128 offset0:2 offset1:3
	ds_read2_b32 v[126:127], v126 offset1:1
	s_waitcnt lgkmcnt(1)
	v_ashrrev_i32_e32 v124, s3, v124
	s_waitcnt lgkmcnt(0)
	v_ashrrev_i32_e32 v126, s22, v126
	v_lshlrev_b32_e32 v126, 2, v126
	v_and_b32_e32 v132, 0x3030303, v124
	v_bfe_u32 v124, v124, 24, 2
	v_and_b32_e32 v126, 0x4040404, v126
	v_sub_u16_e32 v133, v132, v126
	v_sub_u16_sdwa v134, v132, v126 dst_sel:BYTE_1 dst_unused:UNUSED_PAD src0_sel:BYTE_1 src1_sel:BYTE_1
	v_sub_u16_sdwa v124, v124, v126 dst_sel:BYTE_1 dst_unused:UNUSED_PAD src0_sel:DWORD src1_sel:BYTE_3
	v_sub_u16_sdwa v126, v132, v126 dst_sel:DWORD dst_unused:UNUSED_PAD src0_sel:WORD_1 src1_sel:WORD_1
	v_or_b32_sdwa v133, v133, v134 dst_sel:DWORD dst_unused:UNUSED_PAD src0_sel:BYTE_0 src1_sel:DWORD
	v_or_b32_sdwa v124, v126, v124 dst_sel:WORD_1 dst_unused:UNUSED_PAD src0_sel:BYTE_0 src1_sel:DWORD
	v_ashrrev_i32_e32 v126, s22, v127
	v_or_b32_sdwa v132, v133, v124 dst_sel:DWORD dst_unused:UNUSED_PAD src0_sel:WORD_0 src1_sel:DWORD
	v_ashrrev_i32_e32 v124, s3, v125
	v_lshlrev_b32_e32 v126, 2, v126
	v_and_b32_e32 v125, 0x3030303, v124
	v_bfe_u32 v124, v124, 24, 2
	v_and_b32_e32 v126, 0x4040404, v126
	v_sub_u16_e32 v127, v125, v126
	v_sub_u16_sdwa v133, v125, v126 dst_sel:BYTE_1 dst_unused:UNUSED_PAD src0_sel:BYTE_1 src1_sel:BYTE_1
	v_sub_u16_sdwa v124, v124, v126 dst_sel:BYTE_1 dst_unused:UNUSED_PAD src0_sel:DWORD src1_sel:BYTE_3
	v_sub_u16_sdwa v125, v125, v126 dst_sel:DWORD dst_unused:UNUSED_PAD src0_sel:WORD_1 src1_sel:WORD_1
	v_or_b32_sdwa v127, v127, v133 dst_sel:DWORD dst_unused:UNUSED_PAD src0_sel:BYTE_0 src1_sel:DWORD
	v_or_b32_sdwa v124, v125, v124 dst_sel:WORD_1 dst_unused:UNUSED_PAD src0_sel:BYTE_0 src1_sel:DWORD
	v_add_u32_e32 v126, 0x4210, v130
	v_or_b32_sdwa v133, v127, v124 dst_sel:DWORD dst_unused:UNUSED_PAD src0_sel:WORD_0 src1_sel:DWORD
	ds_read2_b32 v[124:125], v128 offset0:4 offset1:5
	ds_read2_b32 v[126:127], v126 offset1:1
	s_waitcnt lgkmcnt(1)
	v_ashrrev_i32_e32 v124, s3, v124
	s_waitcnt lgkmcnt(0)
	v_ashrrev_i32_e32 v126, s22, v126
	v_lshlrev_b32_e32 v126, 2, v126
	;; [unrolled: 31-line block ×3, first 2 shown]
	v_and_b32_e32 v128, 0x3030303, v124
	v_bfe_u32 v124, v124, 24, 2
	v_and_b32_e32 v126, 0x4040404, v126
	v_ashrrev_i32_e32 v127, s22, v127
	v_sub_u16_e32 v130, v128, v126
	v_sub_u16_sdwa v136, v128, v126 dst_sel:BYTE_1 dst_unused:UNUSED_PAD src0_sel:BYTE_1 src1_sel:BYTE_1
	v_sub_u16_sdwa v124, v124, v126 dst_sel:BYTE_1 dst_unused:UNUSED_PAD src0_sel:DWORD src1_sel:BYTE_3
	v_sub_u16_sdwa v126, v128, v126 dst_sel:DWORD dst_unused:UNUSED_PAD src0_sel:WORD_1 src1_sel:WORD_1
	v_ashrrev_i32_e32 v125, s3, v125
	v_lshlrev_b32_e32 v127, 2, v127
	v_or_b32_sdwa v130, v130, v136 dst_sel:DWORD dst_unused:UNUSED_PAD src0_sel:BYTE_0 src1_sel:DWORD
	v_or_b32_sdwa v124, v126, v124 dst_sel:WORD_1 dst_unused:UNUSED_PAD src0_sel:BYTE_0 src1_sel:DWORD
	v_and_b32_e32 v126, 0x3030303, v125
	v_bfe_u32 v125, v125, 24, 2
	v_and_b32_e32 v127, 0x4040404, v127
	v_or_b32_sdwa v124, v130, v124 dst_sel:DWORD dst_unused:UNUSED_PAD src0_sel:WORD_0 src1_sel:DWORD
	v_sub_u16_e32 v128, v126, v127
	v_sub_u16_sdwa v130, v126, v127 dst_sel:BYTE_1 dst_unused:UNUSED_PAD src0_sel:BYTE_1 src1_sel:BYTE_1
	v_sub_u16_sdwa v125, v125, v127 dst_sel:BYTE_1 dst_unused:UNUSED_PAD src0_sel:DWORD src1_sel:BYTE_3
	v_sub_u16_sdwa v126, v126, v127 dst_sel:DWORD dst_unused:UNUSED_PAD src0_sel:WORD_1 src1_sel:WORD_1
	v_or_b32_sdwa v125, v126, v125 dst_sel:WORD_1 dst_unused:UNUSED_PAD src0_sel:BYTE_0 src1_sel:DWORD
	v_add_u32_e32 v126, s37, v55
	v_mov_b32_e32 v127, 0
	ds_read_b32 v126, v126
	v_dot4c_i32_i8_e32 v127, v129, v6
	ds_read_u16 v6, v123
	v_dot4c_i32_i8_e32 v127, v131, v7
	v_dot4c_i32_i8_e32 v127, v132, v8
	v_mov_b32_e32 v8, 0
	v_dot4c_i32_i8_e32 v8, v134, v2
	v_or_b32_sdwa v128, v128, v130 dst_sel:DWORD dst_unused:UNUSED_PAD src0_sel:BYTE_0 src1_sel:DWORD
	v_dot4c_i32_i8_e32 v8, v135, v3
	v_or_b32_sdwa v125, v128, v125 dst_sel:DWORD dst_unused:UNUSED_PAD src0_sel:WORD_0 src1_sel:DWORD
	v_dot4c_i32_i8_e32 v127, v133, v9
	s_waitcnt lgkmcnt(0)
	v_lshrrev_b16_e32 v7, 8, v6
	v_bfe_i32 v6, v6, 0, 8
	v_dot4c_i32_i8_e32 v8, v124, v4
	v_mul_lo_u32 v6, v127, v6
	v_dot4c_i32_i8_e32 v8, v125, v5
	v_bfe_i32 v2, v7, 0, 8
	s_add_i32 s3, s3, 2
	s_add_i32 s22, s22, 1
	v_mad_u64_u32 v[2:3], s[34:35], v8, v2, v[6:7]
	v_cvt_f32_i32_e32 v2, v2
	v_mul_f32_e32 v3, v122, v126
	s_cmp_lt_u32 s23, 14
	v_fmac_f32_e32 v11, v3, v2
	s_cbranch_scc1 .LBB230_20
; %bb.21:                               ;   in Loop: Header=BB230_5 Depth=1
	s_or_b32 s2, s33, 0x100
	s_cmp_ge_i32 s2, s9
	s_barrier
	s_cbranch_scc1 .LBB230_4
; %bb.22:                               ;   in Loop: Header=BB230_5 Depth=1
	v_add_u32_e32 v2, s31, v59
	v_cmp_gt_i32_e64 s[2:3], s12, v2
	s_and_b64 s[22:23], s[0:1], s[2:3]
	s_and_saveexec_b64 s[2:3], s[22:23]
	s_cbranch_execz .LBB230_24
; %bb.23:                               ;   in Loop: Header=BB230_5 Depth=1
	v_add_u32_e32 v2, v116, v2
	v_mad_i64_i32 v[2:3], s[22:23], v2, 36, v[114:115]
	global_load_dword v2, v[2:3], off offset:4
	s_waitcnt vmcnt(0)
	ds_write_b32 v25, v2
.LBB230_24:                             ;   in Loop: Header=BB230_5 Depth=1
	s_or_b64 exec, exec, s[2:3]
	s_and_saveexec_b64 s[22:23], vcc
	s_cbranch_execz .LBB230_27
; %bb.25:                               ;   in Loop: Header=BB230_5 Depth=1
	v_or_b32_e32 v2, s31, v19
	v_or_b32_e32 v3, 8, v2
	v_cmp_gt_i32_e64 s[2:3], s12, v3
	s_and_b64 s[2:3], s[0:1], s[2:3]
	s_and_b64 exec, exec, s[2:3]
	s_cbranch_execz .LBB230_27
; %bb.26:                               ;   in Loop: Header=BB230_5 Depth=1
	v_ashrrev_i32_e32 v3, 31, v2
	v_add_co_u32_e64 v2, s[2:3], v116, v2
	v_addc_co_u32_e64 v4, s[2:3], v1, v3, s[2:3]
	v_mad_u64_u32 v[2:3], s[2:3], v2, 36, s[18:19]
	v_mad_i32_i24 v3, v4, 36, v3
	global_load_dword v2, v[2:3], off
	s_waitcnt vmcnt(0)
	v_cvt_f32_f16_e32 v2, v2
	ds_write_b32 v27, v2
.LBB230_27:                             ;   in Loop: Header=BB230_5 Depth=1
	s_or_b64 exec, exec, s[22:23]
	s_mov_b32 s2, 16
	s_mov_b32 s35, 14
	;; [unrolled: 1-line block ×3, first 2 shown]
	v_mov_b32_e32 v120, v73
	v_mov_b32_e32 v121, v75
	s_waitcnt lgkmcnt(0)
	s_barrier
.LBB230_28:                             ;   Parent Loop BB230_5 Depth=1
                                        ; =>  This Inner Loop Header: Depth=2
	s_add_i32 s22, s35, 2
	s_lshr_b32 s38, s22, 4
	s_and_b32 s36, s22, 0x3ffffff8
	s_lshl_b32 s34, s38, 3
	s_lshl_b32 s36, s36, 2
	v_add_lshl_u32 v129, v31, s34, 2
	v_add_u32_e32 v123, s36, v33
	v_add_u32_e32 v126, 0x4200, v129
	ds_read_b32 v122, v121
	ds_read_b128 v[6:9], v120
	ds_read_b128 v[2:5], v120 offset:16
	ds_read2_b32 v[124:125], v123 offset1:1
	ds_read2_b32 v[126:127], v126 offset1:1
	s_add_i32 s23, s35, -14
	s_and_b32 s37, s2, -16
	s_add_i32 s35, s35, s37
	s_waitcnt lgkmcnt(1)
	v_ashrrev_i32_e32 v124, s23, v124
	s_waitcnt lgkmcnt(0)
	v_ashrrev_i32_e32 v126, s3, v126
	v_lshlrev_b32_e32 v126, 2, v126
	v_and_b32_e32 v128, 0x3030303, v124
	v_bfe_u32 v124, v124, 24, 2
	v_and_b32_e32 v126, 0x4040404, v126
	v_sub_u16_e32 v130, v128, v126
	v_sub_u16_sdwa v131, v128, v126 dst_sel:BYTE_1 dst_unused:UNUSED_PAD src0_sel:BYTE_1 src1_sel:BYTE_1
	v_sub_u16_sdwa v124, v124, v126 dst_sel:BYTE_1 dst_unused:UNUSED_PAD src0_sel:DWORD src1_sel:BYTE_3
	v_sub_u16_sdwa v126, v128, v126 dst_sel:DWORD dst_unused:UNUSED_PAD src0_sel:WORD_1 src1_sel:WORD_1
	v_or_b32_sdwa v130, v130, v131 dst_sel:DWORD dst_unused:UNUSED_PAD src0_sel:BYTE_0 src1_sel:DWORD
	v_or_b32_sdwa v124, v126, v124 dst_sel:WORD_1 dst_unused:UNUSED_PAD src0_sel:BYTE_0 src1_sel:DWORD
	v_ashrrev_i32_e32 v126, s3, v127
	v_or_b32_sdwa v128, v130, v124 dst_sel:DWORD dst_unused:UNUSED_PAD src0_sel:WORD_0 src1_sel:DWORD
	v_ashrrev_i32_e32 v124, s23, v125
	v_lshlrev_b32_e32 v126, 2, v126
	v_and_b32_e32 v125, 0x3030303, v124
	v_bfe_u32 v124, v124, 24, 2
	v_and_b32_e32 v126, 0x4040404, v126
	v_sub_u16_e32 v127, v125, v126
	v_sub_u16_sdwa v130, v125, v126 dst_sel:BYTE_1 dst_unused:UNUSED_PAD src0_sel:BYTE_1 src1_sel:BYTE_1
	v_sub_u16_sdwa v124, v124, v126 dst_sel:BYTE_1 dst_unused:UNUSED_PAD src0_sel:DWORD src1_sel:BYTE_3
	v_sub_u16_sdwa v125, v125, v126 dst_sel:DWORD dst_unused:UNUSED_PAD src0_sel:WORD_1 src1_sel:WORD_1
	v_or_b32_sdwa v127, v127, v130 dst_sel:DWORD dst_unused:UNUSED_PAD src0_sel:BYTE_0 src1_sel:DWORD
	v_or_b32_sdwa v124, v125, v124 dst_sel:WORD_1 dst_unused:UNUSED_PAD src0_sel:BYTE_0 src1_sel:DWORD
	v_add_u32_e32 v126, 0x4208, v129
	v_or_b32_sdwa v130, v127, v124 dst_sel:DWORD dst_unused:UNUSED_PAD src0_sel:WORD_0 src1_sel:DWORD
	ds_read2_b32 v[124:125], v123 offset0:2 offset1:3
	ds_read2_b32 v[126:127], v126 offset1:1
	s_lshl_b32 s37, s38, 2
	s_add_i32 s2, s2, 2
	v_add_u32_e32 v121, 4, v121
	s_waitcnt lgkmcnt(1)
	v_ashrrev_i32_e32 v124, s23, v124
	s_waitcnt lgkmcnt(0)
	v_ashrrev_i32_e32 v126, s3, v126
	v_lshlrev_b32_e32 v126, 2, v126
	v_and_b32_e32 v131, 0x3030303, v124
	v_bfe_u32 v124, v124, 24, 2
	v_and_b32_e32 v126, 0x4040404, v126
	v_sub_u16_e32 v132, v131, v126
	v_sub_u16_sdwa v133, v131, v126 dst_sel:BYTE_1 dst_unused:UNUSED_PAD src0_sel:BYTE_1 src1_sel:BYTE_1
	v_sub_u16_sdwa v124, v124, v126 dst_sel:BYTE_1 dst_unused:UNUSED_PAD src0_sel:DWORD src1_sel:BYTE_3
	v_sub_u16_sdwa v126, v131, v126 dst_sel:DWORD dst_unused:UNUSED_PAD src0_sel:WORD_1 src1_sel:WORD_1
	v_or_b32_sdwa v132, v132, v133 dst_sel:DWORD dst_unused:UNUSED_PAD src0_sel:BYTE_0 src1_sel:DWORD
	v_or_b32_sdwa v124, v126, v124 dst_sel:WORD_1 dst_unused:UNUSED_PAD src0_sel:BYTE_0 src1_sel:DWORD
	v_ashrrev_i32_e32 v126, s3, v127
	v_or_b32_sdwa v131, v132, v124 dst_sel:DWORD dst_unused:UNUSED_PAD src0_sel:WORD_0 src1_sel:DWORD
	v_ashrrev_i32_e32 v124, s23, v125
	v_lshlrev_b32_e32 v126, 2, v126
	v_and_b32_e32 v125, 0x3030303, v124
	v_bfe_u32 v124, v124, 24, 2
	v_and_b32_e32 v126, 0x4040404, v126
	v_sub_u16_e32 v127, v125, v126
	v_sub_u16_sdwa v132, v125, v126 dst_sel:BYTE_1 dst_unused:UNUSED_PAD src0_sel:BYTE_1 src1_sel:BYTE_1
	v_sub_u16_sdwa v124, v124, v126 dst_sel:BYTE_1 dst_unused:UNUSED_PAD src0_sel:DWORD src1_sel:BYTE_3
	v_sub_u16_sdwa v125, v125, v126 dst_sel:DWORD dst_unused:UNUSED_PAD src0_sel:WORD_1 src1_sel:WORD_1
	v_or_b32_sdwa v127, v127, v132 dst_sel:DWORD dst_unused:UNUSED_PAD src0_sel:BYTE_0 src1_sel:DWORD
	v_or_b32_sdwa v124, v125, v124 dst_sel:WORD_1 dst_unused:UNUSED_PAD src0_sel:BYTE_0 src1_sel:DWORD
	v_add_u32_e32 v126, 0x4210, v129
	v_or_b32_sdwa v132, v127, v124 dst_sel:DWORD dst_unused:UNUSED_PAD src0_sel:WORD_0 src1_sel:DWORD
	ds_read2_b32 v[124:125], v123 offset0:4 offset1:5
	ds_read2_b32 v[126:127], v126 offset1:1
	v_add_u32_e32 v120, 32, v120
	s_waitcnt lgkmcnt(1)
	v_ashrrev_i32_e32 v124, s23, v124
	s_waitcnt lgkmcnt(0)
	v_ashrrev_i32_e32 v126, s3, v126
	v_lshlrev_b32_e32 v126, 2, v126
	v_and_b32_e32 v133, 0x3030303, v124
	v_bfe_u32 v124, v124, 24, 2
	v_and_b32_e32 v126, 0x4040404, v126
	v_sub_u16_e32 v134, v133, v126
	v_sub_u16_sdwa v135, v133, v126 dst_sel:BYTE_1 dst_unused:UNUSED_PAD src0_sel:BYTE_1 src1_sel:BYTE_1
	v_sub_u16_sdwa v124, v124, v126 dst_sel:BYTE_1 dst_unused:UNUSED_PAD src0_sel:DWORD src1_sel:BYTE_3
	v_sub_u16_sdwa v126, v133, v126 dst_sel:DWORD dst_unused:UNUSED_PAD src0_sel:WORD_1 src1_sel:WORD_1
	v_or_b32_sdwa v134, v134, v135 dst_sel:DWORD dst_unused:UNUSED_PAD src0_sel:BYTE_0 src1_sel:DWORD
	v_or_b32_sdwa v124, v126, v124 dst_sel:WORD_1 dst_unused:UNUSED_PAD src0_sel:BYTE_0 src1_sel:DWORD
	v_ashrrev_i32_e32 v126, s3, v127
	v_or_b32_sdwa v133, v134, v124 dst_sel:DWORD dst_unused:UNUSED_PAD src0_sel:WORD_0 src1_sel:DWORD
	v_ashrrev_i32_e32 v124, s23, v125
	v_lshlrev_b32_e32 v126, 2, v126
	v_and_b32_e32 v125, 0x3030303, v124
	v_bfe_u32 v124, v124, 24, 2
	v_and_b32_e32 v126, 0x4040404, v126
	v_sub_u16_e32 v127, v125, v126
	v_sub_u16_sdwa v134, v125, v126 dst_sel:BYTE_1 dst_unused:UNUSED_PAD src0_sel:BYTE_1 src1_sel:BYTE_1
	v_sub_u16_sdwa v124, v124, v126 dst_sel:BYTE_1 dst_unused:UNUSED_PAD src0_sel:DWORD src1_sel:BYTE_3
	v_sub_u16_sdwa v125, v125, v126 dst_sel:DWORD dst_unused:UNUSED_PAD src0_sel:WORD_1 src1_sel:WORD_1
	v_or_b32_sdwa v127, v127, v134 dst_sel:DWORD dst_unused:UNUSED_PAD src0_sel:BYTE_0 src1_sel:DWORD
	v_or_b32_sdwa v124, v125, v124 dst_sel:WORD_1 dst_unused:UNUSED_PAD src0_sel:BYTE_0 src1_sel:DWORD
	v_add_u32_e32 v126, 0x4218, v129
	v_or_b32_sdwa v134, v127, v124 dst_sel:DWORD dst_unused:UNUSED_PAD src0_sel:WORD_0 src1_sel:DWORD
	ds_read2_b32 v[124:125], v123 offset0:6 offset1:7
	ds_read2_b32 v[126:127], v126 offset1:1
	s_waitcnt lgkmcnt(1)
	v_ashrrev_i32_e32 v123, s23, v124
	s_waitcnt lgkmcnt(0)
	v_ashrrev_i32_e32 v126, s3, v126
	v_lshlrev_b32_e32 v126, 2, v126
	v_and_b32_e32 v124, 0x3030303, v123
	v_bfe_u32 v123, v123, 24, 2
	v_and_b32_e32 v126, 0x4040404, v126
	v_sub_u16_e32 v129, v124, v126
	v_sub_u16_sdwa v135, v124, v126 dst_sel:BYTE_1 dst_unused:UNUSED_PAD src0_sel:BYTE_1 src1_sel:BYTE_1
	v_sub_u16_sdwa v123, v123, v126 dst_sel:BYTE_1 dst_unused:UNUSED_PAD src0_sel:DWORD src1_sel:BYTE_3
	v_sub_u16_sdwa v124, v124, v126 dst_sel:DWORD dst_unused:UNUSED_PAD src0_sel:WORD_1 src1_sel:WORD_1
	v_ashrrev_i32_e32 v126, s3, v127
	v_or_b32_sdwa v123, v124, v123 dst_sel:WORD_1 dst_unused:UNUSED_PAD src0_sel:BYTE_0 src1_sel:DWORD
	v_ashrrev_i32_e32 v124, s23, v125
	v_lshlrev_b32_e32 v126, 2, v126
	v_or_b32_sdwa v129, v129, v135 dst_sel:DWORD dst_unused:UNUSED_PAD src0_sel:BYTE_0 src1_sel:DWORD
	v_and_b32_e32 v125, 0x3030303, v124
	v_bfe_u32 v124, v124, 24, 2
	v_and_b32_e32 v126, 0x4040404, v126
	v_or_b32_sdwa v123, v129, v123 dst_sel:DWORD dst_unused:UNUSED_PAD src0_sel:WORD_0 src1_sel:DWORD
	v_sub_u16_e32 v127, v125, v126
	v_sub_u16_sdwa v129, v125, v126 dst_sel:BYTE_1 dst_unused:UNUSED_PAD src0_sel:BYTE_1 src1_sel:BYTE_1
	v_sub_u16_sdwa v124, v124, v126 dst_sel:BYTE_1 dst_unused:UNUSED_PAD src0_sel:DWORD src1_sel:BYTE_3
	v_sub_u16_sdwa v125, v125, v126 dst_sel:DWORD dst_unused:UNUSED_PAD src0_sel:WORD_1 src1_sel:WORD_1
	v_or_b32_sdwa v127, v127, v129 dst_sel:DWORD dst_unused:UNUSED_PAD src0_sel:BYTE_0 src1_sel:DWORD
	v_or_b32_sdwa v124, v125, v124 dst_sel:WORD_1 dst_unused:UNUSED_PAD src0_sel:BYTE_0 src1_sel:DWORD
	v_or_b32_sdwa v125, v127, v124 dst_sel:DWORD dst_unused:UNUSED_PAD src0_sel:WORD_0 src1_sel:DWORD
	v_add_u32_e32 v124, s35, v91
	v_add_u32_e32 v126, s37, v35
	ds_read_b32 v126, v126
	ds_read_u16 v124, v124 offset:25330
	v_mov_b32_e32 v127, 0
	v_dot4c_i32_i8_e32 v127, v128, v6
	v_dot4c_i32_i8_e32 v127, v130, v7
	;; [unrolled: 1-line block ×4, first 2 shown]
	s_waitcnt lgkmcnt(0)
	v_lshrrev_b16_e32 v128, 8, v124
	v_bfe_i32 v124, v124, 0, 8
	v_add_lshl_u32 v129, v37, s34, 2
	v_mul_lo_u32 v124, v127, v124
	v_mov_b32_e32 v127, 0
	v_dot4c_i32_i8_e32 v127, v133, v2
	v_dot4c_i32_i8_e32 v127, v134, v3
	;; [unrolled: 1-line block ×4, first 2 shown]
	v_bfe_i32 v123, v128, 0, 8
                                        ; kill: def $vgpr125 killed $sgpr0 killed $exec
	s_nop 1
	v_mad_u64_u32 v[124:125], s[38:39], v127, v123, v[124:125]
	v_cvt_f32_i32_e32 v124, v124
	v_mul_f32_e32 v123, v122, v126
	v_add_u32_e32 v126, 0x4200, v129
	ds_read2_b32 v[126:127], v126 offset1:1
	v_fmac_f32_e32 v15, v123, v124
	v_add_u32_e32 v123, s36, v39
	ds_read2_b32 v[124:125], v123 offset1:1
	s_waitcnt lgkmcnt(1)
	v_ashrrev_i32_e32 v126, s3, v126
	v_lshlrev_b32_e32 v126, 2, v126
	v_and_b32_e32 v126, 0x4040404, v126
	s_waitcnt lgkmcnt(0)
	v_ashrrev_i32_e32 v124, s23, v124
	v_and_b32_e32 v128, 0x3030303, v124
	v_bfe_u32 v124, v124, 24, 2
	v_sub_u16_e32 v130, v128, v126
	v_sub_u16_sdwa v131, v128, v126 dst_sel:BYTE_1 dst_unused:UNUSED_PAD src0_sel:BYTE_1 src1_sel:BYTE_1
	v_sub_u16_sdwa v124, v124, v126 dst_sel:BYTE_1 dst_unused:UNUSED_PAD src0_sel:DWORD src1_sel:BYTE_3
	v_sub_u16_sdwa v126, v128, v126 dst_sel:DWORD dst_unused:UNUSED_PAD src0_sel:WORD_1 src1_sel:WORD_1
	v_or_b32_sdwa v130, v130, v131 dst_sel:DWORD dst_unused:UNUSED_PAD src0_sel:BYTE_0 src1_sel:DWORD
	v_or_b32_sdwa v124, v126, v124 dst_sel:WORD_1 dst_unused:UNUSED_PAD src0_sel:BYTE_0 src1_sel:DWORD
	v_ashrrev_i32_e32 v126, s3, v127
	v_or_b32_sdwa v128, v130, v124 dst_sel:DWORD dst_unused:UNUSED_PAD src0_sel:WORD_0 src1_sel:DWORD
	v_ashrrev_i32_e32 v124, s23, v125
	v_lshlrev_b32_e32 v126, 2, v126
	v_and_b32_e32 v125, 0x3030303, v124
	v_bfe_u32 v124, v124, 24, 2
	v_and_b32_e32 v126, 0x4040404, v126
	v_sub_u16_e32 v127, v125, v126
	v_sub_u16_sdwa v130, v125, v126 dst_sel:BYTE_1 dst_unused:UNUSED_PAD src0_sel:BYTE_1 src1_sel:BYTE_1
	v_sub_u16_sdwa v124, v124, v126 dst_sel:BYTE_1 dst_unused:UNUSED_PAD src0_sel:DWORD src1_sel:BYTE_3
	v_sub_u16_sdwa v125, v125, v126 dst_sel:DWORD dst_unused:UNUSED_PAD src0_sel:WORD_1 src1_sel:WORD_1
	v_or_b32_sdwa v127, v127, v130 dst_sel:DWORD dst_unused:UNUSED_PAD src0_sel:BYTE_0 src1_sel:DWORD
	v_or_b32_sdwa v124, v125, v124 dst_sel:WORD_1 dst_unused:UNUSED_PAD src0_sel:BYTE_0 src1_sel:DWORD
	v_add_u32_e32 v126, 0x4208, v129
	v_or_b32_sdwa v130, v127, v124 dst_sel:DWORD dst_unused:UNUSED_PAD src0_sel:WORD_0 src1_sel:DWORD
	ds_read2_b32 v[124:125], v123 offset0:2 offset1:3
	ds_read2_b32 v[126:127], v126 offset1:1
	s_waitcnt lgkmcnt(1)
	v_ashrrev_i32_e32 v124, s23, v124
	s_waitcnt lgkmcnt(0)
	v_ashrrev_i32_e32 v126, s3, v126
	v_lshlrev_b32_e32 v126, 2, v126
	v_and_b32_e32 v131, 0x3030303, v124
	v_bfe_u32 v124, v124, 24, 2
	v_and_b32_e32 v126, 0x4040404, v126
	v_sub_u16_e32 v132, v131, v126
	v_sub_u16_sdwa v133, v131, v126 dst_sel:BYTE_1 dst_unused:UNUSED_PAD src0_sel:BYTE_1 src1_sel:BYTE_1
	v_sub_u16_sdwa v124, v124, v126 dst_sel:BYTE_1 dst_unused:UNUSED_PAD src0_sel:DWORD src1_sel:BYTE_3
	v_sub_u16_sdwa v126, v131, v126 dst_sel:DWORD dst_unused:UNUSED_PAD src0_sel:WORD_1 src1_sel:WORD_1
	v_or_b32_sdwa v132, v132, v133 dst_sel:DWORD dst_unused:UNUSED_PAD src0_sel:BYTE_0 src1_sel:DWORD
	v_or_b32_sdwa v124, v126, v124 dst_sel:WORD_1 dst_unused:UNUSED_PAD src0_sel:BYTE_0 src1_sel:DWORD
	v_ashrrev_i32_e32 v126, s3, v127
	v_or_b32_sdwa v131, v132, v124 dst_sel:DWORD dst_unused:UNUSED_PAD src0_sel:WORD_0 src1_sel:DWORD
	v_ashrrev_i32_e32 v124, s23, v125
	v_lshlrev_b32_e32 v126, 2, v126
	v_and_b32_e32 v125, 0x3030303, v124
	v_bfe_u32 v124, v124, 24, 2
	v_and_b32_e32 v126, 0x4040404, v126
	v_sub_u16_e32 v127, v125, v126
	v_sub_u16_sdwa v132, v125, v126 dst_sel:BYTE_1 dst_unused:UNUSED_PAD src0_sel:BYTE_1 src1_sel:BYTE_1
	v_sub_u16_sdwa v124, v124, v126 dst_sel:BYTE_1 dst_unused:UNUSED_PAD src0_sel:DWORD src1_sel:BYTE_3
	v_sub_u16_sdwa v125, v125, v126 dst_sel:DWORD dst_unused:UNUSED_PAD src0_sel:WORD_1 src1_sel:WORD_1
	v_or_b32_sdwa v127, v127, v132 dst_sel:DWORD dst_unused:UNUSED_PAD src0_sel:BYTE_0 src1_sel:DWORD
	v_or_b32_sdwa v124, v125, v124 dst_sel:WORD_1 dst_unused:UNUSED_PAD src0_sel:BYTE_0 src1_sel:DWORD
	v_add_u32_e32 v126, 0x4210, v129
	v_or_b32_sdwa v132, v127, v124 dst_sel:DWORD dst_unused:UNUSED_PAD src0_sel:WORD_0 src1_sel:DWORD
	ds_read2_b32 v[124:125], v123 offset0:4 offset1:5
	ds_read2_b32 v[126:127], v126 offset1:1
	s_waitcnt lgkmcnt(1)
	v_ashrrev_i32_e32 v124, s23, v124
	s_waitcnt lgkmcnt(0)
	v_ashrrev_i32_e32 v126, s3, v126
	v_lshlrev_b32_e32 v126, 2, v126
	v_and_b32_e32 v133, 0x3030303, v124
	v_bfe_u32 v124, v124, 24, 2
	v_and_b32_e32 v126, 0x4040404, v126
	;; [unrolled: 31-line block ×3, first 2 shown]
	v_sub_u16_e32 v129, v124, v126
	v_sub_u16_sdwa v135, v124, v126 dst_sel:BYTE_1 dst_unused:UNUSED_PAD src0_sel:BYTE_1 src1_sel:BYTE_1
	v_sub_u16_sdwa v123, v123, v126 dst_sel:BYTE_1 dst_unused:UNUSED_PAD src0_sel:DWORD src1_sel:BYTE_3
	v_sub_u16_sdwa v124, v124, v126 dst_sel:DWORD dst_unused:UNUSED_PAD src0_sel:WORD_1 src1_sel:WORD_1
	v_ashrrev_i32_e32 v126, s3, v127
	v_or_b32_sdwa v123, v124, v123 dst_sel:WORD_1 dst_unused:UNUSED_PAD src0_sel:BYTE_0 src1_sel:DWORD
	v_ashrrev_i32_e32 v124, s23, v125
	v_lshlrev_b32_e32 v126, 2, v126
	v_or_b32_sdwa v129, v129, v135 dst_sel:DWORD dst_unused:UNUSED_PAD src0_sel:BYTE_0 src1_sel:DWORD
	v_and_b32_e32 v125, 0x3030303, v124
	v_bfe_u32 v124, v124, 24, 2
	v_and_b32_e32 v126, 0x4040404, v126
	v_or_b32_sdwa v123, v129, v123 dst_sel:DWORD dst_unused:UNUSED_PAD src0_sel:WORD_0 src1_sel:DWORD
	v_sub_u16_e32 v127, v125, v126
	v_sub_u16_sdwa v129, v125, v126 dst_sel:BYTE_1 dst_unused:UNUSED_PAD src0_sel:BYTE_1 src1_sel:BYTE_1
	v_sub_u16_sdwa v124, v124, v126 dst_sel:BYTE_1 dst_unused:UNUSED_PAD src0_sel:DWORD src1_sel:BYTE_3
	v_sub_u16_sdwa v125, v125, v126 dst_sel:DWORD dst_unused:UNUSED_PAD src0_sel:WORD_1 src1_sel:WORD_1
	v_or_b32_sdwa v127, v127, v129 dst_sel:DWORD dst_unused:UNUSED_PAD src0_sel:BYTE_0 src1_sel:DWORD
	v_or_b32_sdwa v124, v125, v124 dst_sel:WORD_1 dst_unused:UNUSED_PAD src0_sel:BYTE_0 src1_sel:DWORD
	v_or_b32_sdwa v125, v127, v124 dst_sel:DWORD dst_unused:UNUSED_PAD src0_sel:WORD_0 src1_sel:DWORD
	v_add_u32_e32 v124, s35, v89
	v_add_u32_e32 v126, s37, v41
	ds_read_b32 v126, v126
	ds_read_u16 v124, v124 offset:26354
	v_mov_b32_e32 v127, 0
	v_dot4c_i32_i8_e32 v127, v128, v6
	v_dot4c_i32_i8_e32 v127, v130, v7
	;; [unrolled: 1-line block ×4, first 2 shown]
	s_waitcnt lgkmcnt(0)
	v_lshrrev_b16_e32 v128, 8, v124
	v_bfe_i32 v124, v124, 0, 8
	v_add_lshl_u32 v129, v43, s34, 2
	v_mul_lo_u32 v124, v127, v124
	v_mov_b32_e32 v127, 0
	v_dot4c_i32_i8_e32 v127, v133, v2
	v_dot4c_i32_i8_e32 v127, v134, v3
	;; [unrolled: 1-line block ×4, first 2 shown]
	v_bfe_i32 v123, v128, 0, 8
                                        ; kill: def $vgpr125 killed $sgpr0 killed $exec
	s_nop 1
	v_mad_u64_u32 v[124:125], s[38:39], v127, v123, v[124:125]
	v_cvt_f32_i32_e32 v124, v124
	v_mul_f32_e32 v123, v122, v126
	v_add_u32_e32 v126, 0x4200, v129
	ds_read2_b32 v[126:127], v126 offset1:1
	v_fmac_f32_e32 v63, v123, v124
	v_add_u32_e32 v123, s36, v45
	ds_read2_b32 v[124:125], v123 offset1:1
	s_waitcnt lgkmcnt(1)
	v_ashrrev_i32_e32 v126, s3, v126
	v_lshlrev_b32_e32 v126, 2, v126
	v_and_b32_e32 v126, 0x4040404, v126
	s_waitcnt lgkmcnt(0)
	v_ashrrev_i32_e32 v124, s23, v124
	v_and_b32_e32 v128, 0x3030303, v124
	v_bfe_u32 v124, v124, 24, 2
	v_sub_u16_e32 v130, v128, v126
	v_sub_u16_sdwa v131, v128, v126 dst_sel:BYTE_1 dst_unused:UNUSED_PAD src0_sel:BYTE_1 src1_sel:BYTE_1
	v_sub_u16_sdwa v124, v124, v126 dst_sel:BYTE_1 dst_unused:UNUSED_PAD src0_sel:DWORD src1_sel:BYTE_3
	v_sub_u16_sdwa v126, v128, v126 dst_sel:DWORD dst_unused:UNUSED_PAD src0_sel:WORD_1 src1_sel:WORD_1
	v_or_b32_sdwa v130, v130, v131 dst_sel:DWORD dst_unused:UNUSED_PAD src0_sel:BYTE_0 src1_sel:DWORD
	v_or_b32_sdwa v124, v126, v124 dst_sel:WORD_1 dst_unused:UNUSED_PAD src0_sel:BYTE_0 src1_sel:DWORD
	v_ashrrev_i32_e32 v126, s3, v127
	v_or_b32_sdwa v128, v130, v124 dst_sel:DWORD dst_unused:UNUSED_PAD src0_sel:WORD_0 src1_sel:DWORD
	v_ashrrev_i32_e32 v124, s23, v125
	v_lshlrev_b32_e32 v126, 2, v126
	v_and_b32_e32 v125, 0x3030303, v124
	v_bfe_u32 v124, v124, 24, 2
	v_and_b32_e32 v126, 0x4040404, v126
	v_sub_u16_e32 v127, v125, v126
	v_sub_u16_sdwa v130, v125, v126 dst_sel:BYTE_1 dst_unused:UNUSED_PAD src0_sel:BYTE_1 src1_sel:BYTE_1
	v_sub_u16_sdwa v124, v124, v126 dst_sel:BYTE_1 dst_unused:UNUSED_PAD src0_sel:DWORD src1_sel:BYTE_3
	v_sub_u16_sdwa v125, v125, v126 dst_sel:DWORD dst_unused:UNUSED_PAD src0_sel:WORD_1 src1_sel:WORD_1
	v_or_b32_sdwa v127, v127, v130 dst_sel:DWORD dst_unused:UNUSED_PAD src0_sel:BYTE_0 src1_sel:DWORD
	v_or_b32_sdwa v124, v125, v124 dst_sel:WORD_1 dst_unused:UNUSED_PAD src0_sel:BYTE_0 src1_sel:DWORD
	v_add_u32_e32 v126, 0x4208, v129
	v_or_b32_sdwa v130, v127, v124 dst_sel:DWORD dst_unused:UNUSED_PAD src0_sel:WORD_0 src1_sel:DWORD
	ds_read2_b32 v[124:125], v123 offset0:2 offset1:3
	ds_read2_b32 v[126:127], v126 offset1:1
	s_waitcnt lgkmcnt(1)
	v_ashrrev_i32_e32 v124, s23, v124
	s_waitcnt lgkmcnt(0)
	v_ashrrev_i32_e32 v126, s3, v126
	v_lshlrev_b32_e32 v126, 2, v126
	v_and_b32_e32 v131, 0x3030303, v124
	v_bfe_u32 v124, v124, 24, 2
	v_and_b32_e32 v126, 0x4040404, v126
	v_sub_u16_e32 v132, v131, v126
	v_sub_u16_sdwa v133, v131, v126 dst_sel:BYTE_1 dst_unused:UNUSED_PAD src0_sel:BYTE_1 src1_sel:BYTE_1
	v_sub_u16_sdwa v124, v124, v126 dst_sel:BYTE_1 dst_unused:UNUSED_PAD src0_sel:DWORD src1_sel:BYTE_3
	v_sub_u16_sdwa v126, v131, v126 dst_sel:DWORD dst_unused:UNUSED_PAD src0_sel:WORD_1 src1_sel:WORD_1
	v_or_b32_sdwa v132, v132, v133 dst_sel:DWORD dst_unused:UNUSED_PAD src0_sel:BYTE_0 src1_sel:DWORD
	v_or_b32_sdwa v124, v126, v124 dst_sel:WORD_1 dst_unused:UNUSED_PAD src0_sel:BYTE_0 src1_sel:DWORD
	v_ashrrev_i32_e32 v126, s3, v127
	v_or_b32_sdwa v131, v132, v124 dst_sel:DWORD dst_unused:UNUSED_PAD src0_sel:WORD_0 src1_sel:DWORD
	v_ashrrev_i32_e32 v124, s23, v125
	v_lshlrev_b32_e32 v126, 2, v126
	v_and_b32_e32 v125, 0x3030303, v124
	v_bfe_u32 v124, v124, 24, 2
	v_and_b32_e32 v126, 0x4040404, v126
	v_sub_u16_e32 v127, v125, v126
	v_sub_u16_sdwa v132, v125, v126 dst_sel:BYTE_1 dst_unused:UNUSED_PAD src0_sel:BYTE_1 src1_sel:BYTE_1
	v_sub_u16_sdwa v124, v124, v126 dst_sel:BYTE_1 dst_unused:UNUSED_PAD src0_sel:DWORD src1_sel:BYTE_3
	v_sub_u16_sdwa v125, v125, v126 dst_sel:DWORD dst_unused:UNUSED_PAD src0_sel:WORD_1 src1_sel:WORD_1
	v_or_b32_sdwa v127, v127, v132 dst_sel:DWORD dst_unused:UNUSED_PAD src0_sel:BYTE_0 src1_sel:DWORD
	v_or_b32_sdwa v124, v125, v124 dst_sel:WORD_1 dst_unused:UNUSED_PAD src0_sel:BYTE_0 src1_sel:DWORD
	v_add_u32_e32 v126, 0x4210, v129
	v_or_b32_sdwa v132, v127, v124 dst_sel:DWORD dst_unused:UNUSED_PAD src0_sel:WORD_0 src1_sel:DWORD
	ds_read2_b32 v[124:125], v123 offset0:4 offset1:5
	ds_read2_b32 v[126:127], v126 offset1:1
	s_waitcnt lgkmcnt(1)
	v_ashrrev_i32_e32 v124, s23, v124
	s_waitcnt lgkmcnt(0)
	v_ashrrev_i32_e32 v126, s3, v126
	v_lshlrev_b32_e32 v126, 2, v126
	v_and_b32_e32 v133, 0x3030303, v124
	v_bfe_u32 v124, v124, 24, 2
	v_and_b32_e32 v126, 0x4040404, v126
	;; [unrolled: 31-line block ×3, first 2 shown]
	v_sub_u16_e32 v129, v124, v126
	v_sub_u16_sdwa v135, v124, v126 dst_sel:BYTE_1 dst_unused:UNUSED_PAD src0_sel:BYTE_1 src1_sel:BYTE_1
	v_sub_u16_sdwa v123, v123, v126 dst_sel:BYTE_1 dst_unused:UNUSED_PAD src0_sel:DWORD src1_sel:BYTE_3
	v_sub_u16_sdwa v124, v124, v126 dst_sel:DWORD dst_unused:UNUSED_PAD src0_sel:WORD_1 src1_sel:WORD_1
	v_ashrrev_i32_e32 v126, s3, v127
	v_or_b32_sdwa v123, v124, v123 dst_sel:WORD_1 dst_unused:UNUSED_PAD src0_sel:BYTE_0 src1_sel:DWORD
	v_ashrrev_i32_e32 v124, s23, v125
	v_lshlrev_b32_e32 v126, 2, v126
	v_or_b32_sdwa v129, v129, v135 dst_sel:DWORD dst_unused:UNUSED_PAD src0_sel:BYTE_0 src1_sel:DWORD
	v_and_b32_e32 v125, 0x3030303, v124
	v_bfe_u32 v124, v124, 24, 2
	v_and_b32_e32 v126, 0x4040404, v126
	v_or_b32_sdwa v123, v129, v123 dst_sel:DWORD dst_unused:UNUSED_PAD src0_sel:WORD_0 src1_sel:DWORD
	v_sub_u16_e32 v127, v125, v126
	v_sub_u16_sdwa v129, v125, v126 dst_sel:BYTE_1 dst_unused:UNUSED_PAD src0_sel:BYTE_1 src1_sel:BYTE_1
	v_sub_u16_sdwa v124, v124, v126 dst_sel:BYTE_1 dst_unused:UNUSED_PAD src0_sel:DWORD src1_sel:BYTE_3
	v_sub_u16_sdwa v125, v125, v126 dst_sel:DWORD dst_unused:UNUSED_PAD src0_sel:WORD_1 src1_sel:WORD_1
	v_or_b32_sdwa v127, v127, v129 dst_sel:DWORD dst_unused:UNUSED_PAD src0_sel:BYTE_0 src1_sel:DWORD
	v_or_b32_sdwa v124, v125, v124 dst_sel:WORD_1 dst_unused:UNUSED_PAD src0_sel:BYTE_0 src1_sel:DWORD
	v_or_b32_sdwa v125, v127, v124 dst_sel:DWORD dst_unused:UNUSED_PAD src0_sel:WORD_0 src1_sel:DWORD
	v_add_u32_e32 v124, s35, v87
	v_add_u32_e32 v126, s37, v49
	ds_read_b32 v126, v126
	ds_read_u16 v124, v124 offset:27378
	v_mov_b32_e32 v127, 0
	v_dot4c_i32_i8_e32 v127, v128, v6
	v_dot4c_i32_i8_e32 v127, v130, v7
	;; [unrolled: 1-line block ×4, first 2 shown]
	s_waitcnt lgkmcnt(0)
	v_lshrrev_b16_e32 v128, 8, v124
	v_bfe_i32 v124, v124, 0, 8
	v_add_lshl_u32 v129, v51, s34, 2
	v_mul_lo_u32 v124, v127, v124
	v_mov_b32_e32 v127, 0
	v_dot4c_i32_i8_e32 v127, v133, v2
	v_dot4c_i32_i8_e32 v127, v134, v3
	;; [unrolled: 1-line block ×4, first 2 shown]
	v_bfe_i32 v123, v128, 0, 8
                                        ; kill: def $vgpr125 killed $sgpr0 killed $exec
	s_nop 1
	v_mad_u64_u32 v[124:125], s[38:39], v127, v123, v[124:125]
	v_cvt_f32_i32_e32 v124, v124
	v_mul_f32_e32 v123, v122, v126
	v_add_u32_e32 v126, 0x4200, v129
	ds_read2_b32 v[126:127], v126 offset1:1
	v_fmac_f32_e32 v47, v123, v124
	v_add_u32_e32 v123, s36, v53
	ds_read2_b32 v[124:125], v123 offset1:1
	s_waitcnt lgkmcnt(1)
	v_ashrrev_i32_e32 v126, s3, v126
	v_lshlrev_b32_e32 v126, 2, v126
	v_and_b32_e32 v126, 0x4040404, v126
	s_waitcnt lgkmcnt(0)
	v_ashrrev_i32_e32 v124, s23, v124
	v_and_b32_e32 v128, 0x3030303, v124
	v_bfe_u32 v124, v124, 24, 2
	v_sub_u16_e32 v130, v128, v126
	v_sub_u16_sdwa v131, v128, v126 dst_sel:BYTE_1 dst_unused:UNUSED_PAD src0_sel:BYTE_1 src1_sel:BYTE_1
	v_sub_u16_sdwa v124, v124, v126 dst_sel:BYTE_1 dst_unused:UNUSED_PAD src0_sel:DWORD src1_sel:BYTE_3
	v_sub_u16_sdwa v126, v128, v126 dst_sel:DWORD dst_unused:UNUSED_PAD src0_sel:WORD_1 src1_sel:WORD_1
	v_or_b32_sdwa v130, v130, v131 dst_sel:DWORD dst_unused:UNUSED_PAD src0_sel:BYTE_0 src1_sel:DWORD
	v_or_b32_sdwa v124, v126, v124 dst_sel:WORD_1 dst_unused:UNUSED_PAD src0_sel:BYTE_0 src1_sel:DWORD
	v_ashrrev_i32_e32 v126, s3, v127
	v_or_b32_sdwa v128, v130, v124 dst_sel:DWORD dst_unused:UNUSED_PAD src0_sel:WORD_0 src1_sel:DWORD
	v_ashrrev_i32_e32 v124, s23, v125
	v_lshlrev_b32_e32 v126, 2, v126
	v_and_b32_e32 v125, 0x3030303, v124
	v_bfe_u32 v124, v124, 24, 2
	v_and_b32_e32 v126, 0x4040404, v126
	v_sub_u16_e32 v127, v125, v126
	v_sub_u16_sdwa v130, v125, v126 dst_sel:BYTE_1 dst_unused:UNUSED_PAD src0_sel:BYTE_1 src1_sel:BYTE_1
	v_sub_u16_sdwa v124, v124, v126 dst_sel:BYTE_1 dst_unused:UNUSED_PAD src0_sel:DWORD src1_sel:BYTE_3
	v_sub_u16_sdwa v125, v125, v126 dst_sel:DWORD dst_unused:UNUSED_PAD src0_sel:WORD_1 src1_sel:WORD_1
	v_or_b32_sdwa v127, v127, v130 dst_sel:DWORD dst_unused:UNUSED_PAD src0_sel:BYTE_0 src1_sel:DWORD
	v_or_b32_sdwa v124, v125, v124 dst_sel:WORD_1 dst_unused:UNUSED_PAD src0_sel:BYTE_0 src1_sel:DWORD
	v_add_u32_e32 v126, 0x4208, v129
	v_or_b32_sdwa v130, v127, v124 dst_sel:DWORD dst_unused:UNUSED_PAD src0_sel:WORD_0 src1_sel:DWORD
	ds_read2_b32 v[124:125], v123 offset0:2 offset1:3
	ds_read2_b32 v[126:127], v126 offset1:1
	s_waitcnt lgkmcnt(1)
	v_ashrrev_i32_e32 v124, s23, v124
	s_waitcnt lgkmcnt(0)
	v_ashrrev_i32_e32 v126, s3, v126
	v_lshlrev_b32_e32 v126, 2, v126
	v_and_b32_e32 v131, 0x3030303, v124
	v_bfe_u32 v124, v124, 24, 2
	v_and_b32_e32 v126, 0x4040404, v126
	v_sub_u16_e32 v132, v131, v126
	v_sub_u16_sdwa v133, v131, v126 dst_sel:BYTE_1 dst_unused:UNUSED_PAD src0_sel:BYTE_1 src1_sel:BYTE_1
	v_sub_u16_sdwa v124, v124, v126 dst_sel:BYTE_1 dst_unused:UNUSED_PAD src0_sel:DWORD src1_sel:BYTE_3
	v_sub_u16_sdwa v126, v131, v126 dst_sel:DWORD dst_unused:UNUSED_PAD src0_sel:WORD_1 src1_sel:WORD_1
	v_or_b32_sdwa v132, v132, v133 dst_sel:DWORD dst_unused:UNUSED_PAD src0_sel:BYTE_0 src1_sel:DWORD
	v_or_b32_sdwa v124, v126, v124 dst_sel:WORD_1 dst_unused:UNUSED_PAD src0_sel:BYTE_0 src1_sel:DWORD
	v_ashrrev_i32_e32 v126, s3, v127
	v_or_b32_sdwa v131, v132, v124 dst_sel:DWORD dst_unused:UNUSED_PAD src0_sel:WORD_0 src1_sel:DWORD
	v_ashrrev_i32_e32 v124, s23, v125
	v_lshlrev_b32_e32 v126, 2, v126
	v_and_b32_e32 v125, 0x3030303, v124
	v_bfe_u32 v124, v124, 24, 2
	v_and_b32_e32 v126, 0x4040404, v126
	v_sub_u16_e32 v127, v125, v126
	v_sub_u16_sdwa v132, v125, v126 dst_sel:BYTE_1 dst_unused:UNUSED_PAD src0_sel:BYTE_1 src1_sel:BYTE_1
	v_sub_u16_sdwa v124, v124, v126 dst_sel:BYTE_1 dst_unused:UNUSED_PAD src0_sel:DWORD src1_sel:BYTE_3
	v_sub_u16_sdwa v125, v125, v126 dst_sel:DWORD dst_unused:UNUSED_PAD src0_sel:WORD_1 src1_sel:WORD_1
	v_or_b32_sdwa v127, v127, v132 dst_sel:DWORD dst_unused:UNUSED_PAD src0_sel:BYTE_0 src1_sel:DWORD
	v_or_b32_sdwa v124, v125, v124 dst_sel:WORD_1 dst_unused:UNUSED_PAD src0_sel:BYTE_0 src1_sel:DWORD
	v_add_u32_e32 v126, 0x4210, v129
	v_or_b32_sdwa v132, v127, v124 dst_sel:DWORD dst_unused:UNUSED_PAD src0_sel:WORD_0 src1_sel:DWORD
	ds_read2_b32 v[124:125], v123 offset0:4 offset1:5
	ds_read2_b32 v[126:127], v126 offset1:1
	s_waitcnt lgkmcnt(1)
	v_ashrrev_i32_e32 v124, s23, v124
	s_waitcnt lgkmcnt(0)
	v_ashrrev_i32_e32 v126, s3, v126
	v_lshlrev_b32_e32 v126, 2, v126
	v_and_b32_e32 v133, 0x3030303, v124
	v_bfe_u32 v124, v124, 24, 2
	v_and_b32_e32 v126, 0x4040404, v126
	;; [unrolled: 31-line block ×3, first 2 shown]
	v_sub_u16_e32 v129, v124, v126
	v_sub_u16_sdwa v135, v124, v126 dst_sel:BYTE_1 dst_unused:UNUSED_PAD src0_sel:BYTE_1 src1_sel:BYTE_1
	v_sub_u16_sdwa v123, v123, v126 dst_sel:BYTE_1 dst_unused:UNUSED_PAD src0_sel:DWORD src1_sel:BYTE_3
	v_sub_u16_sdwa v124, v124, v126 dst_sel:DWORD dst_unused:UNUSED_PAD src0_sel:WORD_1 src1_sel:WORD_1
	v_ashrrev_i32_e32 v126, s3, v127
	v_or_b32_sdwa v123, v124, v123 dst_sel:WORD_1 dst_unused:UNUSED_PAD src0_sel:BYTE_0 src1_sel:DWORD
	v_ashrrev_i32_e32 v124, s23, v125
	v_lshlrev_b32_e32 v126, 2, v126
	v_or_b32_sdwa v129, v129, v135 dst_sel:DWORD dst_unused:UNUSED_PAD src0_sel:BYTE_0 src1_sel:DWORD
	v_and_b32_e32 v125, 0x3030303, v124
	v_bfe_u32 v124, v124, 24, 2
	v_and_b32_e32 v126, 0x4040404, v126
	v_or_b32_sdwa v123, v129, v123 dst_sel:DWORD dst_unused:UNUSED_PAD src0_sel:WORD_0 src1_sel:DWORD
	v_sub_u16_e32 v127, v125, v126
	v_sub_u16_sdwa v129, v125, v126 dst_sel:BYTE_1 dst_unused:UNUSED_PAD src0_sel:BYTE_1 src1_sel:BYTE_1
	v_sub_u16_sdwa v124, v124, v126 dst_sel:BYTE_1 dst_unused:UNUSED_PAD src0_sel:DWORD src1_sel:BYTE_3
	v_sub_u16_sdwa v125, v125, v126 dst_sel:DWORD dst_unused:UNUSED_PAD src0_sel:WORD_1 src1_sel:WORD_1
	v_or_b32_sdwa v127, v127, v129 dst_sel:DWORD dst_unused:UNUSED_PAD src0_sel:BYTE_0 src1_sel:DWORD
	v_or_b32_sdwa v124, v125, v124 dst_sel:WORD_1 dst_unused:UNUSED_PAD src0_sel:BYTE_0 src1_sel:DWORD
	v_or_b32_sdwa v124, v127, v124 dst_sel:DWORD dst_unused:UNUSED_PAD src0_sel:WORD_0 src1_sel:DWORD
	v_add_u32_e32 v125, s35, v85
	v_add_u32_e32 v126, s37, v55
	v_mov_b32_e32 v127, 0
	ds_read_b32 v126, v126
	v_dot4c_i32_i8_e32 v127, v128, v6
	ds_read_u16 v6, v125 offset:28402
	v_dot4c_i32_i8_e32 v127, v130, v7
	v_dot4c_i32_i8_e32 v127, v131, v8
	v_mov_b32_e32 v8, 0
	v_dot4c_i32_i8_e32 v8, v133, v2
	v_dot4c_i32_i8_e32 v8, v134, v3
	;; [unrolled: 1-line block ×3, first 2 shown]
	s_waitcnt lgkmcnt(0)
	v_lshrrev_b16_e32 v7, 8, v6
	v_bfe_i32 v6, v6, 0, 8
	v_dot4c_i32_i8_e32 v8, v123, v4
	v_mul_lo_u32 v6, v127, v6
	v_dot4c_i32_i8_e32 v8, v124, v5
	v_bfe_i32 v2, v7, 0, 8
	s_add_i32 s3, s3, 1
	s_cmp_lt_u32 s22, 22
	v_mad_u64_u32 v[2:3], s[34:35], v8, v2, v[6:7]
	v_cvt_f32_i32_e32 v2, v2
	v_mul_f32_e32 v3, v122, v126
	s_mov_b32 s35, s22
	v_fmac_f32_e32 v11, v3, v2
	s_cbranch_scc1 .LBB230_28
; %bb.29:                               ;   in Loop: Header=BB230_5 Depth=1
	s_or_b32 s2, s33, 0x180
	s_cmp_ge_i32 s2, s9
	s_barrier
	s_cbranch_scc1 .LBB230_4
; %bb.30:                               ;   in Loop: Header=BB230_5 Depth=1
	v_add_u32_e32 v2, s31, v61
	v_cmp_gt_i32_e64 s[2:3], s12, v2
	s_and_b64 s[22:23], s[0:1], s[2:3]
	s_and_saveexec_b64 s[2:3], s[22:23]
	s_cbranch_execz .LBB230_32
; %bb.31:                               ;   in Loop: Header=BB230_5 Depth=1
	v_add_u32_e32 v2, v116, v2
	v_mad_i64_i32 v[2:3], s[22:23], v2, 36, v[114:115]
	global_load_dword v2, v[2:3], off offset:4
	s_waitcnt vmcnt(0)
	ds_write_b32 v25, v2
.LBB230_32:                             ;   in Loop: Header=BB230_5 Depth=1
	s_or_b64 exec, exec, s[2:3]
	s_and_saveexec_b64 s[22:23], vcc
	s_cbranch_execz .LBB230_35
; %bb.33:                               ;   in Loop: Header=BB230_5 Depth=1
	v_or_b32_e32 v2, s31, v19
	v_or_b32_e32 v3, 12, v2
	v_cmp_gt_i32_e64 s[2:3], s12, v3
	s_and_b64 s[2:3], s[0:1], s[2:3]
	s_and_b64 exec, exec, s[2:3]
	s_cbranch_execz .LBB230_35
; %bb.34:                               ;   in Loop: Header=BB230_5 Depth=1
	v_ashrrev_i32_e32 v3, 31, v2
	v_add_co_u32_e64 v2, s[2:3], v116, v2
	v_addc_co_u32_e64 v4, s[2:3], v1, v3, s[2:3]
	v_mad_u64_u32 v[2:3], s[2:3], v2, 36, s[20:21]
	v_mad_i32_i24 v3, v4, 36, v3
	global_load_dword v2, v[2:3], off
	s_waitcnt vmcnt(0)
	v_cvt_f32_f16_e32 v2, v2
	ds_write_b32 v27, v2
.LBB230_35:                             ;   in Loop: Header=BB230_5 Depth=1
	s_or_b64 exec, exec, s[22:23]
	s_mov_b32 s2, 24
	s_mov_b32 s33, 22
	;; [unrolled: 1-line block ×3, first 2 shown]
	v_mov_b32_e32 v120, v73
	v_mov_b32_e32 v121, v75
	s_waitcnt lgkmcnt(0)
	s_barrier
.LBB230_36:                             ;   Parent Loop BB230_5 Depth=1
                                        ; =>  This Inner Loop Header: Depth=2
	s_add_i32 s22, s33, 2
	s_lshr_b32 s36, s22, 4
	s_and_b32 s34, s22, 0x3ffffff8
	s_lshl_b32 s31, s36, 3
	s_lshl_b32 s34, s34, 2
	v_add_lshl_u32 v129, v31, s31, 2
	v_add_u32_e32 v123, s34, v33
	v_add_u32_e32 v126, 0x4200, v129
	ds_read_b32 v122, v121
	ds_read_b128 v[6:9], v120
	ds_read_b128 v[2:5], v120 offset:16
	ds_read2_b32 v[124:125], v123 offset1:1
	ds_read2_b32 v[126:127], v126 offset1:1
	s_sub_i32 s23, s33, 22
	s_and_b32 s35, s2, -16
	s_add_i32 s33, s33, s35
	s_waitcnt lgkmcnt(1)
	v_ashrrev_i32_e32 v124, s23, v124
	s_waitcnt lgkmcnt(0)
	v_ashrrev_i32_e32 v126, s3, v126
	v_lshlrev_b32_e32 v126, 2, v126
	v_and_b32_e32 v128, 0x3030303, v124
	v_bfe_u32 v124, v124, 24, 2
	v_and_b32_e32 v126, 0x4040404, v126
	v_sub_u16_e32 v130, v128, v126
	v_sub_u16_sdwa v131, v128, v126 dst_sel:BYTE_1 dst_unused:UNUSED_PAD src0_sel:BYTE_1 src1_sel:BYTE_1
	v_sub_u16_sdwa v124, v124, v126 dst_sel:BYTE_1 dst_unused:UNUSED_PAD src0_sel:DWORD src1_sel:BYTE_3
	v_sub_u16_sdwa v126, v128, v126 dst_sel:DWORD dst_unused:UNUSED_PAD src0_sel:WORD_1 src1_sel:WORD_1
	v_or_b32_sdwa v130, v130, v131 dst_sel:DWORD dst_unused:UNUSED_PAD src0_sel:BYTE_0 src1_sel:DWORD
	v_or_b32_sdwa v124, v126, v124 dst_sel:WORD_1 dst_unused:UNUSED_PAD src0_sel:BYTE_0 src1_sel:DWORD
	v_ashrrev_i32_e32 v126, s3, v127
	v_or_b32_sdwa v128, v130, v124 dst_sel:DWORD dst_unused:UNUSED_PAD src0_sel:WORD_0 src1_sel:DWORD
	v_ashrrev_i32_e32 v124, s23, v125
	v_lshlrev_b32_e32 v126, 2, v126
	v_and_b32_e32 v125, 0x3030303, v124
	v_bfe_u32 v124, v124, 24, 2
	v_and_b32_e32 v126, 0x4040404, v126
	v_sub_u16_e32 v127, v125, v126
	v_sub_u16_sdwa v130, v125, v126 dst_sel:BYTE_1 dst_unused:UNUSED_PAD src0_sel:BYTE_1 src1_sel:BYTE_1
	v_sub_u16_sdwa v124, v124, v126 dst_sel:BYTE_1 dst_unused:UNUSED_PAD src0_sel:DWORD src1_sel:BYTE_3
	v_sub_u16_sdwa v125, v125, v126 dst_sel:DWORD dst_unused:UNUSED_PAD src0_sel:WORD_1 src1_sel:WORD_1
	v_or_b32_sdwa v127, v127, v130 dst_sel:DWORD dst_unused:UNUSED_PAD src0_sel:BYTE_0 src1_sel:DWORD
	v_or_b32_sdwa v124, v125, v124 dst_sel:WORD_1 dst_unused:UNUSED_PAD src0_sel:BYTE_0 src1_sel:DWORD
	v_add_u32_e32 v126, 0x4208, v129
	v_or_b32_sdwa v130, v127, v124 dst_sel:DWORD dst_unused:UNUSED_PAD src0_sel:WORD_0 src1_sel:DWORD
	ds_read2_b32 v[124:125], v123 offset0:2 offset1:3
	ds_read2_b32 v[126:127], v126 offset1:1
	s_lshl_b32 s35, s36, 2
	s_add_i32 s2, s2, 2
	v_add_u32_e32 v121, 4, v121
	s_waitcnt lgkmcnt(1)
	v_ashrrev_i32_e32 v124, s23, v124
	s_waitcnt lgkmcnt(0)
	v_ashrrev_i32_e32 v126, s3, v126
	v_lshlrev_b32_e32 v126, 2, v126
	v_and_b32_e32 v131, 0x3030303, v124
	v_bfe_u32 v124, v124, 24, 2
	v_and_b32_e32 v126, 0x4040404, v126
	v_sub_u16_e32 v132, v131, v126
	v_sub_u16_sdwa v133, v131, v126 dst_sel:BYTE_1 dst_unused:UNUSED_PAD src0_sel:BYTE_1 src1_sel:BYTE_1
	v_sub_u16_sdwa v124, v124, v126 dst_sel:BYTE_1 dst_unused:UNUSED_PAD src0_sel:DWORD src1_sel:BYTE_3
	v_sub_u16_sdwa v126, v131, v126 dst_sel:DWORD dst_unused:UNUSED_PAD src0_sel:WORD_1 src1_sel:WORD_1
	v_or_b32_sdwa v132, v132, v133 dst_sel:DWORD dst_unused:UNUSED_PAD src0_sel:BYTE_0 src1_sel:DWORD
	v_or_b32_sdwa v124, v126, v124 dst_sel:WORD_1 dst_unused:UNUSED_PAD src0_sel:BYTE_0 src1_sel:DWORD
	v_ashrrev_i32_e32 v126, s3, v127
	v_or_b32_sdwa v131, v132, v124 dst_sel:DWORD dst_unused:UNUSED_PAD src0_sel:WORD_0 src1_sel:DWORD
	v_ashrrev_i32_e32 v124, s23, v125
	v_lshlrev_b32_e32 v126, 2, v126
	v_and_b32_e32 v125, 0x3030303, v124
	v_bfe_u32 v124, v124, 24, 2
	v_and_b32_e32 v126, 0x4040404, v126
	v_sub_u16_e32 v127, v125, v126
	v_sub_u16_sdwa v132, v125, v126 dst_sel:BYTE_1 dst_unused:UNUSED_PAD src0_sel:BYTE_1 src1_sel:BYTE_1
	v_sub_u16_sdwa v124, v124, v126 dst_sel:BYTE_1 dst_unused:UNUSED_PAD src0_sel:DWORD src1_sel:BYTE_3
	v_sub_u16_sdwa v125, v125, v126 dst_sel:DWORD dst_unused:UNUSED_PAD src0_sel:WORD_1 src1_sel:WORD_1
	v_or_b32_sdwa v127, v127, v132 dst_sel:DWORD dst_unused:UNUSED_PAD src0_sel:BYTE_0 src1_sel:DWORD
	v_or_b32_sdwa v124, v125, v124 dst_sel:WORD_1 dst_unused:UNUSED_PAD src0_sel:BYTE_0 src1_sel:DWORD
	v_add_u32_e32 v126, 0x4210, v129
	v_or_b32_sdwa v132, v127, v124 dst_sel:DWORD dst_unused:UNUSED_PAD src0_sel:WORD_0 src1_sel:DWORD
	ds_read2_b32 v[124:125], v123 offset0:4 offset1:5
	ds_read2_b32 v[126:127], v126 offset1:1
	v_add_u32_e32 v120, 32, v120
	s_waitcnt lgkmcnt(1)
	v_ashrrev_i32_e32 v124, s23, v124
	s_waitcnt lgkmcnt(0)
	v_ashrrev_i32_e32 v126, s3, v126
	v_lshlrev_b32_e32 v126, 2, v126
	v_and_b32_e32 v133, 0x3030303, v124
	v_bfe_u32 v124, v124, 24, 2
	v_and_b32_e32 v126, 0x4040404, v126
	v_sub_u16_e32 v134, v133, v126
	v_sub_u16_sdwa v135, v133, v126 dst_sel:BYTE_1 dst_unused:UNUSED_PAD src0_sel:BYTE_1 src1_sel:BYTE_1
	v_sub_u16_sdwa v124, v124, v126 dst_sel:BYTE_1 dst_unused:UNUSED_PAD src0_sel:DWORD src1_sel:BYTE_3
	v_sub_u16_sdwa v126, v133, v126 dst_sel:DWORD dst_unused:UNUSED_PAD src0_sel:WORD_1 src1_sel:WORD_1
	v_or_b32_sdwa v134, v134, v135 dst_sel:DWORD dst_unused:UNUSED_PAD src0_sel:BYTE_0 src1_sel:DWORD
	v_or_b32_sdwa v124, v126, v124 dst_sel:WORD_1 dst_unused:UNUSED_PAD src0_sel:BYTE_0 src1_sel:DWORD
	v_ashrrev_i32_e32 v126, s3, v127
	v_or_b32_sdwa v133, v134, v124 dst_sel:DWORD dst_unused:UNUSED_PAD src0_sel:WORD_0 src1_sel:DWORD
	v_ashrrev_i32_e32 v124, s23, v125
	v_lshlrev_b32_e32 v126, 2, v126
	v_and_b32_e32 v125, 0x3030303, v124
	v_bfe_u32 v124, v124, 24, 2
	v_and_b32_e32 v126, 0x4040404, v126
	v_sub_u16_e32 v127, v125, v126
	v_sub_u16_sdwa v134, v125, v126 dst_sel:BYTE_1 dst_unused:UNUSED_PAD src0_sel:BYTE_1 src1_sel:BYTE_1
	v_sub_u16_sdwa v124, v124, v126 dst_sel:BYTE_1 dst_unused:UNUSED_PAD src0_sel:DWORD src1_sel:BYTE_3
	v_sub_u16_sdwa v125, v125, v126 dst_sel:DWORD dst_unused:UNUSED_PAD src0_sel:WORD_1 src1_sel:WORD_1
	v_or_b32_sdwa v127, v127, v134 dst_sel:DWORD dst_unused:UNUSED_PAD src0_sel:BYTE_0 src1_sel:DWORD
	v_or_b32_sdwa v124, v125, v124 dst_sel:WORD_1 dst_unused:UNUSED_PAD src0_sel:BYTE_0 src1_sel:DWORD
	v_add_u32_e32 v126, 0x4218, v129
	v_or_b32_sdwa v134, v127, v124 dst_sel:DWORD dst_unused:UNUSED_PAD src0_sel:WORD_0 src1_sel:DWORD
	ds_read2_b32 v[124:125], v123 offset0:6 offset1:7
	ds_read2_b32 v[126:127], v126 offset1:1
	s_waitcnt lgkmcnt(1)
	v_ashrrev_i32_e32 v123, s23, v124
	s_waitcnt lgkmcnt(0)
	v_ashrrev_i32_e32 v126, s3, v126
	v_lshlrev_b32_e32 v126, 2, v126
	v_and_b32_e32 v124, 0x3030303, v123
	v_bfe_u32 v123, v123, 24, 2
	v_and_b32_e32 v126, 0x4040404, v126
	v_sub_u16_e32 v129, v124, v126
	v_sub_u16_sdwa v135, v124, v126 dst_sel:BYTE_1 dst_unused:UNUSED_PAD src0_sel:BYTE_1 src1_sel:BYTE_1
	v_sub_u16_sdwa v123, v123, v126 dst_sel:BYTE_1 dst_unused:UNUSED_PAD src0_sel:DWORD src1_sel:BYTE_3
	v_sub_u16_sdwa v124, v124, v126 dst_sel:DWORD dst_unused:UNUSED_PAD src0_sel:WORD_1 src1_sel:WORD_1
	v_ashrrev_i32_e32 v126, s3, v127
	v_or_b32_sdwa v123, v124, v123 dst_sel:WORD_1 dst_unused:UNUSED_PAD src0_sel:BYTE_0 src1_sel:DWORD
	v_ashrrev_i32_e32 v124, s23, v125
	v_lshlrev_b32_e32 v126, 2, v126
	v_or_b32_sdwa v129, v129, v135 dst_sel:DWORD dst_unused:UNUSED_PAD src0_sel:BYTE_0 src1_sel:DWORD
	v_and_b32_e32 v125, 0x3030303, v124
	v_bfe_u32 v124, v124, 24, 2
	v_and_b32_e32 v126, 0x4040404, v126
	v_or_b32_sdwa v123, v129, v123 dst_sel:DWORD dst_unused:UNUSED_PAD src0_sel:WORD_0 src1_sel:DWORD
	v_sub_u16_e32 v127, v125, v126
	v_sub_u16_sdwa v129, v125, v126 dst_sel:BYTE_1 dst_unused:UNUSED_PAD src0_sel:BYTE_1 src1_sel:BYTE_1
	v_sub_u16_sdwa v124, v124, v126 dst_sel:BYTE_1 dst_unused:UNUSED_PAD src0_sel:DWORD src1_sel:BYTE_3
	v_sub_u16_sdwa v125, v125, v126 dst_sel:DWORD dst_unused:UNUSED_PAD src0_sel:WORD_1 src1_sel:WORD_1
	v_or_b32_sdwa v127, v127, v129 dst_sel:DWORD dst_unused:UNUSED_PAD src0_sel:BYTE_0 src1_sel:DWORD
	v_or_b32_sdwa v124, v125, v124 dst_sel:WORD_1 dst_unused:UNUSED_PAD src0_sel:BYTE_0 src1_sel:DWORD
	v_or_b32_sdwa v125, v127, v124 dst_sel:DWORD dst_unused:UNUSED_PAD src0_sel:WORD_0 src1_sel:DWORD
	v_add_u32_e32 v124, s33, v91
	v_add_u32_e32 v126, s35, v35
	ds_read_b32 v126, v126
	ds_read_u16 v124, v124 offset:25330
	v_mov_b32_e32 v127, 0
	v_dot4c_i32_i8_e32 v127, v128, v6
	v_dot4c_i32_i8_e32 v127, v130, v7
	;; [unrolled: 1-line block ×4, first 2 shown]
	s_waitcnt lgkmcnt(0)
	v_lshrrev_b16_e32 v128, 8, v124
	v_bfe_i32 v124, v124, 0, 8
	v_add_lshl_u32 v129, v37, s31, 2
	v_mul_lo_u32 v124, v127, v124
	v_mov_b32_e32 v127, 0
	v_dot4c_i32_i8_e32 v127, v133, v2
	v_dot4c_i32_i8_e32 v127, v134, v3
	;; [unrolled: 1-line block ×4, first 2 shown]
	v_bfe_i32 v123, v128, 0, 8
                                        ; kill: def $vgpr125 killed $sgpr0 killed $exec
	s_nop 1
	v_mad_u64_u32 v[124:125], s[36:37], v127, v123, v[124:125]
	v_cvt_f32_i32_e32 v124, v124
	v_mul_f32_e32 v123, v122, v126
	v_add_u32_e32 v126, 0x4200, v129
	ds_read2_b32 v[126:127], v126 offset1:1
	v_fmac_f32_e32 v15, v123, v124
	v_add_u32_e32 v123, s34, v39
	ds_read2_b32 v[124:125], v123 offset1:1
	s_waitcnt lgkmcnt(1)
	v_ashrrev_i32_e32 v126, s3, v126
	v_lshlrev_b32_e32 v126, 2, v126
	v_and_b32_e32 v126, 0x4040404, v126
	s_waitcnt lgkmcnt(0)
	v_ashrrev_i32_e32 v124, s23, v124
	v_and_b32_e32 v128, 0x3030303, v124
	v_bfe_u32 v124, v124, 24, 2
	v_sub_u16_e32 v130, v128, v126
	v_sub_u16_sdwa v131, v128, v126 dst_sel:BYTE_1 dst_unused:UNUSED_PAD src0_sel:BYTE_1 src1_sel:BYTE_1
	v_sub_u16_sdwa v124, v124, v126 dst_sel:BYTE_1 dst_unused:UNUSED_PAD src0_sel:DWORD src1_sel:BYTE_3
	v_sub_u16_sdwa v126, v128, v126 dst_sel:DWORD dst_unused:UNUSED_PAD src0_sel:WORD_1 src1_sel:WORD_1
	v_or_b32_sdwa v130, v130, v131 dst_sel:DWORD dst_unused:UNUSED_PAD src0_sel:BYTE_0 src1_sel:DWORD
	v_or_b32_sdwa v124, v126, v124 dst_sel:WORD_1 dst_unused:UNUSED_PAD src0_sel:BYTE_0 src1_sel:DWORD
	v_ashrrev_i32_e32 v126, s3, v127
	v_or_b32_sdwa v128, v130, v124 dst_sel:DWORD dst_unused:UNUSED_PAD src0_sel:WORD_0 src1_sel:DWORD
	v_ashrrev_i32_e32 v124, s23, v125
	v_lshlrev_b32_e32 v126, 2, v126
	v_and_b32_e32 v125, 0x3030303, v124
	v_bfe_u32 v124, v124, 24, 2
	v_and_b32_e32 v126, 0x4040404, v126
	v_sub_u16_e32 v127, v125, v126
	v_sub_u16_sdwa v130, v125, v126 dst_sel:BYTE_1 dst_unused:UNUSED_PAD src0_sel:BYTE_1 src1_sel:BYTE_1
	v_sub_u16_sdwa v124, v124, v126 dst_sel:BYTE_1 dst_unused:UNUSED_PAD src0_sel:DWORD src1_sel:BYTE_3
	v_sub_u16_sdwa v125, v125, v126 dst_sel:DWORD dst_unused:UNUSED_PAD src0_sel:WORD_1 src1_sel:WORD_1
	v_or_b32_sdwa v127, v127, v130 dst_sel:DWORD dst_unused:UNUSED_PAD src0_sel:BYTE_0 src1_sel:DWORD
	v_or_b32_sdwa v124, v125, v124 dst_sel:WORD_1 dst_unused:UNUSED_PAD src0_sel:BYTE_0 src1_sel:DWORD
	v_add_u32_e32 v126, 0x4208, v129
	v_or_b32_sdwa v130, v127, v124 dst_sel:DWORD dst_unused:UNUSED_PAD src0_sel:WORD_0 src1_sel:DWORD
	ds_read2_b32 v[124:125], v123 offset0:2 offset1:3
	ds_read2_b32 v[126:127], v126 offset1:1
	s_waitcnt lgkmcnt(1)
	v_ashrrev_i32_e32 v124, s23, v124
	s_waitcnt lgkmcnt(0)
	v_ashrrev_i32_e32 v126, s3, v126
	v_lshlrev_b32_e32 v126, 2, v126
	v_and_b32_e32 v131, 0x3030303, v124
	v_bfe_u32 v124, v124, 24, 2
	v_and_b32_e32 v126, 0x4040404, v126
	v_sub_u16_e32 v132, v131, v126
	v_sub_u16_sdwa v133, v131, v126 dst_sel:BYTE_1 dst_unused:UNUSED_PAD src0_sel:BYTE_1 src1_sel:BYTE_1
	v_sub_u16_sdwa v124, v124, v126 dst_sel:BYTE_1 dst_unused:UNUSED_PAD src0_sel:DWORD src1_sel:BYTE_3
	v_sub_u16_sdwa v126, v131, v126 dst_sel:DWORD dst_unused:UNUSED_PAD src0_sel:WORD_1 src1_sel:WORD_1
	v_or_b32_sdwa v132, v132, v133 dst_sel:DWORD dst_unused:UNUSED_PAD src0_sel:BYTE_0 src1_sel:DWORD
	v_or_b32_sdwa v124, v126, v124 dst_sel:WORD_1 dst_unused:UNUSED_PAD src0_sel:BYTE_0 src1_sel:DWORD
	v_ashrrev_i32_e32 v126, s3, v127
	v_or_b32_sdwa v131, v132, v124 dst_sel:DWORD dst_unused:UNUSED_PAD src0_sel:WORD_0 src1_sel:DWORD
	v_ashrrev_i32_e32 v124, s23, v125
	v_lshlrev_b32_e32 v126, 2, v126
	v_and_b32_e32 v125, 0x3030303, v124
	v_bfe_u32 v124, v124, 24, 2
	v_and_b32_e32 v126, 0x4040404, v126
	v_sub_u16_e32 v127, v125, v126
	v_sub_u16_sdwa v132, v125, v126 dst_sel:BYTE_1 dst_unused:UNUSED_PAD src0_sel:BYTE_1 src1_sel:BYTE_1
	v_sub_u16_sdwa v124, v124, v126 dst_sel:BYTE_1 dst_unused:UNUSED_PAD src0_sel:DWORD src1_sel:BYTE_3
	v_sub_u16_sdwa v125, v125, v126 dst_sel:DWORD dst_unused:UNUSED_PAD src0_sel:WORD_1 src1_sel:WORD_1
	v_or_b32_sdwa v127, v127, v132 dst_sel:DWORD dst_unused:UNUSED_PAD src0_sel:BYTE_0 src1_sel:DWORD
	v_or_b32_sdwa v124, v125, v124 dst_sel:WORD_1 dst_unused:UNUSED_PAD src0_sel:BYTE_0 src1_sel:DWORD
	v_add_u32_e32 v126, 0x4210, v129
	v_or_b32_sdwa v132, v127, v124 dst_sel:DWORD dst_unused:UNUSED_PAD src0_sel:WORD_0 src1_sel:DWORD
	ds_read2_b32 v[124:125], v123 offset0:4 offset1:5
	ds_read2_b32 v[126:127], v126 offset1:1
	s_waitcnt lgkmcnt(1)
	v_ashrrev_i32_e32 v124, s23, v124
	s_waitcnt lgkmcnt(0)
	v_ashrrev_i32_e32 v126, s3, v126
	v_lshlrev_b32_e32 v126, 2, v126
	v_and_b32_e32 v133, 0x3030303, v124
	v_bfe_u32 v124, v124, 24, 2
	v_and_b32_e32 v126, 0x4040404, v126
	;; [unrolled: 31-line block ×3, first 2 shown]
	v_sub_u16_e32 v129, v124, v126
	v_sub_u16_sdwa v135, v124, v126 dst_sel:BYTE_1 dst_unused:UNUSED_PAD src0_sel:BYTE_1 src1_sel:BYTE_1
	v_sub_u16_sdwa v123, v123, v126 dst_sel:BYTE_1 dst_unused:UNUSED_PAD src0_sel:DWORD src1_sel:BYTE_3
	v_sub_u16_sdwa v124, v124, v126 dst_sel:DWORD dst_unused:UNUSED_PAD src0_sel:WORD_1 src1_sel:WORD_1
	v_ashrrev_i32_e32 v126, s3, v127
	v_or_b32_sdwa v123, v124, v123 dst_sel:WORD_1 dst_unused:UNUSED_PAD src0_sel:BYTE_0 src1_sel:DWORD
	v_ashrrev_i32_e32 v124, s23, v125
	v_lshlrev_b32_e32 v126, 2, v126
	v_or_b32_sdwa v129, v129, v135 dst_sel:DWORD dst_unused:UNUSED_PAD src0_sel:BYTE_0 src1_sel:DWORD
	v_and_b32_e32 v125, 0x3030303, v124
	v_bfe_u32 v124, v124, 24, 2
	v_and_b32_e32 v126, 0x4040404, v126
	v_or_b32_sdwa v123, v129, v123 dst_sel:DWORD dst_unused:UNUSED_PAD src0_sel:WORD_0 src1_sel:DWORD
	v_sub_u16_e32 v127, v125, v126
	v_sub_u16_sdwa v129, v125, v126 dst_sel:BYTE_1 dst_unused:UNUSED_PAD src0_sel:BYTE_1 src1_sel:BYTE_1
	v_sub_u16_sdwa v124, v124, v126 dst_sel:BYTE_1 dst_unused:UNUSED_PAD src0_sel:DWORD src1_sel:BYTE_3
	v_sub_u16_sdwa v125, v125, v126 dst_sel:DWORD dst_unused:UNUSED_PAD src0_sel:WORD_1 src1_sel:WORD_1
	v_or_b32_sdwa v127, v127, v129 dst_sel:DWORD dst_unused:UNUSED_PAD src0_sel:BYTE_0 src1_sel:DWORD
	v_or_b32_sdwa v124, v125, v124 dst_sel:WORD_1 dst_unused:UNUSED_PAD src0_sel:BYTE_0 src1_sel:DWORD
	v_or_b32_sdwa v125, v127, v124 dst_sel:DWORD dst_unused:UNUSED_PAD src0_sel:WORD_0 src1_sel:DWORD
	v_add_u32_e32 v124, s33, v89
	v_add_u32_e32 v126, s35, v41
	ds_read_b32 v126, v126
	ds_read_u16 v124, v124 offset:26354
	v_mov_b32_e32 v127, 0
	v_dot4c_i32_i8_e32 v127, v128, v6
	v_dot4c_i32_i8_e32 v127, v130, v7
	;; [unrolled: 1-line block ×4, first 2 shown]
	s_waitcnt lgkmcnt(0)
	v_lshrrev_b16_e32 v128, 8, v124
	v_bfe_i32 v124, v124, 0, 8
	v_add_lshl_u32 v129, v43, s31, 2
	v_mul_lo_u32 v124, v127, v124
	v_mov_b32_e32 v127, 0
	v_dot4c_i32_i8_e32 v127, v133, v2
	v_dot4c_i32_i8_e32 v127, v134, v3
	;; [unrolled: 1-line block ×4, first 2 shown]
	v_bfe_i32 v123, v128, 0, 8
                                        ; kill: def $vgpr125 killed $sgpr0 killed $exec
	s_nop 1
	v_mad_u64_u32 v[124:125], s[36:37], v127, v123, v[124:125]
	v_cvt_f32_i32_e32 v124, v124
	v_mul_f32_e32 v123, v122, v126
	v_add_u32_e32 v126, 0x4200, v129
	ds_read2_b32 v[126:127], v126 offset1:1
	v_fmac_f32_e32 v63, v123, v124
	v_add_u32_e32 v123, s34, v45
	ds_read2_b32 v[124:125], v123 offset1:1
	s_waitcnt lgkmcnt(1)
	v_ashrrev_i32_e32 v126, s3, v126
	v_lshlrev_b32_e32 v126, 2, v126
	v_and_b32_e32 v126, 0x4040404, v126
	s_waitcnt lgkmcnt(0)
	v_ashrrev_i32_e32 v124, s23, v124
	v_and_b32_e32 v128, 0x3030303, v124
	v_bfe_u32 v124, v124, 24, 2
	v_sub_u16_e32 v130, v128, v126
	v_sub_u16_sdwa v131, v128, v126 dst_sel:BYTE_1 dst_unused:UNUSED_PAD src0_sel:BYTE_1 src1_sel:BYTE_1
	v_sub_u16_sdwa v124, v124, v126 dst_sel:BYTE_1 dst_unused:UNUSED_PAD src0_sel:DWORD src1_sel:BYTE_3
	v_sub_u16_sdwa v126, v128, v126 dst_sel:DWORD dst_unused:UNUSED_PAD src0_sel:WORD_1 src1_sel:WORD_1
	v_or_b32_sdwa v130, v130, v131 dst_sel:DWORD dst_unused:UNUSED_PAD src0_sel:BYTE_0 src1_sel:DWORD
	v_or_b32_sdwa v124, v126, v124 dst_sel:WORD_1 dst_unused:UNUSED_PAD src0_sel:BYTE_0 src1_sel:DWORD
	v_ashrrev_i32_e32 v126, s3, v127
	v_or_b32_sdwa v128, v130, v124 dst_sel:DWORD dst_unused:UNUSED_PAD src0_sel:WORD_0 src1_sel:DWORD
	v_ashrrev_i32_e32 v124, s23, v125
	v_lshlrev_b32_e32 v126, 2, v126
	v_and_b32_e32 v125, 0x3030303, v124
	v_bfe_u32 v124, v124, 24, 2
	v_and_b32_e32 v126, 0x4040404, v126
	v_sub_u16_e32 v127, v125, v126
	v_sub_u16_sdwa v130, v125, v126 dst_sel:BYTE_1 dst_unused:UNUSED_PAD src0_sel:BYTE_1 src1_sel:BYTE_1
	v_sub_u16_sdwa v124, v124, v126 dst_sel:BYTE_1 dst_unused:UNUSED_PAD src0_sel:DWORD src1_sel:BYTE_3
	v_sub_u16_sdwa v125, v125, v126 dst_sel:DWORD dst_unused:UNUSED_PAD src0_sel:WORD_1 src1_sel:WORD_1
	v_or_b32_sdwa v127, v127, v130 dst_sel:DWORD dst_unused:UNUSED_PAD src0_sel:BYTE_0 src1_sel:DWORD
	v_or_b32_sdwa v124, v125, v124 dst_sel:WORD_1 dst_unused:UNUSED_PAD src0_sel:BYTE_0 src1_sel:DWORD
	v_add_u32_e32 v126, 0x4208, v129
	v_or_b32_sdwa v130, v127, v124 dst_sel:DWORD dst_unused:UNUSED_PAD src0_sel:WORD_0 src1_sel:DWORD
	ds_read2_b32 v[124:125], v123 offset0:2 offset1:3
	ds_read2_b32 v[126:127], v126 offset1:1
	s_waitcnt lgkmcnt(1)
	v_ashrrev_i32_e32 v124, s23, v124
	s_waitcnt lgkmcnt(0)
	v_ashrrev_i32_e32 v126, s3, v126
	v_lshlrev_b32_e32 v126, 2, v126
	v_and_b32_e32 v131, 0x3030303, v124
	v_bfe_u32 v124, v124, 24, 2
	v_and_b32_e32 v126, 0x4040404, v126
	v_sub_u16_e32 v132, v131, v126
	v_sub_u16_sdwa v133, v131, v126 dst_sel:BYTE_1 dst_unused:UNUSED_PAD src0_sel:BYTE_1 src1_sel:BYTE_1
	v_sub_u16_sdwa v124, v124, v126 dst_sel:BYTE_1 dst_unused:UNUSED_PAD src0_sel:DWORD src1_sel:BYTE_3
	v_sub_u16_sdwa v126, v131, v126 dst_sel:DWORD dst_unused:UNUSED_PAD src0_sel:WORD_1 src1_sel:WORD_1
	v_or_b32_sdwa v132, v132, v133 dst_sel:DWORD dst_unused:UNUSED_PAD src0_sel:BYTE_0 src1_sel:DWORD
	v_or_b32_sdwa v124, v126, v124 dst_sel:WORD_1 dst_unused:UNUSED_PAD src0_sel:BYTE_0 src1_sel:DWORD
	v_ashrrev_i32_e32 v126, s3, v127
	v_or_b32_sdwa v131, v132, v124 dst_sel:DWORD dst_unused:UNUSED_PAD src0_sel:WORD_0 src1_sel:DWORD
	v_ashrrev_i32_e32 v124, s23, v125
	v_lshlrev_b32_e32 v126, 2, v126
	v_and_b32_e32 v125, 0x3030303, v124
	v_bfe_u32 v124, v124, 24, 2
	v_and_b32_e32 v126, 0x4040404, v126
	v_sub_u16_e32 v127, v125, v126
	v_sub_u16_sdwa v132, v125, v126 dst_sel:BYTE_1 dst_unused:UNUSED_PAD src0_sel:BYTE_1 src1_sel:BYTE_1
	v_sub_u16_sdwa v124, v124, v126 dst_sel:BYTE_1 dst_unused:UNUSED_PAD src0_sel:DWORD src1_sel:BYTE_3
	v_sub_u16_sdwa v125, v125, v126 dst_sel:DWORD dst_unused:UNUSED_PAD src0_sel:WORD_1 src1_sel:WORD_1
	v_or_b32_sdwa v127, v127, v132 dst_sel:DWORD dst_unused:UNUSED_PAD src0_sel:BYTE_0 src1_sel:DWORD
	v_or_b32_sdwa v124, v125, v124 dst_sel:WORD_1 dst_unused:UNUSED_PAD src0_sel:BYTE_0 src1_sel:DWORD
	v_add_u32_e32 v126, 0x4210, v129
	v_or_b32_sdwa v132, v127, v124 dst_sel:DWORD dst_unused:UNUSED_PAD src0_sel:WORD_0 src1_sel:DWORD
	ds_read2_b32 v[124:125], v123 offset0:4 offset1:5
	ds_read2_b32 v[126:127], v126 offset1:1
	s_waitcnt lgkmcnt(1)
	v_ashrrev_i32_e32 v124, s23, v124
	s_waitcnt lgkmcnt(0)
	v_ashrrev_i32_e32 v126, s3, v126
	v_lshlrev_b32_e32 v126, 2, v126
	v_and_b32_e32 v133, 0x3030303, v124
	v_bfe_u32 v124, v124, 24, 2
	v_and_b32_e32 v126, 0x4040404, v126
	;; [unrolled: 31-line block ×3, first 2 shown]
	v_sub_u16_e32 v129, v124, v126
	v_sub_u16_sdwa v135, v124, v126 dst_sel:BYTE_1 dst_unused:UNUSED_PAD src0_sel:BYTE_1 src1_sel:BYTE_1
	v_sub_u16_sdwa v123, v123, v126 dst_sel:BYTE_1 dst_unused:UNUSED_PAD src0_sel:DWORD src1_sel:BYTE_3
	v_sub_u16_sdwa v124, v124, v126 dst_sel:DWORD dst_unused:UNUSED_PAD src0_sel:WORD_1 src1_sel:WORD_1
	v_ashrrev_i32_e32 v126, s3, v127
	v_or_b32_sdwa v123, v124, v123 dst_sel:WORD_1 dst_unused:UNUSED_PAD src0_sel:BYTE_0 src1_sel:DWORD
	v_ashrrev_i32_e32 v124, s23, v125
	v_lshlrev_b32_e32 v126, 2, v126
	v_or_b32_sdwa v129, v129, v135 dst_sel:DWORD dst_unused:UNUSED_PAD src0_sel:BYTE_0 src1_sel:DWORD
	v_and_b32_e32 v125, 0x3030303, v124
	v_bfe_u32 v124, v124, 24, 2
	v_and_b32_e32 v126, 0x4040404, v126
	v_or_b32_sdwa v123, v129, v123 dst_sel:DWORD dst_unused:UNUSED_PAD src0_sel:WORD_0 src1_sel:DWORD
	v_sub_u16_e32 v127, v125, v126
	v_sub_u16_sdwa v129, v125, v126 dst_sel:BYTE_1 dst_unused:UNUSED_PAD src0_sel:BYTE_1 src1_sel:BYTE_1
	v_sub_u16_sdwa v124, v124, v126 dst_sel:BYTE_1 dst_unused:UNUSED_PAD src0_sel:DWORD src1_sel:BYTE_3
	v_sub_u16_sdwa v125, v125, v126 dst_sel:DWORD dst_unused:UNUSED_PAD src0_sel:WORD_1 src1_sel:WORD_1
	v_or_b32_sdwa v127, v127, v129 dst_sel:DWORD dst_unused:UNUSED_PAD src0_sel:BYTE_0 src1_sel:DWORD
	v_or_b32_sdwa v124, v125, v124 dst_sel:WORD_1 dst_unused:UNUSED_PAD src0_sel:BYTE_0 src1_sel:DWORD
	v_or_b32_sdwa v125, v127, v124 dst_sel:DWORD dst_unused:UNUSED_PAD src0_sel:WORD_0 src1_sel:DWORD
	v_add_u32_e32 v124, s33, v87
	v_add_u32_e32 v126, s35, v49
	ds_read_b32 v126, v126
	ds_read_u16 v124, v124 offset:27378
	v_mov_b32_e32 v127, 0
	v_dot4c_i32_i8_e32 v127, v128, v6
	v_dot4c_i32_i8_e32 v127, v130, v7
	;; [unrolled: 1-line block ×4, first 2 shown]
	s_waitcnt lgkmcnt(0)
	v_lshrrev_b16_e32 v128, 8, v124
	v_bfe_i32 v124, v124, 0, 8
	v_add_lshl_u32 v129, v51, s31, 2
	v_mul_lo_u32 v124, v127, v124
	v_mov_b32_e32 v127, 0
	v_dot4c_i32_i8_e32 v127, v133, v2
	v_dot4c_i32_i8_e32 v127, v134, v3
	;; [unrolled: 1-line block ×4, first 2 shown]
	v_bfe_i32 v123, v128, 0, 8
                                        ; kill: def $vgpr125 killed $sgpr0 killed $exec
	s_nop 1
	v_mad_u64_u32 v[124:125], s[36:37], v127, v123, v[124:125]
	v_cvt_f32_i32_e32 v124, v124
	v_mul_f32_e32 v123, v122, v126
	v_add_u32_e32 v126, 0x4200, v129
	ds_read2_b32 v[126:127], v126 offset1:1
	v_fmac_f32_e32 v47, v123, v124
	v_add_u32_e32 v123, s34, v53
	ds_read2_b32 v[124:125], v123 offset1:1
	s_waitcnt lgkmcnt(1)
	v_ashrrev_i32_e32 v126, s3, v126
	v_lshlrev_b32_e32 v126, 2, v126
	v_and_b32_e32 v126, 0x4040404, v126
	s_waitcnt lgkmcnt(0)
	v_ashrrev_i32_e32 v124, s23, v124
	v_and_b32_e32 v128, 0x3030303, v124
	v_bfe_u32 v124, v124, 24, 2
	v_sub_u16_e32 v130, v128, v126
	v_sub_u16_sdwa v131, v128, v126 dst_sel:BYTE_1 dst_unused:UNUSED_PAD src0_sel:BYTE_1 src1_sel:BYTE_1
	v_sub_u16_sdwa v124, v124, v126 dst_sel:BYTE_1 dst_unused:UNUSED_PAD src0_sel:DWORD src1_sel:BYTE_3
	v_sub_u16_sdwa v126, v128, v126 dst_sel:DWORD dst_unused:UNUSED_PAD src0_sel:WORD_1 src1_sel:WORD_1
	v_or_b32_sdwa v130, v130, v131 dst_sel:DWORD dst_unused:UNUSED_PAD src0_sel:BYTE_0 src1_sel:DWORD
	v_or_b32_sdwa v124, v126, v124 dst_sel:WORD_1 dst_unused:UNUSED_PAD src0_sel:BYTE_0 src1_sel:DWORD
	v_ashrrev_i32_e32 v126, s3, v127
	v_or_b32_sdwa v128, v130, v124 dst_sel:DWORD dst_unused:UNUSED_PAD src0_sel:WORD_0 src1_sel:DWORD
	v_ashrrev_i32_e32 v124, s23, v125
	v_lshlrev_b32_e32 v126, 2, v126
	v_and_b32_e32 v125, 0x3030303, v124
	v_bfe_u32 v124, v124, 24, 2
	v_and_b32_e32 v126, 0x4040404, v126
	v_sub_u16_e32 v127, v125, v126
	v_sub_u16_sdwa v130, v125, v126 dst_sel:BYTE_1 dst_unused:UNUSED_PAD src0_sel:BYTE_1 src1_sel:BYTE_1
	v_sub_u16_sdwa v124, v124, v126 dst_sel:BYTE_1 dst_unused:UNUSED_PAD src0_sel:DWORD src1_sel:BYTE_3
	v_sub_u16_sdwa v125, v125, v126 dst_sel:DWORD dst_unused:UNUSED_PAD src0_sel:WORD_1 src1_sel:WORD_1
	v_or_b32_sdwa v127, v127, v130 dst_sel:DWORD dst_unused:UNUSED_PAD src0_sel:BYTE_0 src1_sel:DWORD
	v_or_b32_sdwa v124, v125, v124 dst_sel:WORD_1 dst_unused:UNUSED_PAD src0_sel:BYTE_0 src1_sel:DWORD
	v_add_u32_e32 v126, 0x4208, v129
	v_or_b32_sdwa v130, v127, v124 dst_sel:DWORD dst_unused:UNUSED_PAD src0_sel:WORD_0 src1_sel:DWORD
	ds_read2_b32 v[124:125], v123 offset0:2 offset1:3
	ds_read2_b32 v[126:127], v126 offset1:1
	s_waitcnt lgkmcnt(1)
	v_ashrrev_i32_e32 v124, s23, v124
	s_waitcnt lgkmcnt(0)
	v_ashrrev_i32_e32 v126, s3, v126
	v_lshlrev_b32_e32 v126, 2, v126
	v_and_b32_e32 v131, 0x3030303, v124
	v_bfe_u32 v124, v124, 24, 2
	v_and_b32_e32 v126, 0x4040404, v126
	v_sub_u16_e32 v132, v131, v126
	v_sub_u16_sdwa v133, v131, v126 dst_sel:BYTE_1 dst_unused:UNUSED_PAD src0_sel:BYTE_1 src1_sel:BYTE_1
	v_sub_u16_sdwa v124, v124, v126 dst_sel:BYTE_1 dst_unused:UNUSED_PAD src0_sel:DWORD src1_sel:BYTE_3
	v_sub_u16_sdwa v126, v131, v126 dst_sel:DWORD dst_unused:UNUSED_PAD src0_sel:WORD_1 src1_sel:WORD_1
	v_or_b32_sdwa v132, v132, v133 dst_sel:DWORD dst_unused:UNUSED_PAD src0_sel:BYTE_0 src1_sel:DWORD
	v_or_b32_sdwa v124, v126, v124 dst_sel:WORD_1 dst_unused:UNUSED_PAD src0_sel:BYTE_0 src1_sel:DWORD
	v_ashrrev_i32_e32 v126, s3, v127
	v_or_b32_sdwa v131, v132, v124 dst_sel:DWORD dst_unused:UNUSED_PAD src0_sel:WORD_0 src1_sel:DWORD
	v_ashrrev_i32_e32 v124, s23, v125
	v_lshlrev_b32_e32 v126, 2, v126
	v_and_b32_e32 v125, 0x3030303, v124
	v_bfe_u32 v124, v124, 24, 2
	v_and_b32_e32 v126, 0x4040404, v126
	v_sub_u16_e32 v127, v125, v126
	v_sub_u16_sdwa v132, v125, v126 dst_sel:BYTE_1 dst_unused:UNUSED_PAD src0_sel:BYTE_1 src1_sel:BYTE_1
	v_sub_u16_sdwa v124, v124, v126 dst_sel:BYTE_1 dst_unused:UNUSED_PAD src0_sel:DWORD src1_sel:BYTE_3
	v_sub_u16_sdwa v125, v125, v126 dst_sel:DWORD dst_unused:UNUSED_PAD src0_sel:WORD_1 src1_sel:WORD_1
	v_or_b32_sdwa v127, v127, v132 dst_sel:DWORD dst_unused:UNUSED_PAD src0_sel:BYTE_0 src1_sel:DWORD
	v_or_b32_sdwa v124, v125, v124 dst_sel:WORD_1 dst_unused:UNUSED_PAD src0_sel:BYTE_0 src1_sel:DWORD
	v_add_u32_e32 v126, 0x4210, v129
	v_or_b32_sdwa v132, v127, v124 dst_sel:DWORD dst_unused:UNUSED_PAD src0_sel:WORD_0 src1_sel:DWORD
	ds_read2_b32 v[124:125], v123 offset0:4 offset1:5
	ds_read2_b32 v[126:127], v126 offset1:1
	s_waitcnt lgkmcnt(1)
	v_ashrrev_i32_e32 v124, s23, v124
	s_waitcnt lgkmcnt(0)
	v_ashrrev_i32_e32 v126, s3, v126
	v_lshlrev_b32_e32 v126, 2, v126
	v_and_b32_e32 v133, 0x3030303, v124
	v_bfe_u32 v124, v124, 24, 2
	v_and_b32_e32 v126, 0x4040404, v126
	v_sub_u16_e32 v134, v133, v126
	v_sub_u16_sdwa v135, v133, v126 dst_sel:BYTE_1 dst_unused:UNUSED_PAD src0_sel:BYTE_1 src1_sel:BYTE_1
	v_sub_u16_sdwa v124, v124, v126 dst_sel:BYTE_1 dst_unused:UNUSED_PAD src0_sel:DWORD src1_sel:BYTE_3
	v_sub_u16_sdwa v126, v133, v126 dst_sel:DWORD dst_unused:UNUSED_PAD src0_sel:WORD_1 src1_sel:WORD_1
	v_or_b32_sdwa v134, v134, v135 dst_sel:DWORD dst_unused:UNUSED_PAD src0_sel:BYTE_0 src1_sel:DWORD
	v_or_b32_sdwa v124, v126, v124 dst_sel:WORD_1 dst_unused:UNUSED_PAD src0_sel:BYTE_0 src1_sel:DWORD
	v_ashrrev_i32_e32 v126, s3, v127
	v_or_b32_sdwa v133, v134, v124 dst_sel:DWORD dst_unused:UNUSED_PAD src0_sel:WORD_0 src1_sel:DWORD
	v_ashrrev_i32_e32 v124, s23, v125
	v_lshlrev_b32_e32 v126, 2, v126
	v_and_b32_e32 v125, 0x3030303, v124
	v_bfe_u32 v124, v124, 24, 2
	v_and_b32_e32 v126, 0x4040404, v126
	v_sub_u16_e32 v127, v125, v126
	v_sub_u16_sdwa v134, v125, v126 dst_sel:BYTE_1 dst_unused:UNUSED_PAD src0_sel:BYTE_1 src1_sel:BYTE_1
	v_sub_u16_sdwa v124, v124, v126 dst_sel:BYTE_1 dst_unused:UNUSED_PAD src0_sel:DWORD src1_sel:BYTE_3
	v_sub_u16_sdwa v125, v125, v126 dst_sel:DWORD dst_unused:UNUSED_PAD src0_sel:WORD_1 src1_sel:WORD_1
	v_or_b32_sdwa v127, v127, v134 dst_sel:DWORD dst_unused:UNUSED_PAD src0_sel:BYTE_0 src1_sel:DWORD
	v_or_b32_sdwa v124, v125, v124 dst_sel:WORD_1 dst_unused:UNUSED_PAD src0_sel:BYTE_0 src1_sel:DWORD
	v_add_u32_e32 v126, 0x4218, v129
	v_or_b32_sdwa v134, v127, v124 dst_sel:DWORD dst_unused:UNUSED_PAD src0_sel:WORD_0 src1_sel:DWORD
	ds_read2_b32 v[124:125], v123 offset0:6 offset1:7
	ds_read2_b32 v[126:127], v126 offset1:1
	s_waitcnt lgkmcnt(1)
	v_ashrrev_i32_e32 v123, s23, v124
	s_waitcnt lgkmcnt(0)
	v_ashrrev_i32_e32 v126, s3, v126
	v_lshlrev_b32_e32 v126, 2, v126
	v_and_b32_e32 v124, 0x3030303, v123
	v_bfe_u32 v123, v123, 24, 2
	v_and_b32_e32 v126, 0x4040404, v126
	v_sub_u16_e32 v129, v124, v126
	v_sub_u16_sdwa v135, v124, v126 dst_sel:BYTE_1 dst_unused:UNUSED_PAD src0_sel:BYTE_1 src1_sel:BYTE_1
	v_sub_u16_sdwa v123, v123, v126 dst_sel:BYTE_1 dst_unused:UNUSED_PAD src0_sel:DWORD src1_sel:BYTE_3
	v_sub_u16_sdwa v124, v124, v126 dst_sel:DWORD dst_unused:UNUSED_PAD src0_sel:WORD_1 src1_sel:WORD_1
	v_ashrrev_i32_e32 v126, s3, v127
	v_or_b32_sdwa v123, v124, v123 dst_sel:WORD_1 dst_unused:UNUSED_PAD src0_sel:BYTE_0 src1_sel:DWORD
	v_ashrrev_i32_e32 v124, s23, v125
	v_lshlrev_b32_e32 v126, 2, v126
	v_or_b32_sdwa v129, v129, v135 dst_sel:DWORD dst_unused:UNUSED_PAD src0_sel:BYTE_0 src1_sel:DWORD
	v_and_b32_e32 v125, 0x3030303, v124
	v_bfe_u32 v124, v124, 24, 2
	v_and_b32_e32 v126, 0x4040404, v126
	v_or_b32_sdwa v123, v129, v123 dst_sel:DWORD dst_unused:UNUSED_PAD src0_sel:WORD_0 src1_sel:DWORD
	v_sub_u16_e32 v127, v125, v126
	v_sub_u16_sdwa v129, v125, v126 dst_sel:BYTE_1 dst_unused:UNUSED_PAD src0_sel:BYTE_1 src1_sel:BYTE_1
	v_sub_u16_sdwa v124, v124, v126 dst_sel:BYTE_1 dst_unused:UNUSED_PAD src0_sel:DWORD src1_sel:BYTE_3
	v_sub_u16_sdwa v125, v125, v126 dst_sel:DWORD dst_unused:UNUSED_PAD src0_sel:WORD_1 src1_sel:WORD_1
	v_or_b32_sdwa v127, v127, v129 dst_sel:DWORD dst_unused:UNUSED_PAD src0_sel:BYTE_0 src1_sel:DWORD
	v_or_b32_sdwa v124, v125, v124 dst_sel:WORD_1 dst_unused:UNUSED_PAD src0_sel:BYTE_0 src1_sel:DWORD
	v_or_b32_sdwa v124, v127, v124 dst_sel:DWORD dst_unused:UNUSED_PAD src0_sel:WORD_0 src1_sel:DWORD
	v_add_u32_e32 v125, s33, v85
	v_add_u32_e32 v126, s35, v55
	v_mov_b32_e32 v127, 0
	ds_read_b32 v126, v126
	v_dot4c_i32_i8_e32 v127, v128, v6
	ds_read_u16 v6, v125 offset:28402
	v_dot4c_i32_i8_e32 v127, v130, v7
	v_dot4c_i32_i8_e32 v127, v131, v8
	v_mov_b32_e32 v8, 0
	v_dot4c_i32_i8_e32 v8, v133, v2
	v_dot4c_i32_i8_e32 v8, v134, v3
	;; [unrolled: 1-line block ×3, first 2 shown]
	s_waitcnt lgkmcnt(0)
	v_lshrrev_b16_e32 v7, 8, v6
	v_bfe_i32 v6, v6, 0, 8
	v_dot4c_i32_i8_e32 v8, v123, v4
	v_mul_lo_u32 v6, v127, v6
	v_dot4c_i32_i8_e32 v8, v124, v5
	v_bfe_i32 v2, v7, 0, 8
	s_add_i32 s3, s3, 1
	s_cmp_lt_u32 s22, 30
	v_mad_u64_u32 v[2:3], s[34:35], v8, v2, v[6:7]
	v_cvt_f32_i32_e32 v2, v2
	v_mul_f32_e32 v3, v122, v126
	s_mov_b32 s33, s22
	v_fmac_f32_e32 v11, v3, v2
	s_cbranch_scc1 .LBB230_36
; %bb.37:                               ;   in Loop: Header=BB230_5 Depth=1
	s_barrier
	s_branch .LBB230_4
.LBB230_38:
	v_mov_b32_e32 v47, 0
	v_mov_b32_e32 v63, 0
	;; [unrolled: 1-line block ×3, first 2 shown]
.LBB230_39:
	s_mul_i32 s0, s14, s11
	s_waitcnt vmcnt(0)
	v_cmp_gt_i32_e32 vcc, s0, v13
	s_and_saveexec_b64 s[0:1], vcc
	s_cbranch_execz .LBB230_48
; %bb.40:
	v_and_b32_e32 v0, 0x3ff, v0
	v_add_u32_e32 v1, s15, v0
	v_mul_lo_u32 v0, v13, s13
	v_cmp_gt_u32_e32 vcc, s13, v1
	s_and_saveexec_b64 s[0:1], vcc
	s_cbranch_execz .LBB230_42
; %bb.41:
	v_bfe_u32 v2, v15, 16, 1
	s_movk_i32 s2, 0x7fff
	v_add3_u32 v2, v15, v2, s2
	v_lshrrev_b32_e32 v2, 16, v2
	v_mov_b32_e32 v3, 0x7fc0
	v_cmp_o_f32_e32 vcc, v15, v15
	v_cndmask_b32_e32 v4, v3, v2, vcc
	v_add_u32_e32 v2, v0, v1
	v_mov_b32_e32 v3, 0
	v_lshlrev_b64 v[2:3], 1, v[2:3]
	v_mov_b32_e32 v5, s17
	v_add_co_u32_e32 v2, vcc, s16, v2
	v_addc_co_u32_e32 v3, vcc, v5, v3, vcc
	global_store_short v[2:3], v4, off
.LBB230_42:
	s_or_b64 exec, exec, s[0:1]
	v_add_u32_e32 v2, 32, v1
	v_cmp_gt_u32_e32 vcc, s13, v2
	s_and_saveexec_b64 s[0:1], vcc
	s_cbranch_execz .LBB230_44
; %bb.43:
	v_bfe_u32 v3, v63, 16, 1
	s_movk_i32 s2, 0x7fff
	v_add3_u32 v3, v63, v3, s2
	v_lshrrev_b32_e32 v3, 16, v3
	v_mov_b32_e32 v4, 0x7fc0
	v_cmp_o_f32_e32 vcc, v63, v63
	v_cndmask_b32_e32 v4, v4, v3, vcc
	v_add_u32_e32 v2, v0, v2
	v_mov_b32_e32 v3, 0
	v_lshlrev_b64 v[2:3], 1, v[2:3]
	v_mov_b32_e32 v5, s17
	v_add_co_u32_e32 v2, vcc, s16, v2
	v_addc_co_u32_e32 v3, vcc, v5, v3, vcc
	global_store_short v[2:3], v4, off
.LBB230_44:
	s_or_b64 exec, exec, s[0:1]
	v_add_u32_e32 v2, 64, v1
	;; [unrolled: 21-line block ×3, first 2 shown]
	v_cmp_gt_u32_e32 vcc, s13, v1
	s_and_b64 exec, exec, vcc
	s_cbranch_execz .LBB230_48
; %bb.47:
	v_bfe_u32 v2, v11, 16, 1
	s_movk_i32 s0, 0x7fff
	v_add3_u32 v2, v11, v2, s0
	v_add_u32_e32 v0, v0, v1
	v_mov_b32_e32 v1, 0
	v_lshrrev_b32_e32 v2, 16, v2
	v_mov_b32_e32 v3, 0x7fc0
	v_cmp_o_f32_e32 vcc, v11, v11
	v_lshlrev_b64 v[0:1], 1, v[0:1]
	v_cndmask_b32_e32 v2, v3, v2, vcc
	v_mov_b32_e32 v3, s17
	v_add_co_u32_e32 v0, vcc, s16, v0
	v_addc_co_u32_e32 v1, vcc, v3, v1, vcc
	global_store_short v[0:1], v2, off
.LBB230_48:
	s_endpgm
	.section	.rodata,"a",@progbits
	.p2align	6, 0x0
	.amdhsa_kernel _ZL8moe_q3_KIN3c108BFloat16ELb1EEvPKvS3_PT_PKiS7_S7_iiiiiii
		.amdhsa_group_segment_fixed_size 31776
		.amdhsa_private_segment_fixed_size 0
		.amdhsa_kernarg_size 76
		.amdhsa_user_sgpr_count 6
		.amdhsa_user_sgpr_private_segment_buffer 1
		.amdhsa_user_sgpr_dispatch_ptr 0
		.amdhsa_user_sgpr_queue_ptr 0
		.amdhsa_user_sgpr_kernarg_segment_ptr 1
		.amdhsa_user_sgpr_dispatch_id 0
		.amdhsa_user_sgpr_flat_scratch_init 0
		.amdhsa_user_sgpr_kernarg_preload_length 0
		.amdhsa_user_sgpr_kernarg_preload_offset 0
		.amdhsa_user_sgpr_private_segment_size 0
		.amdhsa_uses_dynamic_stack 0
		.amdhsa_system_sgpr_private_segment_wavefront_offset 0
		.amdhsa_system_sgpr_workgroup_id_x 1
		.amdhsa_system_sgpr_workgroup_id_y 1
		.amdhsa_system_sgpr_workgroup_id_z 0
		.amdhsa_system_sgpr_workgroup_info 0
		.amdhsa_system_vgpr_workitem_id 1
		.amdhsa_next_free_vgpr 150
		.amdhsa_next_free_sgpr 40
		.amdhsa_accum_offset 152
		.amdhsa_reserve_vcc 1
		.amdhsa_reserve_flat_scratch 0
		.amdhsa_float_round_mode_32 0
		.amdhsa_float_round_mode_16_64 0
		.amdhsa_float_denorm_mode_32 3
		.amdhsa_float_denorm_mode_16_64 3
		.amdhsa_dx10_clamp 1
		.amdhsa_ieee_mode 1
		.amdhsa_fp16_overflow 0
		.amdhsa_tg_split 0
		.amdhsa_exception_fp_ieee_invalid_op 0
		.amdhsa_exception_fp_denorm_src 0
		.amdhsa_exception_fp_ieee_div_zero 0
		.amdhsa_exception_fp_ieee_overflow 0
		.amdhsa_exception_fp_ieee_underflow 0
		.amdhsa_exception_fp_ieee_inexact 0
		.amdhsa_exception_int_div_zero 0
	.end_amdhsa_kernel
	.section	.text._ZL8moe_q3_KIN3c108BFloat16ELb1EEvPKvS3_PT_PKiS7_S7_iiiiiii,"axG",@progbits,_ZL8moe_q3_KIN3c108BFloat16ELb1EEvPKvS3_PT_PKiS7_S7_iiiiiii,comdat
.Lfunc_end230:
	.size	_ZL8moe_q3_KIN3c108BFloat16ELb1EEvPKvS3_PT_PKiS7_S7_iiiiiii, .Lfunc_end230-_ZL8moe_q3_KIN3c108BFloat16ELb1EEvPKvS3_PT_PKiS7_S7_iiiiiii
                                        ; -- End function
	.section	.AMDGPU.csdata,"",@progbits
; Kernel info:
; codeLenInByte = 20656
; NumSgprs: 44
; NumVgprs: 150
; NumAgprs: 0
; TotalNumVgprs: 150
; ScratchSize: 0
; MemoryBound: 0
; FloatMode: 240
; IeeeMode: 1
; LDSByteSize: 31776 bytes/workgroup (compile time only)
; SGPRBlocks: 5
; VGPRBlocks: 18
; NumSGPRsForWavesPerEU: 44
; NumVGPRsForWavesPerEU: 150
; AccumOffset: 152
; Occupancy: 2
; WaveLimiterHint : 1
; COMPUTE_PGM_RSRC2:SCRATCH_EN: 0
; COMPUTE_PGM_RSRC2:USER_SGPR: 6
; COMPUTE_PGM_RSRC2:TRAP_HANDLER: 0
; COMPUTE_PGM_RSRC2:TGID_X_EN: 1
; COMPUTE_PGM_RSRC2:TGID_Y_EN: 1
; COMPUTE_PGM_RSRC2:TGID_Z_EN: 0
; COMPUTE_PGM_RSRC2:TIDIG_COMP_CNT: 1
; COMPUTE_PGM_RSRC3_GFX90A:ACCUM_OFFSET: 37
; COMPUTE_PGM_RSRC3_GFX90A:TG_SPLIT: 0
	.section	.text._ZL8moe_q4_KIN3c108BFloat16ELb0EEvPKvS3_PT_PKiS7_S7_iiiiiii,"axG",@progbits,_ZL8moe_q4_KIN3c108BFloat16ELb0EEvPKvS3_PT_PKiS7_S7_iiiiiii,comdat
	.globl	_ZL8moe_q4_KIN3c108BFloat16ELb0EEvPKvS3_PT_PKiS7_S7_iiiiiii ; -- Begin function _ZL8moe_q4_KIN3c108BFloat16ELb0EEvPKvS3_PT_PKiS7_S7_iiiiiii
	.p2align	8
	.type	_ZL8moe_q4_KIN3c108BFloat16ELb0EEvPKvS3_PT_PKiS7_S7_iiiiiii,@function
_ZL8moe_q4_KIN3c108BFloat16ELb0EEvPKvS3_PT_PKiS7_S7_iiiiiii: ; @_ZL8moe_q4_KIN3c108BFloat16ELb0EEvPKvS3_PT_PKiS7_S7_iiiiiii
; %bb.0:
	s_load_dwordx4 s[0:3], s[4:5], 0x18
	s_mov_b32 s8, s7
	s_mov_b32 s9, 0
	s_lshl_b64 s[10:11], s[8:9], 2
	s_waitcnt lgkmcnt(0)
	s_add_u32 s2, s2, s10
	s_addc_u32 s3, s3, s11
	s_load_dword s2, s[2:3], 0x0
	s_waitcnt lgkmcnt(0)
	s_cmpk_gt_u32 s2, 0xff
	s_cbranch_scc1 .LBB231_28
; %bb.1:
	s_load_dwordx2 s[10:11], s[4:5], 0x28
	s_lshl_b32 s3, s8, 3
	s_waitcnt lgkmcnt(0)
	s_load_dword s7, s[10:11], 0x0
	s_waitcnt lgkmcnt(0)
	s_cmp_gt_u32 s3, s7
	s_cbranch_scc1 .LBB231_28
; %bb.2:
	v_bfe_u32 v2, v0, 10, 10
	v_add_u32_e32 v44, s3, v2
	v_mov_b32_e32 v45, 0
	v_lshlrev_b64 v[4:5], 2, v[44:45]
	v_mov_b32_e32 v1, s1
	v_add_co_u32_e32 v4, vcc, s0, v4
	v_addc_co_u32_e32 v5, vcc, v1, v5, vcc
	global_load_dword v90, v[4:5], off
	s_load_dwordx2 s[18:19], s[4:5], 0x30
	s_load_dwordx2 s[16:17], s[4:5], 0x10
	s_load_dwordx4 s[8:11], s[4:5], 0x3c
	s_lshl_b32 s24, s6, 7
	s_mov_b32 s20, 0
	s_waitcnt lgkmcnt(0)
	s_cmpk_lt_i32 s19, 0x100
	s_cbranch_scc1 .LBB231_18
; %bb.3:
	s_ashr_i32 s0, s19, 31
	s_lshr_b32 s0, s0, 24
	s_add_i32 s0, s19, s0
	s_ashr_i32 s25, s0, 8
	s_ashr_i32 s0, s9, 31
	s_lshr_b32 s0, s0, 27
	s_add_i32 s0, s9, s0
	v_and_b32_e32 v91, 0x3ff, v0
	s_ashr_i32 s9, s0, 5
	v_lshlrev_b32_e32 v1, 2, v91
	s_movk_i32 s0, 0x84
	v_mad_u32_u24 v92, v2, s0, v1
	s_lshl_b32 s0, s25, 3
	v_mov_b32_e32 v4, s0
	v_mad_i32_i24 v9, s25, v2, v4
	v_add_u32_e32 v10, s0, v9
	v_add_u32_e32 v11, s0, v10
	;; [unrolled: 1-line block ×6, first 2 shown]
	v_lshlrev_b32_e32 v4, 5, v2
	v_add_u32_e32 v16, s0, v15
	v_add_u32_e32 v5, v4, v91
	v_and_b32_e32 v24, 3, v91
	v_add_u32_e32 v17, s0, v16
	v_and_b32_e32 v7, 0x7f, v5
	v_lshrrev_b32_e32 v22, 3, v5
	v_add_u32_e32 v25, 0xfe, v24
	v_cmp_gt_u32_e32 vcc, 2, v24
	s_mul_i32 s18, s2, s18
	v_add_u32_e32 v18, s0, v17
	v_mul_i32_i24_e32 v58, s25, v7
	v_and_b32_e32 v22, 12, v22
	v_lshlrev_b32_e32 v7, 2, v7
	s_movk_i32 s2, 0x4e40
	v_cndmask_b32_e32 v25, v25, v24, vcc
	v_add_u32_e32 v19, s0, v18
	v_add3_u32 v108, v7, v22, s2
	v_lshlrev_b32_e32 v7, 3, v2
	v_lshrrev_b32_e32 v22, 2, v91
	v_and_b32_e32 v25, 0xff, v25
	v_cmp_ne_u32_e32 vcc, 0, v24
	v_add_u32_e32 v20, s0, v19
	v_add_u32_e32 v23, v22, v7
	v_addc_co_u32_e32 v59, vcc, 0, v25, vcc
	v_add_u16_e32 v7, v22, v7
	v_add_u32_e32 v21, s0, v20
	v_cmp_lt_u32_e32 vcc, 1, v24
	v_and_b32_e32 v23, 0x7f, v23
	v_lshlrev_b32_e32 v24, 2, v24
	v_lshrrev_b16_e32 v7, 1, v7
	s_load_dwordx4 s[12:15], s[4:5], 0x0
	v_add_u32_e32 v45, s0, v21
	v_lshlrev_b32_e32 v110, 1, v25
	v_lshl_or_b32 v25, v23, 4, v24
	v_and_b32_e32 v7, 60, v7
	s_movk_i32 s0, 0x4200
	v_add3_u32 v111, v25, v7, s0
	v_xor_b32_e32 v7, 64, v23
	v_mul_i32_i24_e32 v66, s25, v7
	v_lshl_or_b32 v22, v7, 4, v24
	v_lshrrev_b32_e32 v7, 1, v7
	v_and_b32_e32 v7, 60, v7
	v_add3_u32 v112, v22, v7, s0
	v_and_b32_e32 v7, 28, v1
	v_and_or_b32 v4, v91, 31, v4
	s_waitcnt lgkmcnt(0)
	v_add_co_u32_e64 v22, s[0:1], s14, v7
	v_mov_b32_e32 v7, 0x4a40
	s_movk_i32 s3, 0xffe4
	v_lshl_add_u32 v113, v4, 2, v7
	v_mad_i32_i24 v4, v2, s3, v5
	v_mov_b32_e32 v5, 0x5050
	v_lshrrev_b32_e32 v115, 3, v91
	v_lshrrev_b32_e32 v3, 5, v91
	v_lshl_add_u32 v114, v4, 2, v5
	v_add_u32_e32 v4, v115, v1
	v_mov_b32_e32 v5, 0x4200
	v_lshl_add_u32 v118, v4, 2, v5
	v_lshlrev_b32_e32 v4, 2, v3
	v_add3_u32 v120, v4, v1, s2
	v_add_u32_e32 v4, 32, v91
	v_lshrrev_b32_e32 v121, 3, v4
	v_lshl_add_u32 v4, v4, 2, v121
	v_lshl_add_u32 v122, v4, 2, v5
	v_and_b32_e32 v4, 60, v121
	v_add3_u32 v123, v1, v4, s2
	v_add_u32_e32 v4, 64, v91
	v_lshl_add_u32 v116, v2, 7, v7
	v_lshrrev_b32_e32 v7, 3, v4
	v_lshl_add_u32 v4, v4, 2, v7
	s_abs_i32 s4, s11
	v_lshl_add_u32 v124, v4, 2, v5
	v_and_b32_e32 v4, 60, v7
	v_cvt_f32_u32_e32 v24, s4
	v_add3_u32 v125, v1, v4, s2
	v_add_u32_e32 v4, 0x60, v91
	v_lshrrev_b32_e32 v7, 3, v4
	v_lshl_add_u32 v4, v4, 2, v7
	v_lshl_add_u32 v126, v4, 2, v5
	v_rcp_iflag_f32_e32 v5, v24
	v_and_b32_e32 v4, 60, v7
	v_add3_u32 v127, v1, v4, s2
	s_sub_i32 s2, 0, s4
	v_mul_f32_e32 v4, 0x4f7ffffe, v5
	v_cvt_u32_f32_e32 v4, v4
	s_waitcnt vmcnt(0)
	v_sub_u32_e32 v5, 0, v90
	v_max_i32_e32 v5, v90, v5
	v_and_b32_e32 v8, 0x7c, v1
	v_mul_lo_u32 v7, s2, v4
	v_mul_hi_u32 v7, v4, v7
	v_add_u32_e32 v4, v4, v7
	v_mul_hi_u32 v4, v5, v4
	v_mul_lo_u32 v7, v4, s4
	v_sub_u32_e32 v5, v5, v7
	v_add_u32_e32 v7, 1, v4
	v_cmp_le_u32_e64 s[2:3], s4, v5
	v_cndmask_b32_e64 v4, v4, v7, s[2:3]
	v_subrev_u32_e32 v7, s4, v5
	v_cndmask_b32_e64 v5, v5, v7, s[2:3]
	v_and_b32_e32 v26, 4, v1
	v_xor_b32_e32 v1, s11, v90
	v_add_u32_e32 v7, 1, v4
	v_cmp_le_u32_e64 s[2:3], s4, v5
	s_mul_i32 s21, s25, s24
	v_ashrrev_i32_e32 v1, 31, v1
	v_cndmask_b32_e64 v4, v4, v7, s[2:3]
	v_xor_b32_e32 v4, v4, v1
	s_mul_hi_i32 s23, s21, 0x90
	s_mul_i32 s22, s21, 0x90
	v_sub_u32_e32 v1, v4, v1
	s_movk_i32 s27, 0x90
	v_pk_mov_b32 v[4:5], s[22:23], s[22:23] op_sel:[0,1]
	v_mul_i32_i24_e32 v6, s25, v2
	v_mad_u64_u32 v[4:5], s[4:5], v3, s27, v[4:5]
	v_mad_u64_u32 v[6:7], s[4:5], v6, s27, v[4:5]
	v_add_co_u32_e64 v3, s[4:5], v6, v8
	v_addc_co_u32_e64 v6, s[4:5], 0, v7, s[4:5]
	v_mov_b32_e32 v68, s13
	v_add_co_u32_e64 v3, s[4:5], s12, v3
	v_addc_co_u32_e64 v6, s[4:5], v6, v68, s[4:5]
	v_cndmask_b32_e32 v109, 0, v26, vcc
	v_add_co_u32_e64 v26, s[4:5], 16, v3
	v_addc_co_u32_e64 v25, s[4:5], 0, v6, s[4:5]
	v_mad_u64_u32 v[6:7], s[4:5], v9, s27, v[4:5]
	v_add_co_u32_e64 v3, s[4:5], v6, v8
	v_addc_co_u32_e64 v6, s[4:5], 0, v7, s[4:5]
	v_add_co_u32_e64 v3, s[4:5], s12, v3
	v_addc_co_u32_e64 v6, s[4:5], v6, v68, s[4:5]
	v_add_co_u32_e64 v28, s[4:5], 16, v3
	v_addc_co_u32_e64 v27, s[4:5], 0, v6, s[4:5]
	v_mad_u64_u32 v[6:7], s[4:5], v10, s27, v[4:5]
	v_add_co_u32_e64 v3, s[4:5], v6, v8
	v_addc_co_u32_e64 v6, s[4:5], 0, v7, s[4:5]
	v_add_co_u32_e64 v3, s[4:5], s12, v3
	v_addc_co_u32_e64 v6, s[4:5], v6, v68, s[4:5]
	;; [unrolled: 7-line block ×14, first 2 shown]
	v_add_co_u32_e64 v54, s[4:5], 16, v3
	v_addc_co_u32_e64 v55, s[4:5], 0, v6, s[4:5]
	s_mul_i32 s4, s25, 0x78
	v_mov_b32_e32 v3, s4
	v_lshlrev_b32_e32 v117, 4, v2
	v_mad_i32_i24 v2, s25, v2, v3
	v_mad_u64_u32 v[2:3], s[4:5], v2, s27, v[4:5]
	v_add_co_u32_e64 v2, s[4:5], v2, v8
	v_addc_co_u32_e64 v3, s[4:5], 0, v3, s[4:5]
	v_add_co_u32_e64 v2, s[4:5], s12, v2
	s_ashr_i32 s26, s18, 31
	v_addc_co_u32_e64 v3, s[4:5], v3, v68, s[4:5]
	s_add_u32 s6, s14, 0x90
	v_add_co_u32_e64 v56, s[4:5], 16, v2
	s_addc_u32 s7, s15, 0
	v_addc_co_u32_e64 v57, s[4:5], 0, v3, s[4:5]
	s_add_u32 s4, s12, s22
	s_addc_u32 s5, s13, s23
	v_mul_i32_i24_e32 v62, s25, v23
	v_pk_mov_b32 v[2:3], s[4:5], s[4:5] op_sel:[0,1]
	v_mad_u64_u32 v[60:61], s[4:5], v58, s27, v[2:3]
	v_mad_u64_u32 v[2:3], s[4:5], v62, s27, 0
	v_mov_b32_e32 v4, 0x90
	v_mad_i64_i32 v[2:3], s[4:5], s21, v4, v[2:3]
	v_lshlrev_b32_e32 v5, 2, v59
	v_add_co_u32_e64 v6, s[4:5], v2, v5
	v_addc_co_u32_e64 v7, s[4:5], 0, v3, s[4:5]
	v_add_co_u32_e64 v6, s[4:5], s12, v6
	v_addc_co_u32_e64 v7, s[4:5], v7, v68, s[4:5]
	v_add_co_u32_e64 v62, s[4:5], 4, v6
	v_cndmask_b32_e64 v6, 0, 1, vcc
	v_lshlrev_b32_e32 v6, 2, v6
	v_or_b32_e32 v2, v2, v6
	v_add_co_u32_e32 v2, vcc, s12, v2
	v_addc_co_u32_e32 v3, vcc, v3, v68, vcc
	v_add_co_u32_e32 v64, vcc, 4, v2
	v_addc_co_u32_e64 v63, s[4:5], 0, v7, s[4:5]
	v_addc_co_u32_e32 v65, vcc, 0, v3, vcc
	v_mad_u64_u32 v[2:3], s[4:5], v66, s27, 0
	v_mad_i64_i32 v[2:3], s[4:5], s21, v4, v[2:3]
	v_add_co_u32_e32 v4, vcc, v2, v5
	v_addc_co_u32_e32 v5, vcc, 0, v3, vcc
	v_add_co_u32_e32 v4, vcc, s12, v4
	v_addc_co_u32_e32 v5, vcc, v5, v68, vcc
	;; [unrolled: 2-line block ×3, first 2 shown]
	v_or_b32_e32 v2, v2, v6
	v_add_co_u32_e32 v2, vcc, s12, v2
	v_mov_b32_e32 v23, s15
	v_addc_co_u32_e32 v3, vcc, v3, v68, vcc
	v_addc_co_u32_e64 v23, s[0:1], 0, v23, s[0:1]
	v_mul_lo_u32 v24, v1, s9
	v_add_co_u32_e32 v68, vcc, 4, v2
	s_mov_b32 s21, s20
	v_mov_b32_e32 v83, 0
	v_add_u32_e32 v93, 0x420, v92
	v_add_u32_e32 v94, 0x840, v92
	;; [unrolled: 1-line block ×15, first 2 shown]
	v_cmp_gt_u32_e64 s[0:1], 4, v91
	v_mul_u32_u24_e32 v119, 0x84, v91
	v_cmp_gt_i32_e64 s[2:3], s8, v1
	v_ashrrev_i32_e32 v1, 31, v24
	v_addc_co_u32_e32 v69, vcc, 0, v3, vcc
	s_movk_i32 s12, 0x80
	v_pk_mov_b32 v[58:59], s[20:21], s[20:21] op_sel:[0,1]
	s_mov_b32 s13, 0x30303030
	v_mov_b32_e32 v45, 0
	s_branch .LBB231_6
.LBB231_4:                              ;   in Loop: Header=BB231_6 Depth=1
	s_or_b64 exec, exec, s[4:5]
	s_waitcnt lgkmcnt(0)
	s_barrier
	ds_read_b128 v[2:5], v117 offset:20560
	ds_read2_b32 v[70:71], v119 offset0:16 offset1:17
	ds_read_b128 v[18:21], v116
	ds_read_b128 v[14:17], v116 offset:16
	ds_read_b128 v[10:13], v116 offset:32
	;; [unrolled: 1-line block ×3, first 2 shown]
	ds_read_b32 v82, v120
	s_waitcnt lgkmcnt(5)
	v_and_b32_e32 v72, 0xf0f0f0f, v70
	v_mov_b32_e32 v128, 0
	s_waitcnt lgkmcnt(4)
	v_dot4c_i32_i8_e32 v128, v72, v18
	ds_read2_b32 v[72:73], v119 offset0:18 offset1:19
	v_lshrrev_b32_e32 v70, 4, v70
	v_and_b32_e32 v70, 0xf0f0f0f, v70
	v_mov_b32_e32 v141, 0
	s_waitcnt lgkmcnt(3)
	v_dot4c_i32_i8_e32 v141, v70, v10
	v_lshrrev_b32_e32 v70, 4, v71
	v_and_b32_e32 v70, 0xf0f0f0f, v70
	v_and_b32_e32 v74, 0xf0f0f0f, v71
	v_dot4c_i32_i8_e32 v141, v70, v11
	s_waitcnt lgkmcnt(0)
	v_lshrrev_b32_e32 v70, 4, v72
	v_dot4c_i32_i8_e32 v128, v74, v19
	ds_read2_b32 v[74:75], v119 offset0:20 offset1:21
	ds_read2_b32 v[80:81], v119 offset0:22 offset1:23
	;; [unrolled: 1-line block ×3, first 2 shown]
	v_and_b32_e32 v70, 0xf0f0f0f, v70
	v_dot4c_i32_i8_e32 v141, v70, v12
	v_lshrrev_b32_e32 v70, 4, v73
	v_and_b32_e32 v70, 0xf0f0f0f, v70
	v_dot4c_i32_i8_e32 v141, v70, v13
	s_waitcnt lgkmcnt(2)
	v_lshrrev_b32_e32 v70, 4, v74
	v_and_b32_e32 v70, 0xf0f0f0f, v70
	v_dot4c_i32_i8_e32 v141, v70, v6
	v_lshrrev_b32_e32 v70, 4, v75
	v_and_b32_e32 v78, 0xf0f0f0f, v72
	v_and_b32_e32 v70, 0xf0f0f0f, v70
	v_dot4c_i32_i8_e32 v128, v78, v20
	v_and_b32_e32 v78, 0xf0f0f0f, v73
	v_dot4c_i32_i8_e32 v141, v70, v7
	s_waitcnt lgkmcnt(1)
	v_lshrrev_b32_e32 v70, 4, v80
	v_dot4c_i32_i8_e32 v128, v78, v21
	v_and_b32_e32 v78, 0xf0f0f0f, v74
	v_and_b32_e32 v70, 0xf0f0f0f, v70
	v_dot4c_i32_i8_e32 v128, v78, v14
	v_and_b32_e32 v78, 0xf0f0f0f, v75
	v_dot4c_i32_i8_e32 v141, v70, v8
	v_lshrrev_b32_e32 v70, 4, v81
	v_dot4c_i32_i8_e32 v128, v78, v15
	v_and_b32_e32 v84, 0xf0f0f0f, v80
	v_and_b32_e32 v70, 0xf0f0f0f, v70
	v_dot4c_i32_i8_e32 v128, v84, v16
	v_and_b32_e32 v84, 0xf0f0f0f, v81
	v_dot4c_i32_i8_e32 v141, v70, v9
	v_add_u32_e32 v70, 0x10c0, v119
	ds_read2_b32 v[78:79], v118 offset0:1 offset1:3
	v_dot4c_i32_i8_e32 v128, v84, v17
	ds_read2_b32 v[84:85], v119 offset0:26 offset1:27
	ds_read2_b32 v[86:87], v119 offset0:28 offset1:29
	;; [unrolled: 1-line block ×3, first 2 shown]
	ds_read2_b32 v[70:71], v70 offset1:1
	v_mov_b32_e32 v130, 0
	ds_read_b32 v131, v123 offset:128
	ds_read_b32 v129, v125 offset:256
	;; [unrolled: 1-line block ×3, first 2 shown]
	v_add_u32_e32 v74, 0x10d0, v119
	v_add_u32_e32 v136, 0x2140, v119
	s_waitcnt lgkmcnt(3)
	v_and_b32_e32 v72, 0xf0f0f0f, v70
	v_dot4c_i32_i8_e32 v130, v72, v18
	v_and_b32_e32 v72, 0xf0f0f0f, v71
	v_dot4c_i32_i8_e32 v130, v72, v19
	v_add_u32_e32 v72, 0x10c8, v119
	ds_read2_b32 v[72:73], v72 offset1:1
	v_add_u32_e32 v75, 0x10d8, v119
	ds_read2_b32 v[132:133], v74 offset1:1
	ds_read2_b32 v[134:135], v75 offset1:1
	;; [unrolled: 1-line block ×3, first 2 shown]
	v_lshrrev_b32_e32 v70, 4, v70
	v_and_b32_e32 v70, 0xf0f0f0f, v70
	s_waitcnt lgkmcnt(3)
	v_and_b32_e32 v74, 0xf0f0f0f, v72
	v_dot4c_i32_i8_e32 v130, v74, v20
	v_and_b32_e32 v74, 0xf0f0f0f, v73
	v_dot4c_i32_i8_e32 v130, v74, v21
	s_waitcnt lgkmcnt(2)
	v_and_b32_e32 v74, 0xf0f0f0f, v132
	v_dot4c_i32_i8_e32 v130, v74, v14
	v_and_b32_e32 v74, 0xf0f0f0f, v133
	v_dot4c_i32_i8_e32 v130, v74, v15
	ds_read2_b32 v[74:75], v122 offset0:1 offset1:3
	s_waitcnt lgkmcnt(2)
	v_and_b32_e32 v138, 0xf0f0f0f, v134
	v_dot4c_i32_i8_e32 v130, v138, v16
	v_and_b32_e32 v138, 0xf0f0f0f, v135
	v_dot4c_i32_i8_e32 v130, v138, v17
	s_waitcnt lgkmcnt(0)
	v_and_b32_e32 v138, 0xff, v74
	v_mov_b32_e32 v147, 0
	v_mov_b32_e32 v149, 0
	v_mul_lo_u32 v130, v130, v138
	v_cvt_f32_i32_e32 v143, v130
	v_mov_b32_e32 v130, 0
	v_dot4c_i32_i8_e32 v130, v70, v10
	v_lshrrev_b32_e32 v70, 4, v71
	v_and_b32_e32 v70, 0xf0f0f0f, v70
	v_dot4c_i32_i8_e32 v130, v70, v11
	v_lshrrev_b32_e32 v70, 4, v72
	v_and_b32_e32 v70, 0xf0f0f0f, v70
	;; [unrolled: 3-line block ×7, first 2 shown]
	v_dot4c_i32_i8_e32 v130, v70, v9
	v_bfe_u32 v70, v74, 8, 8
	v_add_u32_e32 v71, 0x2150, v119
	v_mov_b32_e32 v151, 0
	v_mul_lo_u32 v70, v130, v70
	v_cvt_f32_i32_e32 v145, v70
	v_and_b32_e32 v70, 0xf0f0f0f, v136
	v_dot4c_i32_i8_e32 v147, v70, v18
	v_and_b32_e32 v70, 0xf0f0f0f, v137
	v_dot4c_i32_i8_e32 v147, v70, v19
	v_add_u32_e32 v70, 0x2148, v119
	ds_read2_b32 v[72:73], v70 offset1:1
	v_lshrrev_b32_e32 v136, 4, v136
	v_and_b32_e32 v136, 0xf0f0f0f, v136
	v_add_u32_e32 v70, 0x31c0, v119
	v_dot4c_i32_i8_e32 v149, v136, v10
	v_lshrrev_b32_e32 v136, 4, v137
	v_add_u32_e32 v130, 0x2158, v119
	ds_read2_b32 v[132:133], v71 offset1:1
	ds_read2_b32 v[134:135], v130 offset1:1
	;; [unrolled: 1-line block ×3, first 2 shown]
	s_waitcnt lgkmcnt(3)
	v_and_b32_e32 v70, 0xf0f0f0f, v72
	v_and_b32_e32 v136, 0xf0f0f0f, v136
	v_lshrrev_b32_e32 v72, 4, v72
	v_dot4c_i32_i8_e32 v149, v136, v11
	v_and_b32_e32 v72, 0xf0f0f0f, v72
	v_dot4c_i32_i8_e32 v149, v72, v12
	v_lshrrev_b32_e32 v72, 4, v73
	v_and_b32_e32 v72, 0xf0f0f0f, v72
	v_dot4c_i32_i8_e32 v147, v70, v20
	v_and_b32_e32 v70, 0xf0f0f0f, v73
	v_dot4c_i32_i8_e32 v149, v72, v13
	s_waitcnt lgkmcnt(2)
	v_lshrrev_b32_e32 v72, 4, v132
	v_dot4c_i32_i8_e32 v147, v70, v21
	v_and_b32_e32 v70, 0xf0f0f0f, v132
	v_and_b32_e32 v72, 0xf0f0f0f, v72
	v_dot4c_i32_i8_e32 v147, v70, v14
	v_and_b32_e32 v70, 0xf0f0f0f, v133
	v_dot4c_i32_i8_e32 v149, v72, v6
	v_lshrrev_b32_e32 v72, 4, v133
	v_dot4c_i32_i8_e32 v147, v70, v15
	ds_read2_b32 v[70:71], v124 offset0:1 offset1:3
	v_and_b32_e32 v72, 0xf0f0f0f, v72
	v_dot4c_i32_i8_e32 v149, v72, v7
	s_waitcnt lgkmcnt(2)
	v_lshrrev_b32_e32 v72, 4, v134
	v_and_b32_e32 v72, 0xf0f0f0f, v72
	v_dot4c_i32_i8_e32 v149, v72, v8
	v_lshrrev_b32_e32 v72, 4, v135
	v_and_b32_e32 v72, 0xf0f0f0f, v72
	v_dot4c_i32_i8_e32 v149, v72, v9
	s_waitcnt lgkmcnt(0)
	v_bfe_u32 v72, v70, 8, 8
	v_and_b32_e32 v130, 0xf0f0f0f, v134
	v_add_u32_e32 v136, 0x10e0, v119
	v_mul_lo_u32 v72, v149, v72
	v_cvt_f32_i32_e32 v149, v72
	v_and_b32_e32 v72, 0xf0f0f0f, v138
	v_dot4c_i32_i8_e32 v151, v72, v18
	v_and_b32_e32 v18, 0xf0f0f0f, v139
	v_dot4c_i32_i8_e32 v151, v18, v19
	v_add_u32_e32 v18, 0x31c8, v119
	ds_read2_b32 v[18:19], v18 offset1:1
	v_add_u32_e32 v72, 0x31d0, v119
	v_dot4c_i32_i8_e32 v147, v130, v16
	v_and_b32_e32 v130, 0xf0f0f0f, v135
	v_add_u32_e32 v73, 0x31d8, v119
	ds_read2_b32 v[132:133], v72 offset1:1
	ds_read2_b32 v[134:135], v73 offset1:1
	;; [unrolled: 1-line block ×3, first 2 shown]
	s_waitcnt lgkmcnt(3)
	v_and_b32_e32 v72, 0xf0f0f0f, v18
	v_dot4c_i32_i8_e32 v151, v72, v20
	v_and_b32_e32 v20, 0xf0f0f0f, v19
	ds_read2_b32 v[72:73], v126 offset0:1 offset1:3
	v_dot4c_i32_i8_e32 v151, v20, v21
	s_waitcnt lgkmcnt(3)
	v_and_b32_e32 v20, 0xf0f0f0f, v132
	v_dot4c_i32_i8_e32 v151, v20, v14
	v_and_b32_e32 v14, 0xf0f0f0f, v133
	v_dot4c_i32_i8_e32 v151, v14, v15
	s_waitcnt lgkmcnt(2)
	v_and_b32_e32 v14, 0xf0f0f0f, v134
	v_dot4c_i32_i8_e32 v151, v14, v16
	v_and_b32_e32 v14, 0xf0f0f0f, v135
	v_dot4c_i32_i8_e32 v151, v14, v17
	s_waitcnt lgkmcnt(0)
	v_and_b32_e32 v14, 0xff, v72
	v_mov_b32_e32 v15, 0
	v_dot4c_i32_i8_e32 v147, v130, v17
	v_mul_lo_u32 v14, v151, v14
	v_cvt_f32_i32_e32 v151, v14
	v_lshrrev_b32_e32 v14, 4, v138
	v_and_b32_e32 v14, 0xf0f0f0f, v14
	v_dot4c_i32_i8_e32 v15, v14, v10
	v_lshrrev_b32_e32 v10, 4, v139
	v_and_b32_e32 v10, 0xf0f0f0f, v10
	v_dot4c_i32_i8_e32 v15, v10, v11
	;; [unrolled: 3-line block ×8, first 2 shown]
	v_bfe_u32 v6, v72, 8, 8
	v_and_b32_e32 v132, 0xf0f0f0f, v76
	v_mov_b32_e32 v133, 0
	v_mul_lo_u32 v6, v15, v6
	v_cvt_f32_i32_e32 v138, v6
	ds_read_b128 v[18:21], v116 offset:64
	ds_read_b128 v[14:17], v116 offset:80
	;; [unrolled: 1-line block ×4, first 2 shown]
	v_lshrrev_b32_e32 v76, 4, v76
	s_waitcnt lgkmcnt(3)
	v_dot4c_i32_i8_e32 v133, v132, v18
	v_and_b32_e32 v132, 0xf0f0f0f, v77
	v_dot4c_i32_i8_e32 v133, v132, v19
	v_and_b32_e32 v132, 0xf0f0f0f, v84
	;; [unrolled: 2-line block ×4, first 2 shown]
	s_waitcnt lgkmcnt(2)
	v_dot4c_i32_i8_e32 v133, v132, v14
	v_and_b32_e32 v132, 0xf0f0f0f, v87
	v_dot4c_i32_i8_e32 v133, v132, v15
	v_and_b32_e32 v132, 0xf0f0f0f, v88
	v_dot4c_i32_i8_e32 v133, v132, v16
	v_and_b32_e32 v132, 0xf0f0f0f, v89
	v_dot4c_i32_i8_e32 v133, v132, v17
	v_and_b32_e32 v76, 0xf0f0f0f, v76
	v_mov_b32_e32 v132, 0
	s_waitcnt lgkmcnt(1)
	v_dot4c_i32_i8_e32 v132, v76, v10
	v_lshrrev_b32_e32 v76, 4, v77
	v_and_b32_e32 v76, 0xf0f0f0f, v76
	v_dot4c_i32_i8_e32 v132, v76, v11
	v_lshrrev_b32_e32 v76, 4, v84
	v_and_b32_e32 v76, 0xf0f0f0f, v76
	;; [unrolled: 3-line block ×4, first 2 shown]
	s_waitcnt lgkmcnt(0)
	v_dot4c_i32_i8_e32 v132, v76, v6
	v_lshrrev_b32_e32 v76, 4, v87
	v_and_b32_e32 v76, 0xf0f0f0f, v76
	v_dot4c_i32_i8_e32 v132, v76, v7
	v_lshrrev_b32_e32 v76, 4, v88
	v_cvt_f32_f16_e32 v85, v4
	v_cvt_f32_f16_sdwa v77, v4 dst_sel:DWORD dst_unused:UNUSED_PAD src0_sel:WORD_1
	v_and_b32_e32 v4, 0xff, v78
	v_bfe_u32 v86, v78, 16, 8
	v_and_b32_e32 v76, 0xf0f0f0f, v76
	v_mul_lo_u32 v4, v128, v4
	v_mul_lo_u32 v86, v133, v86
	v_dot4c_i32_i8_e32 v132, v76, v8
	v_lshrrev_b32_e32 v76, 4, v89
	v_cvt_f32_f16_e32 v84, v2
	v_cvt_f32_i32_e32 v89, v86
	v_cvt_f32_i32_e32 v88, v4
	v_and_b32_e32 v76, 0xf0f0f0f, v76
	v_lshrrev_b32_e32 v140, 24, v78
	v_dot4c_i32_i8_e32 v132, v76, v9
	v_bfe_u32 v78, v78, 8, 8
	v_pk_fma_f32 v[88:89], v[84:85], v[88:89], 0 op_sel_hi:[1,1,0]
	v_mul_lo_u32 v78, v141, v78
	v_mul_lo_u32 v84, v132, v140
	v_cvt_f32_f16_sdwa v76, v2 dst_sel:DWORD dst_unused:UNUSED_PAD src0_sel:WORD_1
	v_cvt_f32_f16_e32 v87, v5
	v_cvt_f32_f16_e32 v86, v3
	v_cvt_f32_i32_e32 v133, v84
	v_cvt_f32_i32_e32 v132, v78
	v_and_b32_e32 v148, 0xff, v70
	v_cvt_f32_f16_sdwa v5, v5 dst_sel:DWORD dst_unused:UNUSED_PAD src0_sel:WORD_1
	v_cvt_f32_f16_sdwa v4, v3 dst_sel:DWORD dst_unused:UNUSED_PAD src0_sel:WORD_1
	v_cvt_f32_f16_e32 v80, v82
	v_cvt_f32_f16_sdwa v82, v82 dst_sel:DWORD dst_unused:UNUSED_PAD src0_sel:WORD_1
	v_mul_lo_u32 v147, v147, v148
	v_cvt_f32_i32_e32 v147, v147
	v_cvt_f32_ubyte2_e32 v135, v79
	v_cvt_f32_ubyte0_e32 v134, v79
	v_pk_fma_f32 v[134:135], v[76:77], v[134:135], 0 op_sel_hi:[1,1,0]
	v_pk_fma_f32 v[88:89], v[86:87], v[132:133], v[88:89]
	v_cvt_f32_ubyte3_e32 v133, v79
	v_cvt_f32_ubyte1_e32 v132, v79
	v_pk_fma_f32 v[78:79], v[4:5], v[132:133], v[134:135]
	v_cvt_f32_ubyte0_e32 v144, v75
	v_cvt_f32_ubyte0_e32 v148, v71
	v_cvt_f32_ubyte0_e32 v153, v73
	v_pk_mul_f32 v[78:79], v[78:79], v[82:83] op_sel_hi:[1,0]
	v_cvt_f32_ubyte1_e32 v139, v73
	v_pk_fma_f32 v[78:79], v[88:89], v[80:81], v[78:79] op_sel_hi:[1,0,1] neg_lo:[0,0,1] neg_hi:[0,0,1]
	v_fma_mix_f32 v4, v2, v143, 0 op_sel_hi:[1,0,0]
	v_fma_mix_f32 v76, v2, v144, 0 op_sel:[1,0,0] op_sel_hi:[1,0,0]
	v_fma_mix_f32 v80, v2, v147, 0 op_sel_hi:[1,0,0]
	v_fma_mix_f32 v82, v2, v148, 0 op_sel:[1,0,0] op_sel_hi:[1,0,0]
	;; [unrolled: 2-line block ×4, first 2 shown]
	v_and_b32_e32 v2, 0xf0f0f0f, v136
	v_mov_b32_e32 v84, 0
	v_dot4c_i32_i8_e32 v84, v2, v18
	v_and_b32_e32 v2, 0xf0f0f0f, v137
	v_cvt_f32_ubyte1_e32 v146, v75
	v_cvt_f32_ubyte1_e32 v150, v71
	v_dot4c_i32_i8_e32 v84, v2, v19
	v_add_u32_e32 v2, 0x10e8, v119
	v_fma_mix_f32 v4, v3, v145, v4 op_sel_hi:[1,0,0]
	v_fma_mix_f32 v76, v3, v146, v76 op_sel:[1,0,0] op_sel_hi:[1,0,0]
	v_fma_mix_f32 v80, v3, v149, v80 op_sel_hi:[1,0,0]
	v_fma_mix_f32 v82, v3, v150, v82 op_sel:[1,0,0] op_sel_hi:[1,0,0]
	ds_read2_b32 v[2:3], v2 offset1:1
	v_add_u32_e32 v86, 0x10f0, v119
	v_add_u32_e32 v132, 0x10f8, v119
	;; [unrolled: 1-line block ×3, first 2 shown]
	ds_read2_b32 v[88:89], v86 offset1:1
	ds_read2_b32 v[132:133], v132 offset1:1
	;; [unrolled: 1-line block ×3, first 2 shown]
	s_waitcnt lgkmcnt(3)
	v_and_b32_e32 v86, 0xf0f0f0f, v2
	v_dot4c_i32_i8_e32 v84, v86, v20
	v_and_b32_e32 v86, 0xf0f0f0f, v3
	v_dot4c_i32_i8_e32 v84, v86, v21
	s_waitcnt lgkmcnt(2)
	v_and_b32_e32 v86, 0xf0f0f0f, v88
	v_dot4c_i32_i8_e32 v84, v86, v14
	v_and_b32_e32 v86, 0xf0f0f0f, v89
	v_dot4c_i32_i8_e32 v84, v86, v15
	s_waitcnt lgkmcnt(1)
	v_and_b32_e32 v86, 0xf0f0f0f, v132
	v_dot4c_i32_i8_e32 v84, v86, v16
	v_and_b32_e32 v86, 0xf0f0f0f, v133
	v_lshrrev_b32_e32 v142, 24, v74
	v_dot4c_i32_i8_e32 v84, v86, v17
	v_bfe_u32 v74, v74, 16, 8
	v_lshrrev_b32_e32 v2, 4, v2
	v_and_b32_e32 v2, 0xf0f0f0f, v2
	v_mul_lo_u32 v74, v84, v74
	v_cvt_f32_i32_e32 v138, v74
	v_lshrrev_b32_e32 v74, 4, v136
	v_and_b32_e32 v74, 0xf0f0f0f, v74
	v_mov_b32_e32 v84, 0
	v_dot4c_i32_i8_e32 v84, v74, v10
	v_lshrrev_b32_e32 v74, 4, v137
	v_and_b32_e32 v74, 0xf0f0f0f, v74
	v_dot4c_i32_i8_e32 v84, v74, v11
	v_dot4c_i32_i8_e32 v84, v2, v12
	v_lshrrev_b32_e32 v2, 4, v3
	v_and_b32_e32 v2, 0xf0f0f0f, v2
	v_dot4c_i32_i8_e32 v84, v2, v13
	v_lshrrev_b32_e32 v2, 4, v88
	v_and_b32_e32 v2, 0xf0f0f0f, v2
	;; [unrolled: 3-line block ×5, first 2 shown]
	v_cvt_f32_f16_sdwa v3, v131 dst_sel:DWORD dst_unused:UNUSED_PAD src0_sel:WORD_1
	v_dot4c_i32_i8_e32 v84, v2, v9
	v_cvt_f32_ubyte2_e32 v139, v75
	v_cvt_f32_ubyte3_e32 v75, v75
	v_mul_f32_e32 v76, v76, v3
	v_mul_lo_u32 v2, v84, v142
	v_cvt_f32_i32_e32 v74, v2
	v_cvt_f32_f16_e32 v2, v131
	v_fma_mix_f32 v89, v4, v131, -v76 op_sel_hi:[0,1,0]
	v_mov_b32_e32 v76, v85
	v_pk_fma_f32 v[84:85], v[76:77], v[138:139], 0 op_sel_hi:[1,1,0]
	v_mov_b32_e32 v4, v87
	v_pk_fma_f32 v[74:75], v[4:5], v[74:75], v[84:85]
	v_pk_mul_f32 v[84:85], v[74:75], v[2:3]
	v_mov_b32_e32 v85, v84
	v_mov_b32_e32 v88, v78
	v_pk_fma_f32 v[2:3], v[74:75], v[2:3], v[84:85] neg_lo:[1,0,0] neg_hi:[1,0,0]
	v_pk_add_f32 v[58:59], v[58:59], v[88:89]
	v_mov_b32_e32 v2, v79
	v_pk_add_f32 v[58:59], v[58:59], v[2:3]
	s_waitcnt lgkmcnt(0)
	v_and_b32_e32 v2, 0xf0f0f0f, v134
	v_mov_b32_e32 v86, 0
	v_dot4c_i32_i8_e32 v86, v2, v18
	v_and_b32_e32 v2, 0xf0f0f0f, v135
	v_dot4c_i32_i8_e32 v86, v2, v19
	v_add_u32_e32 v2, 0x2168, v119
	ds_read2_b32 v[2:3], v2 offset1:1
	v_add_u32_e32 v74, 0x2170, v119
	v_add_u32_e32 v78, 0x2178, v119
	;; [unrolled: 1-line block ×3, first 2 shown]
	ds_read2_b32 v[74:75], v74 offset1:1
	ds_read2_b32 v[78:79], v78 offset1:1
	;; [unrolled: 1-line block ×3, first 2 shown]
	s_waitcnt lgkmcnt(3)
	v_and_b32_e32 v87, 0xf0f0f0f, v2
	v_dot4c_i32_i8_e32 v86, v87, v20
	v_and_b32_e32 v87, 0xf0f0f0f, v3
	v_dot4c_i32_i8_e32 v86, v87, v21
	s_waitcnt lgkmcnt(2)
	v_and_b32_e32 v87, 0xf0f0f0f, v74
	v_dot4c_i32_i8_e32 v86, v87, v14
	v_and_b32_e32 v87, 0xf0f0f0f, v75
	v_dot4c_i32_i8_e32 v86, v87, v15
	s_waitcnt lgkmcnt(1)
	v_and_b32_e32 v87, 0xf0f0f0f, v78
	v_dot4c_i32_i8_e32 v86, v87, v16
	v_and_b32_e32 v87, 0xf0f0f0f, v79
	v_lshrrev_b32_e32 v130, 24, v70
	v_dot4c_i32_i8_e32 v86, v87, v17
	v_bfe_u32 v70, v70, 16, 8
	v_mov_b32_e32 v88, 0
	v_lshrrev_b32_e32 v2, 4, v2
	v_mul_lo_u32 v70, v86, v70
	v_cvt_f32_i32_e32 v86, v70
	v_lshrrev_b32_e32 v70, 4, v134
	v_and_b32_e32 v70, 0xf0f0f0f, v70
	v_dot4c_i32_i8_e32 v88, v70, v10
	v_lshrrev_b32_e32 v70, 4, v135
	v_and_b32_e32 v70, 0xf0f0f0f, v70
	v_dot4c_i32_i8_e32 v88, v70, v11
	v_and_b32_e32 v2, 0xf0f0f0f, v2
	v_dot4c_i32_i8_e32 v88, v2, v12
	v_lshrrev_b32_e32 v2, 4, v3
	v_and_b32_e32 v2, 0xf0f0f0f, v2
	v_dot4c_i32_i8_e32 v88, v2, v13
	v_lshrrev_b32_e32 v2, 4, v74
	;; [unrolled: 3-line block ×5, first 2 shown]
	v_and_b32_e32 v2, 0xf0f0f0f, v2
	v_cvt_f32_f16_sdwa v3, v129 dst_sel:DWORD dst_unused:UNUSED_PAD src0_sel:WORD_1
	v_dot4c_i32_i8_e32 v88, v2, v9
	v_cvt_f32_ubyte2_e32 v87, v71
	v_cvt_f32_ubyte3_e32 v71, v71
	v_mul_f32_e32 v74, v82, v3
	v_mul_lo_u32 v2, v88, v130
	v_cvt_f32_i32_e32 v70, v2
	v_cvt_f32_f16_e32 v2, v129
	v_fma_mix_f32 v74, v80, v129, -v74 op_sel_hi:[0,1,0]
	v_add_f32_e32 v78, v83, v74
	v_pk_fma_f32 v[74:75], v[76:77], v[86:87], 0 op_sel_hi:[1,1,0]
	v_pk_fma_f32 v[70:71], v[4:5], v[70:71], v[74:75]
	v_pk_mul_f32 v[2:3], v[70:71], v[2:3]
	v_sub_f32_e32 v2, v2, v3
	v_add_f32_e32 v83, v78, v2
	s_waitcnt lgkmcnt(0)
	v_and_b32_e32 v2, 0xf0f0f0f, v84
	v_mov_b32_e32 v74, 0
	v_dot4c_i32_i8_e32 v74, v2, v18
	v_and_b32_e32 v2, 0xf0f0f0f, v85
	v_dot4c_i32_i8_e32 v74, v2, v19
	v_add_u32_e32 v2, 0x31e8, v119
	ds_read2_b32 v[2:3], v2 offset1:1
	v_add_u32_e32 v18, 0x31f0, v119
	v_add_u32_e32 v70, 0x31f8, v119
	ds_read2_b32 v[18:19], v18 offset1:1
	ds_read2_b32 v[70:71], v70 offset1:1
	v_lshrrev_b32_e32 v152, 24, v72
	s_waitcnt lgkmcnt(2)
	v_and_b32_e32 v75, 0xf0f0f0f, v2
	v_dot4c_i32_i8_e32 v74, v75, v20
	v_and_b32_e32 v20, 0xf0f0f0f, v3
	v_dot4c_i32_i8_e32 v74, v20, v21
	s_waitcnt lgkmcnt(1)
	v_and_b32_e32 v20, 0xf0f0f0f, v18
	v_dot4c_i32_i8_e32 v74, v20, v14
	v_and_b32_e32 v14, 0xf0f0f0f, v19
	v_dot4c_i32_i8_e32 v74, v14, v15
	s_waitcnt lgkmcnt(0)
	v_and_b32_e32 v14, 0xf0f0f0f, v70
	v_dot4c_i32_i8_e32 v74, v14, v16
	v_and_b32_e32 v14, 0xf0f0f0f, v71
	v_lshrrev_b32_e32 v16, 4, v84
	v_dot4c_i32_i8_e32 v74, v14, v17
	v_and_b32_e32 v16, 0xf0f0f0f, v16
	v_mov_b32_e32 v17, 0
	v_dot4c_i32_i8_e32 v17, v16, v10
	v_lshrrev_b32_e32 v10, 4, v85
	v_and_b32_e32 v10, 0xf0f0f0f, v10
	v_lshrrev_b32_e32 v2, 4, v2
	v_dot4c_i32_i8_e32 v17, v10, v11
	v_and_b32_e32 v2, 0xf0f0f0f, v2
	v_dot4c_i32_i8_e32 v17, v2, v12
	v_lshrrev_b32_e32 v2, 4, v3
	v_and_b32_e32 v2, 0xf0f0f0f, v2
	v_dot4c_i32_i8_e32 v17, v2, v13
	v_lshrrev_b32_e32 v2, 4, v18
	;; [unrolled: 3-line block ×5, first 2 shown]
	v_bfe_u32 v14, v72, 16, 8
	v_and_b32_e32 v2, 0xf0f0f0f, v2
	v_cvt_f32_f16_sdwa v3, v81 dst_sel:DWORD dst_unused:UNUSED_PAD src0_sel:WORD_1
	v_mul_lo_u32 v14, v74, v14
	v_dot4c_i32_i8_e32 v17, v2, v9
	v_cvt_f32_i32_e32 v14, v14
	v_mul_f32_e32 v8, v140, v3
	v_cvt_f32_ubyte2_e32 v15, v73
	v_mul_lo_u32 v2, v17, v152
	v_cvt_f32_i32_e32 v6, v2
	v_cvt_f32_f16_e32 v2, v81
	v_fma_mix_f32 v8, v128, v81, -v8 op_sel_hi:[0,1,0]
	v_cvt_f32_ubyte3_e32 v7, v73
	v_add_f32_e32 v10, v45, v8
	v_pk_fma_f32 v[8:9], v[76:77], v[14:15], 0 op_sel_hi:[1,1,0]
	v_pk_fma_f32 v[4:5], v[4:5], v[6:7], v[8:9]
	v_pk_mul_f32 v[2:3], v[4:5], v[2:3]
	v_sub_f32_e32 v2, v2, v3
	v_add_f32_e32 v45, v10, v2
	s_barrier
.LBB231_5:                              ;   in Loop: Header=BB231_6 Depth=1
	v_add_co_u32_e32 v26, vcc, 0x90, v26
	v_addc_co_u32_e32 v25, vcc, 0, v25, vcc
	v_add_co_u32_e32 v28, vcc, 0x90, v28
	v_addc_co_u32_e32 v27, vcc, 0, v27, vcc
	;; [unrolled: 2-line block ×20, first 2 shown]
	s_add_i32 s25, s25, -1
	s_addk_i32 s12, 0x100
	v_add_co_u32_e32 v68, vcc, 0x90, v68
	v_add_u32_e32 v91, 8, v91
	v_add_u32_e32 v121, 8, v121
	;; [unrolled: 1-line block ×3, first 2 shown]
	s_cmp_eq_u32 s25, 0
	v_addc_co_u32_e32 v69, vcc, 0, v69, vcc
	s_cbranch_scc1 .LBB231_19
.LBB231_6:                              ; =>This Inner Loop Header: Depth=1
	v_mov_b32_e32 v4, s26
	v_add_co_u32_e32 v2, vcc, s18, v26
	v_addc_co_u32_e32 v3, vcc, v25, v4, vcc
	global_load_dword v5, v[2:3], off
	v_add_co_u32_e32 v2, vcc, s18, v28
	v_addc_co_u32_e32 v3, vcc, v27, v4, vcc
	global_load_dword v6, v[2:3], off
	;; [unrolled: 3-line block ×21, first 2 shown]
	s_waitcnt vmcnt(20)
	ds_write_b32 v92, v5
	s_waitcnt vmcnt(19)
	ds_write_b32 v93, v6
	;; [unrolled: 2-line block ×17, first 2 shown]
	s_add_i32 s4, s12, 0xffffff80
	s_cmp_lt_i32 s4, s19
	s_waitcnt vmcnt(3)
	v_ashrrev_i32_e32 v3, v109, v70
	v_and_b32_e32 v3, 0xf0f0f0f, v3
	s_waitcnt vmcnt(2)
	v_ashrrev_i32_e32 v4, v110, v71
	v_and_or_b32 v3, v4, s13, v3
	ds_write_b32 v111, v3
	s_waitcnt vmcnt(1)
	v_ashrrev_i32_e32 v3, v109, v72
	v_and_b32_e32 v3, 0xf0f0f0f, v3
	s_waitcnt vmcnt(0)
	v_ashrrev_i32_e32 v2, v110, v2
	v_and_or_b32 v2, v2, s13, v3
	ds_write_b32 v112, v2
	s_cbranch_scc0 .LBB231_5
; %bb.7:                                ;   in Loop: Header=BB231_6 Depth=1
	v_cmp_gt_i32_e32 vcc, s9, v115
	s_and_b64 s[20:21], s[2:3], vcc
	s_and_saveexec_b64 s[4:5], s[20:21]
	s_cbranch_execz .LBB231_9
; %bb.8:                                ;   in Loop: Header=BB231_6 Depth=1
	v_add_u32_e32 v2, v24, v115
	v_mad_i64_i32 v[2:3], s[20:21], v2, 36, v[22:23]
	global_load_dword v2, v[2:3], off offset:4
	s_waitcnt vmcnt(0)
	ds_write_b32 v113, v2
.LBB231_9:                              ;   in Loop: Header=BB231_6 Depth=1
	s_or_b64 exec, exec, s[4:5]
	s_and_saveexec_b64 s[4:5], s[0:1]
	s_cbranch_execz .LBB231_12
; %bb.10:                               ;   in Loop: Header=BB231_6 Depth=1
	v_cmp_gt_i32_e32 vcc, s9, v91
	s_and_b64 s[20:21], s[2:3], vcc
	s_and_b64 exec, exec, s[20:21]
	s_cbranch_execz .LBB231_12
; %bb.11:                               ;   in Loop: Header=BB231_6 Depth=1
	v_add_u32_e32 v2, v24, v91
	v_mad_i64_i32 v[2:3], s[20:21], v2, 36, s[14:15]
	global_load_dword v2, v[2:3], off
	s_waitcnt vmcnt(0)
	ds_write_b32 v114, v2
.LBB231_12:                             ;   in Loop: Header=BB231_6 Depth=1
	s_or_b64 exec, exec, s[4:5]
	s_waitcnt lgkmcnt(0)
	s_barrier
	ds_read_b128 v[2:5], v117 offset:20560
	ds_read2_b32 v[70:71], v119 offset1:1
	ds_read_b128 v[18:21], v116
	ds_read_b128 v[14:17], v116 offset:16
	ds_read_b128 v[10:13], v116 offset:32
	;; [unrolled: 1-line block ×3, first 2 shown]
	ds_read_b32 v82, v120
	s_waitcnt lgkmcnt(5)
	v_and_b32_e32 v72, 0xf0f0f0f, v70
	v_mov_b32_e32 v128, 0
	s_waitcnt lgkmcnt(4)
	v_dot4c_i32_i8_e32 v128, v72, v18
	ds_read2_b32 v[72:73], v119 offset0:2 offset1:3
	v_lshrrev_b32_e32 v70, 4, v70
	v_and_b32_e32 v70, 0xf0f0f0f, v70
	v_mov_b32_e32 v141, 0
	s_waitcnt lgkmcnt(3)
	v_dot4c_i32_i8_e32 v141, v70, v10
	v_lshrrev_b32_e32 v70, 4, v71
	v_and_b32_e32 v70, 0xf0f0f0f, v70
	v_and_b32_e32 v74, 0xf0f0f0f, v71
	v_dot4c_i32_i8_e32 v141, v70, v11
	s_waitcnt lgkmcnt(0)
	v_lshrrev_b32_e32 v70, 4, v72
	v_dot4c_i32_i8_e32 v128, v74, v19
	ds_read2_b32 v[74:75], v119 offset0:4 offset1:5
	ds_read2_b32 v[80:81], v119 offset0:6 offset1:7
	ds_read2_b32 v[76:77], v119 offset0:8 offset1:9
	v_and_b32_e32 v70, 0xf0f0f0f, v70
	v_dot4c_i32_i8_e32 v141, v70, v12
	v_lshrrev_b32_e32 v70, 4, v73
	v_and_b32_e32 v70, 0xf0f0f0f, v70
	v_dot4c_i32_i8_e32 v141, v70, v13
	s_waitcnt lgkmcnt(2)
	v_lshrrev_b32_e32 v70, 4, v74
	v_and_b32_e32 v70, 0xf0f0f0f, v70
	v_dot4c_i32_i8_e32 v141, v70, v6
	v_lshrrev_b32_e32 v70, 4, v75
	v_and_b32_e32 v78, 0xf0f0f0f, v72
	v_and_b32_e32 v70, 0xf0f0f0f, v70
	v_dot4c_i32_i8_e32 v128, v78, v20
	v_and_b32_e32 v78, 0xf0f0f0f, v73
	v_dot4c_i32_i8_e32 v141, v70, v7
	s_waitcnt lgkmcnt(1)
	v_lshrrev_b32_e32 v70, 4, v80
	v_dot4c_i32_i8_e32 v128, v78, v21
	v_and_b32_e32 v78, 0xf0f0f0f, v74
	v_and_b32_e32 v70, 0xf0f0f0f, v70
	v_dot4c_i32_i8_e32 v128, v78, v14
	v_and_b32_e32 v78, 0xf0f0f0f, v75
	v_dot4c_i32_i8_e32 v141, v70, v8
	v_lshrrev_b32_e32 v70, 4, v81
	v_dot4c_i32_i8_e32 v128, v78, v15
	v_and_b32_e32 v84, 0xf0f0f0f, v80
	v_and_b32_e32 v70, 0xf0f0f0f, v70
	v_dot4c_i32_i8_e32 v128, v84, v16
	v_and_b32_e32 v84, 0xf0f0f0f, v81
	v_dot4c_i32_i8_e32 v141, v70, v9
	v_add_u32_e32 v70, 0x1080, v119
	ds_read2_b32 v[78:79], v118 offset1:2
	v_dot4c_i32_i8_e32 v128, v84, v17
	ds_read2_b32 v[84:85], v119 offset0:10 offset1:11
	ds_read2_b32 v[86:87], v119 offset0:12 offset1:13
	;; [unrolled: 1-line block ×3, first 2 shown]
	ds_read2_b32 v[70:71], v70 offset1:1
	v_mov_b32_e32 v130, 0
	ds_read_b32 v131, v123 offset:128
	ds_read_b32 v129, v125 offset:256
	;; [unrolled: 1-line block ×3, first 2 shown]
	v_add_u32_e32 v74, 0x1090, v119
	v_add_u32_e32 v136, 0x2100, v119
	s_waitcnt lgkmcnt(3)
	v_and_b32_e32 v72, 0xf0f0f0f, v70
	v_dot4c_i32_i8_e32 v130, v72, v18
	v_and_b32_e32 v72, 0xf0f0f0f, v71
	v_dot4c_i32_i8_e32 v130, v72, v19
	v_add_u32_e32 v72, 0x1088, v119
	ds_read2_b32 v[72:73], v72 offset1:1
	v_add_u32_e32 v75, 0x1098, v119
	ds_read2_b32 v[132:133], v74 offset1:1
	ds_read2_b32 v[134:135], v75 offset1:1
	;; [unrolled: 1-line block ×3, first 2 shown]
	v_lshrrev_b32_e32 v70, 4, v70
	v_and_b32_e32 v70, 0xf0f0f0f, v70
	s_waitcnt lgkmcnt(3)
	v_and_b32_e32 v74, 0xf0f0f0f, v72
	v_dot4c_i32_i8_e32 v130, v74, v20
	v_and_b32_e32 v74, 0xf0f0f0f, v73
	v_dot4c_i32_i8_e32 v130, v74, v21
	s_waitcnt lgkmcnt(2)
	v_and_b32_e32 v74, 0xf0f0f0f, v132
	v_dot4c_i32_i8_e32 v130, v74, v14
	v_and_b32_e32 v74, 0xf0f0f0f, v133
	v_dot4c_i32_i8_e32 v130, v74, v15
	ds_read2_b32 v[74:75], v122 offset1:2
	s_waitcnt lgkmcnt(2)
	v_and_b32_e32 v138, 0xf0f0f0f, v134
	v_dot4c_i32_i8_e32 v130, v138, v16
	v_and_b32_e32 v138, 0xf0f0f0f, v135
	v_dot4c_i32_i8_e32 v130, v138, v17
	s_waitcnt lgkmcnt(0)
	v_and_b32_e32 v138, 0xff, v74
	v_mov_b32_e32 v147, 0
	v_mov_b32_e32 v149, 0
	v_mul_lo_u32 v130, v130, v138
	v_cvt_f32_i32_e32 v143, v130
	v_mov_b32_e32 v130, 0
	v_dot4c_i32_i8_e32 v130, v70, v10
	v_lshrrev_b32_e32 v70, 4, v71
	v_and_b32_e32 v70, 0xf0f0f0f, v70
	v_dot4c_i32_i8_e32 v130, v70, v11
	v_lshrrev_b32_e32 v70, 4, v72
	v_and_b32_e32 v70, 0xf0f0f0f, v70
	;; [unrolled: 3-line block ×7, first 2 shown]
	v_dot4c_i32_i8_e32 v130, v70, v9
	v_bfe_u32 v70, v74, 8, 8
	v_add_u32_e32 v71, 0x2110, v119
	v_mov_b32_e32 v151, 0
	v_mul_lo_u32 v70, v130, v70
	v_cvt_f32_i32_e32 v145, v70
	v_and_b32_e32 v70, 0xf0f0f0f, v136
	v_dot4c_i32_i8_e32 v147, v70, v18
	v_and_b32_e32 v70, 0xf0f0f0f, v137
	v_dot4c_i32_i8_e32 v147, v70, v19
	v_add_u32_e32 v70, 0x2108, v119
	ds_read2_b32 v[72:73], v70 offset1:1
	v_lshrrev_b32_e32 v136, 4, v136
	v_and_b32_e32 v136, 0xf0f0f0f, v136
	v_add_u32_e32 v70, 0x3180, v119
	v_dot4c_i32_i8_e32 v149, v136, v10
	v_lshrrev_b32_e32 v136, 4, v137
	v_add_u32_e32 v130, 0x2118, v119
	ds_read2_b32 v[132:133], v71 offset1:1
	ds_read2_b32 v[134:135], v130 offset1:1
	;; [unrolled: 1-line block ×3, first 2 shown]
	s_waitcnt lgkmcnt(3)
	v_and_b32_e32 v70, 0xf0f0f0f, v72
	v_and_b32_e32 v136, 0xf0f0f0f, v136
	v_lshrrev_b32_e32 v72, 4, v72
	v_dot4c_i32_i8_e32 v149, v136, v11
	v_and_b32_e32 v72, 0xf0f0f0f, v72
	v_dot4c_i32_i8_e32 v149, v72, v12
	v_lshrrev_b32_e32 v72, 4, v73
	v_and_b32_e32 v72, 0xf0f0f0f, v72
	v_dot4c_i32_i8_e32 v147, v70, v20
	v_and_b32_e32 v70, 0xf0f0f0f, v73
	v_dot4c_i32_i8_e32 v149, v72, v13
	s_waitcnt lgkmcnt(2)
	v_lshrrev_b32_e32 v72, 4, v132
	v_dot4c_i32_i8_e32 v147, v70, v21
	v_and_b32_e32 v70, 0xf0f0f0f, v132
	v_and_b32_e32 v72, 0xf0f0f0f, v72
	v_dot4c_i32_i8_e32 v147, v70, v14
	v_and_b32_e32 v70, 0xf0f0f0f, v133
	v_dot4c_i32_i8_e32 v149, v72, v6
	v_lshrrev_b32_e32 v72, 4, v133
	v_dot4c_i32_i8_e32 v147, v70, v15
	ds_read2_b32 v[70:71], v124 offset1:2
	v_and_b32_e32 v72, 0xf0f0f0f, v72
	v_dot4c_i32_i8_e32 v149, v72, v7
	s_waitcnt lgkmcnt(2)
	v_lshrrev_b32_e32 v72, 4, v134
	v_and_b32_e32 v72, 0xf0f0f0f, v72
	v_dot4c_i32_i8_e32 v149, v72, v8
	v_lshrrev_b32_e32 v72, 4, v135
	v_and_b32_e32 v72, 0xf0f0f0f, v72
	v_dot4c_i32_i8_e32 v149, v72, v9
	s_waitcnt lgkmcnt(0)
	v_bfe_u32 v72, v70, 8, 8
	v_and_b32_e32 v130, 0xf0f0f0f, v134
	v_add_u32_e32 v136, 0x10a0, v119
	v_mul_lo_u32 v72, v149, v72
	v_cvt_f32_i32_e32 v149, v72
	v_and_b32_e32 v72, 0xf0f0f0f, v138
	v_dot4c_i32_i8_e32 v151, v72, v18
	v_and_b32_e32 v18, 0xf0f0f0f, v139
	v_dot4c_i32_i8_e32 v151, v18, v19
	v_add_u32_e32 v18, 0x3188, v119
	ds_read2_b32 v[18:19], v18 offset1:1
	v_add_u32_e32 v72, 0x3190, v119
	v_dot4c_i32_i8_e32 v147, v130, v16
	v_and_b32_e32 v130, 0xf0f0f0f, v135
	v_add_u32_e32 v73, 0x3198, v119
	ds_read2_b32 v[132:133], v72 offset1:1
	ds_read2_b32 v[134:135], v73 offset1:1
	;; [unrolled: 1-line block ×3, first 2 shown]
	s_waitcnt lgkmcnt(3)
	v_and_b32_e32 v72, 0xf0f0f0f, v18
	v_dot4c_i32_i8_e32 v151, v72, v20
	v_and_b32_e32 v20, 0xf0f0f0f, v19
	ds_read2_b32 v[72:73], v126 offset1:2
	v_dot4c_i32_i8_e32 v151, v20, v21
	s_waitcnt lgkmcnt(3)
	v_and_b32_e32 v20, 0xf0f0f0f, v132
	v_dot4c_i32_i8_e32 v151, v20, v14
	v_and_b32_e32 v14, 0xf0f0f0f, v133
	v_dot4c_i32_i8_e32 v151, v14, v15
	s_waitcnt lgkmcnt(2)
	v_and_b32_e32 v14, 0xf0f0f0f, v134
	v_dot4c_i32_i8_e32 v151, v14, v16
	v_and_b32_e32 v14, 0xf0f0f0f, v135
	v_dot4c_i32_i8_e32 v151, v14, v17
	s_waitcnt lgkmcnt(0)
	v_and_b32_e32 v14, 0xff, v72
	v_mov_b32_e32 v15, 0
	v_dot4c_i32_i8_e32 v147, v130, v17
	v_mul_lo_u32 v14, v151, v14
	v_cvt_f32_i32_e32 v151, v14
	v_lshrrev_b32_e32 v14, 4, v138
	v_and_b32_e32 v14, 0xf0f0f0f, v14
	v_dot4c_i32_i8_e32 v15, v14, v10
	v_lshrrev_b32_e32 v10, 4, v139
	v_and_b32_e32 v10, 0xf0f0f0f, v10
	v_dot4c_i32_i8_e32 v15, v10, v11
	;; [unrolled: 3-line block ×8, first 2 shown]
	v_bfe_u32 v6, v72, 8, 8
	v_and_b32_e32 v132, 0xf0f0f0f, v76
	v_mov_b32_e32 v133, 0
	v_mul_lo_u32 v6, v15, v6
	v_cvt_f32_i32_e32 v138, v6
	ds_read_b128 v[18:21], v116 offset:64
	ds_read_b128 v[14:17], v116 offset:80
	;; [unrolled: 1-line block ×4, first 2 shown]
	v_lshrrev_b32_e32 v76, 4, v76
	s_waitcnt lgkmcnt(3)
	v_dot4c_i32_i8_e32 v133, v132, v18
	v_and_b32_e32 v132, 0xf0f0f0f, v77
	v_dot4c_i32_i8_e32 v133, v132, v19
	v_and_b32_e32 v132, 0xf0f0f0f, v84
	;; [unrolled: 2-line block ×4, first 2 shown]
	s_waitcnt lgkmcnt(2)
	v_dot4c_i32_i8_e32 v133, v132, v14
	v_and_b32_e32 v132, 0xf0f0f0f, v87
	v_dot4c_i32_i8_e32 v133, v132, v15
	v_and_b32_e32 v132, 0xf0f0f0f, v88
	;; [unrolled: 2-line block ×4, first 2 shown]
	v_mov_b32_e32 v132, 0
	s_waitcnt lgkmcnt(1)
	v_dot4c_i32_i8_e32 v132, v76, v10
	v_lshrrev_b32_e32 v76, 4, v77
	v_and_b32_e32 v76, 0xf0f0f0f, v76
	v_dot4c_i32_i8_e32 v132, v76, v11
	v_lshrrev_b32_e32 v76, 4, v84
	v_and_b32_e32 v76, 0xf0f0f0f, v76
	;; [unrolled: 3-line block ×4, first 2 shown]
	s_waitcnt lgkmcnt(0)
	v_dot4c_i32_i8_e32 v132, v76, v6
	v_lshrrev_b32_e32 v76, 4, v87
	v_and_b32_e32 v76, 0xf0f0f0f, v76
	v_dot4c_i32_i8_e32 v132, v76, v7
	v_lshrrev_b32_e32 v76, 4, v88
	v_cvt_f32_f16_e32 v85, v4
	v_cvt_f32_f16_sdwa v77, v4 dst_sel:DWORD dst_unused:UNUSED_PAD src0_sel:WORD_1
	v_and_b32_e32 v4, 0xff, v78
	v_bfe_u32 v86, v78, 16, 8
	v_and_b32_e32 v76, 0xf0f0f0f, v76
	v_mul_lo_u32 v4, v128, v4
	v_mul_lo_u32 v86, v133, v86
	v_dot4c_i32_i8_e32 v132, v76, v8
	v_lshrrev_b32_e32 v76, 4, v89
	v_cvt_f32_f16_e32 v84, v2
	v_cvt_f32_i32_e32 v89, v86
	v_cvt_f32_i32_e32 v88, v4
	v_and_b32_e32 v76, 0xf0f0f0f, v76
	v_lshrrev_b32_e32 v140, 24, v78
	v_dot4c_i32_i8_e32 v132, v76, v9
	v_bfe_u32 v78, v78, 8, 8
	v_pk_fma_f32 v[88:89], v[84:85], v[88:89], 0 op_sel_hi:[1,1,0]
	v_mul_lo_u32 v78, v141, v78
	v_mul_lo_u32 v84, v132, v140
	v_cvt_f32_f16_sdwa v76, v2 dst_sel:DWORD dst_unused:UNUSED_PAD src0_sel:WORD_1
	v_cvt_f32_f16_e32 v87, v5
	v_cvt_f32_f16_e32 v86, v3
	v_cvt_f32_i32_e32 v133, v84
	v_cvt_f32_i32_e32 v132, v78
	v_and_b32_e32 v148, 0xff, v70
	v_cvt_f32_f16_sdwa v5, v5 dst_sel:DWORD dst_unused:UNUSED_PAD src0_sel:WORD_1
	v_cvt_f32_f16_sdwa v4, v3 dst_sel:DWORD dst_unused:UNUSED_PAD src0_sel:WORD_1
	v_cvt_f32_f16_e32 v80, v82
	v_cvt_f32_f16_sdwa v82, v82 dst_sel:DWORD dst_unused:UNUSED_PAD src0_sel:WORD_1
	v_mul_lo_u32 v147, v147, v148
	v_cvt_f32_i32_e32 v147, v147
	v_cvt_f32_ubyte2_e32 v135, v79
	v_cvt_f32_ubyte0_e32 v134, v79
	v_pk_fma_f32 v[134:135], v[76:77], v[134:135], 0 op_sel_hi:[1,1,0]
	v_pk_fma_f32 v[88:89], v[86:87], v[132:133], v[88:89]
	v_cvt_f32_ubyte3_e32 v133, v79
	v_cvt_f32_ubyte1_e32 v132, v79
	v_pk_fma_f32 v[78:79], v[4:5], v[132:133], v[134:135]
	v_cvt_f32_ubyte0_e32 v144, v75
	v_cvt_f32_ubyte0_e32 v148, v71
	;; [unrolled: 1-line block ×3, first 2 shown]
	v_pk_mul_f32 v[78:79], v[78:79], v[82:83] op_sel_hi:[1,0]
	v_cvt_f32_ubyte1_e32 v139, v73
	v_pk_fma_f32 v[78:79], v[88:89], v[80:81], v[78:79] op_sel_hi:[1,0,1] neg_lo:[0,0,1] neg_hi:[0,0,1]
	v_fma_mix_f32 v4, v2, v143, 0 op_sel_hi:[1,0,0]
	v_fma_mix_f32 v76, v2, v144, 0 op_sel:[1,0,0] op_sel_hi:[1,0,0]
	v_fma_mix_f32 v80, v2, v147, 0 op_sel_hi:[1,0,0]
	v_fma_mix_f32 v82, v2, v148, 0 op_sel:[1,0,0] op_sel_hi:[1,0,0]
	;; [unrolled: 2-line block ×4, first 2 shown]
	v_and_b32_e32 v2, 0xf0f0f0f, v136
	v_mov_b32_e32 v84, 0
	v_dot4c_i32_i8_e32 v84, v2, v18
	v_and_b32_e32 v2, 0xf0f0f0f, v137
	v_cvt_f32_ubyte1_e32 v146, v75
	v_cvt_f32_ubyte1_e32 v150, v71
	v_dot4c_i32_i8_e32 v84, v2, v19
	v_add_u32_e32 v2, 0x10a8, v119
	v_fma_mix_f32 v4, v3, v145, v4 op_sel_hi:[1,0,0]
	v_fma_mix_f32 v76, v3, v146, v76 op_sel:[1,0,0] op_sel_hi:[1,0,0]
	v_fma_mix_f32 v80, v3, v149, v80 op_sel_hi:[1,0,0]
	v_fma_mix_f32 v82, v3, v150, v82 op_sel:[1,0,0] op_sel_hi:[1,0,0]
	ds_read2_b32 v[2:3], v2 offset1:1
	v_add_u32_e32 v86, 0x10b0, v119
	v_add_u32_e32 v132, 0x10b8, v119
	;; [unrolled: 1-line block ×3, first 2 shown]
	ds_read2_b32 v[88:89], v86 offset1:1
	ds_read2_b32 v[132:133], v132 offset1:1
	;; [unrolled: 1-line block ×3, first 2 shown]
	s_waitcnt lgkmcnt(3)
	v_and_b32_e32 v86, 0xf0f0f0f, v2
	v_dot4c_i32_i8_e32 v84, v86, v20
	v_and_b32_e32 v86, 0xf0f0f0f, v3
	v_dot4c_i32_i8_e32 v84, v86, v21
	s_waitcnt lgkmcnt(2)
	v_and_b32_e32 v86, 0xf0f0f0f, v88
	v_dot4c_i32_i8_e32 v84, v86, v14
	v_and_b32_e32 v86, 0xf0f0f0f, v89
	v_dot4c_i32_i8_e32 v84, v86, v15
	s_waitcnt lgkmcnt(1)
	v_and_b32_e32 v86, 0xf0f0f0f, v132
	v_dot4c_i32_i8_e32 v84, v86, v16
	v_and_b32_e32 v86, 0xf0f0f0f, v133
	v_lshrrev_b32_e32 v142, 24, v74
	v_dot4c_i32_i8_e32 v84, v86, v17
	v_bfe_u32 v74, v74, 16, 8
	v_lshrrev_b32_e32 v2, 4, v2
	v_and_b32_e32 v2, 0xf0f0f0f, v2
	v_mul_lo_u32 v74, v84, v74
	v_cvt_f32_i32_e32 v138, v74
	v_lshrrev_b32_e32 v74, 4, v136
	v_and_b32_e32 v74, 0xf0f0f0f, v74
	v_mov_b32_e32 v84, 0
	v_dot4c_i32_i8_e32 v84, v74, v10
	v_lshrrev_b32_e32 v74, 4, v137
	v_and_b32_e32 v74, 0xf0f0f0f, v74
	v_dot4c_i32_i8_e32 v84, v74, v11
	v_dot4c_i32_i8_e32 v84, v2, v12
	v_lshrrev_b32_e32 v2, 4, v3
	v_and_b32_e32 v2, 0xf0f0f0f, v2
	v_dot4c_i32_i8_e32 v84, v2, v13
	v_lshrrev_b32_e32 v2, 4, v88
	v_and_b32_e32 v2, 0xf0f0f0f, v2
	;; [unrolled: 3-line block ×5, first 2 shown]
	v_cvt_f32_f16_sdwa v3, v131 dst_sel:DWORD dst_unused:UNUSED_PAD src0_sel:WORD_1
	v_dot4c_i32_i8_e32 v84, v2, v9
	v_cvt_f32_ubyte2_e32 v139, v75
	v_cvt_f32_ubyte3_e32 v75, v75
	v_mul_f32_e32 v76, v76, v3
	v_mul_lo_u32 v2, v84, v142
	v_cvt_f32_i32_e32 v74, v2
	v_cvt_f32_f16_e32 v2, v131
	v_fma_mix_f32 v89, v4, v131, -v76 op_sel_hi:[0,1,0]
	v_mov_b32_e32 v76, v85
	v_pk_fma_f32 v[84:85], v[76:77], v[138:139], 0 op_sel_hi:[1,1,0]
	v_mov_b32_e32 v4, v87
	v_pk_fma_f32 v[74:75], v[4:5], v[74:75], v[84:85]
	v_pk_mul_f32 v[84:85], v[74:75], v[2:3]
	v_mov_b32_e32 v85, v84
	v_mov_b32_e32 v88, v78
	v_pk_fma_f32 v[2:3], v[74:75], v[2:3], v[84:85] neg_lo:[1,0,0] neg_hi:[1,0,0]
	v_pk_add_f32 v[58:59], v[58:59], v[88:89]
	v_mov_b32_e32 v2, v79
	v_pk_add_f32 v[58:59], v[58:59], v[2:3]
	s_waitcnt lgkmcnt(0)
	v_and_b32_e32 v2, 0xf0f0f0f, v134
	v_mov_b32_e32 v86, 0
	v_dot4c_i32_i8_e32 v86, v2, v18
	v_and_b32_e32 v2, 0xf0f0f0f, v135
	v_dot4c_i32_i8_e32 v86, v2, v19
	v_add_u32_e32 v2, 0x2128, v119
	ds_read2_b32 v[2:3], v2 offset1:1
	v_add_u32_e32 v74, 0x2130, v119
	v_add_u32_e32 v78, 0x2138, v119
	;; [unrolled: 1-line block ×3, first 2 shown]
	ds_read2_b32 v[74:75], v74 offset1:1
	ds_read2_b32 v[78:79], v78 offset1:1
	;; [unrolled: 1-line block ×3, first 2 shown]
	s_waitcnt lgkmcnt(3)
	v_and_b32_e32 v87, 0xf0f0f0f, v2
	v_dot4c_i32_i8_e32 v86, v87, v20
	v_and_b32_e32 v87, 0xf0f0f0f, v3
	v_dot4c_i32_i8_e32 v86, v87, v21
	s_waitcnt lgkmcnt(2)
	v_and_b32_e32 v87, 0xf0f0f0f, v74
	v_dot4c_i32_i8_e32 v86, v87, v14
	v_and_b32_e32 v87, 0xf0f0f0f, v75
	v_dot4c_i32_i8_e32 v86, v87, v15
	s_waitcnt lgkmcnt(1)
	v_and_b32_e32 v87, 0xf0f0f0f, v78
	v_dot4c_i32_i8_e32 v86, v87, v16
	v_and_b32_e32 v87, 0xf0f0f0f, v79
	v_lshrrev_b32_e32 v130, 24, v70
	v_dot4c_i32_i8_e32 v86, v87, v17
	v_bfe_u32 v70, v70, 16, 8
	v_mov_b32_e32 v88, 0
	v_lshrrev_b32_e32 v2, 4, v2
	v_mul_lo_u32 v70, v86, v70
	v_cvt_f32_i32_e32 v86, v70
	v_lshrrev_b32_e32 v70, 4, v134
	v_and_b32_e32 v70, 0xf0f0f0f, v70
	v_dot4c_i32_i8_e32 v88, v70, v10
	v_lshrrev_b32_e32 v70, 4, v135
	v_and_b32_e32 v70, 0xf0f0f0f, v70
	v_dot4c_i32_i8_e32 v88, v70, v11
	v_and_b32_e32 v2, 0xf0f0f0f, v2
	v_dot4c_i32_i8_e32 v88, v2, v12
	v_lshrrev_b32_e32 v2, 4, v3
	v_and_b32_e32 v2, 0xf0f0f0f, v2
	v_dot4c_i32_i8_e32 v88, v2, v13
	v_lshrrev_b32_e32 v2, 4, v74
	;; [unrolled: 3-line block ×5, first 2 shown]
	v_and_b32_e32 v2, 0xf0f0f0f, v2
	v_cvt_f32_f16_sdwa v3, v129 dst_sel:DWORD dst_unused:UNUSED_PAD src0_sel:WORD_1
	v_dot4c_i32_i8_e32 v88, v2, v9
	v_cvt_f32_ubyte2_e32 v87, v71
	v_cvt_f32_ubyte3_e32 v71, v71
	v_mul_f32_e32 v74, v82, v3
	v_mul_lo_u32 v2, v88, v130
	v_cvt_f32_i32_e32 v70, v2
	v_cvt_f32_f16_e32 v2, v129
	v_fma_mix_f32 v74, v80, v129, -v74 op_sel_hi:[0,1,0]
	v_add_f32_e32 v78, v83, v74
	v_pk_fma_f32 v[74:75], v[76:77], v[86:87], 0 op_sel_hi:[1,1,0]
	v_pk_fma_f32 v[70:71], v[4:5], v[70:71], v[74:75]
	v_pk_mul_f32 v[2:3], v[70:71], v[2:3]
	v_sub_f32_e32 v2, v2, v3
	v_add_f32_e32 v83, v78, v2
	s_waitcnt lgkmcnt(0)
	v_and_b32_e32 v2, 0xf0f0f0f, v84
	v_mov_b32_e32 v74, 0
	v_dot4c_i32_i8_e32 v74, v2, v18
	v_and_b32_e32 v2, 0xf0f0f0f, v85
	v_dot4c_i32_i8_e32 v74, v2, v19
	v_add_u32_e32 v2, 0x31a8, v119
	ds_read2_b32 v[2:3], v2 offset1:1
	v_add_u32_e32 v18, 0x31b0, v119
	v_add_u32_e32 v70, 0x31b8, v119
	ds_read2_b32 v[18:19], v18 offset1:1
	ds_read2_b32 v[70:71], v70 offset1:1
	v_lshrrev_b32_e32 v152, 24, v72
	s_waitcnt lgkmcnt(2)
	v_and_b32_e32 v75, 0xf0f0f0f, v2
	v_dot4c_i32_i8_e32 v74, v75, v20
	v_and_b32_e32 v20, 0xf0f0f0f, v3
	v_dot4c_i32_i8_e32 v74, v20, v21
	s_waitcnt lgkmcnt(1)
	v_and_b32_e32 v20, 0xf0f0f0f, v18
	v_dot4c_i32_i8_e32 v74, v20, v14
	v_and_b32_e32 v14, 0xf0f0f0f, v19
	v_dot4c_i32_i8_e32 v74, v14, v15
	s_waitcnt lgkmcnt(0)
	v_and_b32_e32 v14, 0xf0f0f0f, v70
	v_dot4c_i32_i8_e32 v74, v14, v16
	v_and_b32_e32 v14, 0xf0f0f0f, v71
	v_lshrrev_b32_e32 v16, 4, v84
	v_dot4c_i32_i8_e32 v74, v14, v17
	v_and_b32_e32 v16, 0xf0f0f0f, v16
	v_mov_b32_e32 v17, 0
	v_dot4c_i32_i8_e32 v17, v16, v10
	v_lshrrev_b32_e32 v10, 4, v85
	v_and_b32_e32 v10, 0xf0f0f0f, v10
	v_lshrrev_b32_e32 v2, 4, v2
	v_dot4c_i32_i8_e32 v17, v10, v11
	v_and_b32_e32 v2, 0xf0f0f0f, v2
	v_dot4c_i32_i8_e32 v17, v2, v12
	v_lshrrev_b32_e32 v2, 4, v3
	v_and_b32_e32 v2, 0xf0f0f0f, v2
	v_dot4c_i32_i8_e32 v17, v2, v13
	v_lshrrev_b32_e32 v2, 4, v18
	;; [unrolled: 3-line block ×5, first 2 shown]
	v_bfe_u32 v14, v72, 16, 8
	v_and_b32_e32 v2, 0xf0f0f0f, v2
	v_cvt_f32_f16_sdwa v3, v81 dst_sel:DWORD dst_unused:UNUSED_PAD src0_sel:WORD_1
	v_mul_lo_u32 v14, v74, v14
	v_dot4c_i32_i8_e32 v17, v2, v9
	v_cvt_f32_i32_e32 v14, v14
	v_mul_f32_e32 v8, v140, v3
	v_cvt_f32_ubyte2_e32 v15, v73
	v_mul_lo_u32 v2, v17, v152
	v_cvt_f32_i32_e32 v6, v2
	v_cvt_f32_f16_e32 v2, v81
	v_fma_mix_f32 v8, v128, v81, -v8 op_sel_hi:[0,1,0]
	v_cvt_f32_ubyte3_e32 v7, v73
	v_add_f32_e32 v10, v45, v8
	v_pk_fma_f32 v[8:9], v[76:77], v[14:15], 0 op_sel_hi:[1,1,0]
	v_pk_fma_f32 v[4:5], v[4:5], v[6:7], v[8:9]
	v_pk_mul_f32 v[2:3], v[4:5], v[2:3]
	v_sub_f32_e32 v2, v2, v3
	v_add_f32_e32 v45, v10, v2
	s_cmp_ge_i32 s12, s19
	s_barrier
	s_cbranch_scc1 .LBB231_5
; %bb.13:                               ;   in Loop: Header=BB231_6 Depth=1
	v_cmp_gt_i32_e32 vcc, s9, v121
	s_and_b64 s[20:21], s[2:3], vcc
	s_and_saveexec_b64 s[4:5], s[20:21]
	s_cbranch_execz .LBB231_15
; %bb.14:                               ;   in Loop: Header=BB231_6 Depth=1
	v_add_u32_e32 v2, v24, v121
	v_mad_i64_i32 v[2:3], s[20:21], v2, 36, v[22:23]
	global_load_dword v2, v[2:3], off offset:4
	s_waitcnt vmcnt(0)
	ds_write_b32 v113, v2
.LBB231_15:                             ;   in Loop: Header=BB231_6 Depth=1
	s_or_b64 exec, exec, s[4:5]
	s_and_saveexec_b64 s[4:5], s[0:1]
	s_cbranch_execz .LBB231_4
; %bb.16:                               ;   in Loop: Header=BB231_6 Depth=1
	v_add_u32_e32 v2, 4, v91
	v_cmp_gt_i32_e32 vcc, s9, v2
	s_and_b64 s[20:21], s[2:3], vcc
	s_and_b64 exec, exec, s[20:21]
	s_cbranch_execz .LBB231_4
; %bb.17:                               ;   in Loop: Header=BB231_6 Depth=1
	v_ashrrev_i32_e32 v2, 31, v91
	v_add_co_u32_e32 v3, vcc, v24, v91
	v_addc_co_u32_e32 v4, vcc, v1, v2, vcc
	v_mad_u64_u32 v[2:3], s[20:21], v3, 36, s[6:7]
	v_mad_i32_i24 v3, v4, 36, v3
	global_load_dword v2, v[2:3], off
	s_waitcnt vmcnt(0)
	ds_write_b32 v114, v2
	s_branch .LBB231_4
.LBB231_18:
	v_mov_b32_e32 v83, 0
	v_mov_b32_e32 v59, 0
	;; [unrolled: 1-line block ×3, first 2 shown]
.LBB231_19:
	s_mul_i32 s0, s11, s8
	s_waitcnt vmcnt(0)
	v_cmp_gt_i32_e32 vcc, s0, v90
	s_and_saveexec_b64 s[0:1], vcc
	s_cbranch_execz .LBB231_28
; %bb.20:
	v_and_b32_e32 v0, 0x3ff, v0
	v_add_u32_e32 v1, s24, v0
	v_mul_lo_u32 v0, v90, s10
	v_cmp_gt_u32_e32 vcc, s10, v1
	s_and_saveexec_b64 s[0:1], vcc
	s_cbranch_execz .LBB231_22
; %bb.21:
	v_bfe_u32 v2, v58, 16, 1
	s_movk_i32 s2, 0x7fff
	v_add3_u32 v2, v58, v2, s2
	v_lshrrev_b32_e32 v2, 16, v2
	v_mov_b32_e32 v3, 0x7fc0
	v_cmp_o_f32_e32 vcc, v58, v58
	v_cndmask_b32_e32 v4, v3, v2, vcc
	v_add_u32_e32 v2, v0, v1
	v_mov_b32_e32 v3, 0
	v_lshlrev_b64 v[2:3], 1, v[2:3]
	v_mov_b32_e32 v5, s17
	v_add_co_u32_e32 v2, vcc, s16, v2
	v_addc_co_u32_e32 v3, vcc, v5, v3, vcc
	global_store_short v[2:3], v4, off
.LBB231_22:
	s_or_b64 exec, exec, s[0:1]
	v_add_u32_e32 v2, 32, v1
	v_cmp_gt_u32_e32 vcc, s10, v2
	s_and_saveexec_b64 s[0:1], vcc
	s_cbranch_execz .LBB231_24
; %bb.23:
	v_bfe_u32 v3, v59, 16, 1
	s_movk_i32 s2, 0x7fff
	v_add3_u32 v3, v59, v3, s2
	v_lshrrev_b32_e32 v3, 16, v3
	v_mov_b32_e32 v4, 0x7fc0
	v_cmp_o_f32_e32 vcc, v59, v59
	v_cndmask_b32_e32 v4, v4, v3, vcc
	v_add_u32_e32 v2, v0, v2
	v_mov_b32_e32 v3, 0
	v_lshlrev_b64 v[2:3], 1, v[2:3]
	v_mov_b32_e32 v5, s17
	v_add_co_u32_e32 v2, vcc, s16, v2
	v_addc_co_u32_e32 v3, vcc, v5, v3, vcc
	global_store_short v[2:3], v4, off
.LBB231_24:
	s_or_b64 exec, exec, s[0:1]
	v_add_u32_e32 v2, 64, v1
	;; [unrolled: 21-line block ×3, first 2 shown]
	v_cmp_gt_u32_e32 vcc, s10, v1
	s_and_b64 exec, exec, vcc
	s_cbranch_execz .LBB231_28
; %bb.27:
	v_bfe_u32 v2, v45, 16, 1
	s_movk_i32 s0, 0x7fff
	v_add3_u32 v2, v45, v2, s0
	v_add_u32_e32 v0, v0, v1
	v_mov_b32_e32 v1, 0
	v_lshrrev_b32_e32 v2, 16, v2
	v_mov_b32_e32 v3, 0x7fc0
	v_cmp_o_f32_e32 vcc, v45, v45
	v_lshlrev_b64 v[0:1], 1, v[0:1]
	v_cndmask_b32_e32 v2, v3, v2, vcc
	v_mov_b32_e32 v3, s17
	v_add_co_u32_e32 v0, vcc, s16, v0
	v_addc_co_u32_e32 v1, vcc, v3, v1, vcc
	global_store_short v[0:1], v2, off
.LBB231_28:
	s_endpgm
	.section	.rodata,"a",@progbits
	.p2align	6, 0x0
	.amdhsa_kernel _ZL8moe_q4_KIN3c108BFloat16ELb0EEvPKvS3_PT_PKiS7_S7_iiiiiii
		.amdhsa_group_segment_fixed_size 20688
		.amdhsa_private_segment_fixed_size 0
		.amdhsa_kernarg_size 76
		.amdhsa_user_sgpr_count 6
		.amdhsa_user_sgpr_private_segment_buffer 1
		.amdhsa_user_sgpr_dispatch_ptr 0
		.amdhsa_user_sgpr_queue_ptr 0
		.amdhsa_user_sgpr_kernarg_segment_ptr 1
		.amdhsa_user_sgpr_dispatch_id 0
		.amdhsa_user_sgpr_flat_scratch_init 0
		.amdhsa_user_sgpr_kernarg_preload_length 0
		.amdhsa_user_sgpr_kernarg_preload_offset 0
		.amdhsa_user_sgpr_private_segment_size 0
		.amdhsa_uses_dynamic_stack 0
		.amdhsa_system_sgpr_private_segment_wavefront_offset 0
		.amdhsa_system_sgpr_workgroup_id_x 1
		.amdhsa_system_sgpr_workgroup_id_y 1
		.amdhsa_system_sgpr_workgroup_id_z 0
		.amdhsa_system_sgpr_workgroup_info 0
		.amdhsa_system_vgpr_workitem_id 1
		.amdhsa_next_free_vgpr 154
		.amdhsa_next_free_sgpr 28
		.amdhsa_accum_offset 156
		.amdhsa_reserve_vcc 1
		.amdhsa_reserve_flat_scratch 0
		.amdhsa_float_round_mode_32 0
		.amdhsa_float_round_mode_16_64 0
		.amdhsa_float_denorm_mode_32 3
		.amdhsa_float_denorm_mode_16_64 3
		.amdhsa_dx10_clamp 1
		.amdhsa_ieee_mode 1
		.amdhsa_fp16_overflow 0
		.amdhsa_tg_split 0
		.amdhsa_exception_fp_ieee_invalid_op 0
		.amdhsa_exception_fp_denorm_src 0
		.amdhsa_exception_fp_ieee_div_zero 0
		.amdhsa_exception_fp_ieee_overflow 0
		.amdhsa_exception_fp_ieee_underflow 0
		.amdhsa_exception_fp_ieee_inexact 0
		.amdhsa_exception_int_div_zero 0
	.end_amdhsa_kernel
	.section	.text._ZL8moe_q4_KIN3c108BFloat16ELb0EEvPKvS3_PT_PKiS7_S7_iiiiiii,"axG",@progbits,_ZL8moe_q4_KIN3c108BFloat16ELb0EEvPKvS3_PT_PKiS7_S7_iiiiiii,comdat
.Lfunc_end231:
	.size	_ZL8moe_q4_KIN3c108BFloat16ELb0EEvPKvS3_PT_PKiS7_S7_iiiiiii, .Lfunc_end231-_ZL8moe_q4_KIN3c108BFloat16ELb0EEvPKvS3_PT_PKiS7_S7_iiiiiii
                                        ; -- End function
	.section	.AMDGPU.csdata,"",@progbits
; Kernel info:
; codeLenInByte = 10620
; NumSgprs: 32
; NumVgprs: 154
; NumAgprs: 0
; TotalNumVgprs: 154
; ScratchSize: 0
; MemoryBound: 0
; FloatMode: 240
; IeeeMode: 1
; LDSByteSize: 20688 bytes/workgroup (compile time only)
; SGPRBlocks: 3
; VGPRBlocks: 19
; NumSGPRsForWavesPerEU: 32
; NumVGPRsForWavesPerEU: 154
; AccumOffset: 156
; Occupancy: 3
; WaveLimiterHint : 1
; COMPUTE_PGM_RSRC2:SCRATCH_EN: 0
; COMPUTE_PGM_RSRC2:USER_SGPR: 6
; COMPUTE_PGM_RSRC2:TRAP_HANDLER: 0
; COMPUTE_PGM_RSRC2:TGID_X_EN: 1
; COMPUTE_PGM_RSRC2:TGID_Y_EN: 1
; COMPUTE_PGM_RSRC2:TGID_Z_EN: 0
; COMPUTE_PGM_RSRC2:TIDIG_COMP_CNT: 1
; COMPUTE_PGM_RSRC3_GFX90A:ACCUM_OFFSET: 38
; COMPUTE_PGM_RSRC3_GFX90A:TG_SPLIT: 0
	.section	.text._ZL8moe_q4_KIN3c108BFloat16ELb1EEvPKvS3_PT_PKiS7_S7_iiiiiii,"axG",@progbits,_ZL8moe_q4_KIN3c108BFloat16ELb1EEvPKvS3_PT_PKiS7_S7_iiiiiii,comdat
	.globl	_ZL8moe_q4_KIN3c108BFloat16ELb1EEvPKvS3_PT_PKiS7_S7_iiiiiii ; -- Begin function _ZL8moe_q4_KIN3c108BFloat16ELb1EEvPKvS3_PT_PKiS7_S7_iiiiiii
	.p2align	8
	.type	_ZL8moe_q4_KIN3c108BFloat16ELb1EEvPKvS3_PT_PKiS7_S7_iiiiiii,@function
_ZL8moe_q4_KIN3c108BFloat16ELb1EEvPKvS3_PT_PKiS7_S7_iiiiiii: ; @_ZL8moe_q4_KIN3c108BFloat16ELb1EEvPKvS3_PT_PKiS7_S7_iiiiiii
; %bb.0:
	s_load_dwordx4 s[0:3], s[4:5], 0x18
	s_mov_b32 s8, s7
	s_mov_b32 s9, 0
	s_lshl_b64 s[10:11], s[8:9], 2
	s_waitcnt lgkmcnt(0)
	s_add_u32 s2, s2, s10
	s_addc_u32 s3, s3, s11
	s_load_dword s2, s[2:3], 0x0
	s_waitcnt lgkmcnt(0)
	s_cmpk_gt_u32 s2, 0xff
	s_cbranch_scc1 .LBB232_28
; %bb.1:
	s_load_dwordx2 s[10:11], s[4:5], 0x28
	s_lshl_b32 s3, s8, 3
	s_waitcnt lgkmcnt(0)
	s_load_dword s7, s[10:11], 0x0
	s_waitcnt lgkmcnt(0)
	s_cmp_gt_u32 s3, s7
	s_cbranch_scc1 .LBB232_28
; %bb.2:
	v_bfe_u32 v1, v0, 10, 10
	v_add_u32_e32 v42, s3, v1
	v_mov_b32_e32 v43, 0
	v_lshlrev_b64 v[2:3], 2, v[42:43]
	v_mov_b32_e32 v4, s1
	v_add_co_u32_e32 v2, vcc, s0, v2
	v_addc_co_u32_e32 v3, vcc, v4, v3, vcc
	global_load_dword v69, v[2:3], off
	s_load_dwordx8 s[8:15], s[4:5], 0x30
	s_load_dwordx2 s[20:21], s[4:5], 0x10
	s_waitcnt lgkmcnt(0)
	s_lshl_b32 s15, s6, 7
	s_mov_b32 s22, 0
	s_cmpk_lt_i32 s9, 0x100
	s_cbranch_scc1 .LBB232_18
; %bb.3:
	s_ashr_i32 s0, s9, 31
	s_lshr_b32 s0, s0, 24
	s_add_i32 s0, s9, s0
	s_ashr_i32 s26, s0, 8
	s_ashr_i32 s0, s12, 31
	s_lshr_b32 s0, s0, 27
	s_add_i32 s0, s12, s0
	s_ashr_i32 s12, s0, 5
	s_not_b32 s0, s15
	s_mul_i32 s8, s2, s8
	s_add_i32 s2, s0, s10
	v_and_b32_e32 v71, 0x3ff, v0
	v_lshlrev_b32_e32 v2, 2, v71
	v_min_i32_e32 v3, s2, v1
	s_movk_i32 s3, 0x84
	v_mul_lo_u32 v5, v3, s26
	v_mad_u64_u32 v[22:23], s[0:1], v3, s3, v[2:3]
	v_add_u32_e32 v3, 8, v1
	v_min_i32_e32 v3, s2, v3
	v_mul_lo_u32 v7, v3, s26
	v_mad_u64_u32 v[24:25], s[0:1], v3, s3, v[2:3]
	v_add_u32_e32 v3, 16, v1
	v_min_i32_e32 v3, s2, v3
	;; [unrolled: 4-line block ×15, first 2 shown]
	v_mul_lo_u32 v21, v3, s26
	v_mad_u64_u32 v[52:53], s[0:1], v3, s3, v[2:3]
	v_lshlrev_b32_e32 v3, 5, v1
	v_add_u32_e32 v23, v3, v71
	v_and_b32_e32 v25, 0x7f, v23
	v_min_i32_e32 v25, s2, v25
	v_ashrrev_i32_e32 v27, 31, v25
	v_lshrrev_b32_e32 v27, 27, v27
	v_add_u32_e32 v27, v25, v27
	v_ashrrev_i32_e32 v27, 5, v27
	v_mul_lo_u32 v43, v25, s26
	v_lshlrev_b32_e32 v27, 2, v27
	v_lshlrev_b32_e32 v25, 2, v25
	s_movk_i32 s3, 0x4e40
	v_add3_u32 v73, v27, v25, s3
	v_and_b32_e32 v27, 3, v71
	v_add_u32_e32 v29, 0xfe, v27
	v_cmp_gt_u32_e32 vcc, 2, v27
	v_lshrrev_b32_e32 v25, 2, v71
	v_cndmask_b32_e32 v29, v29, v27, vcc
	v_lshl_add_u32 v25, v1, 3, v25
	v_and_b32_e32 v29, 0xff, v29
	v_cmp_ne_u32_e32 vcc, 0, v27
	v_addc_co_u32_e32 v59, vcc, 0, v29, vcc
	v_and_b32_e32 v25, 0x7f, v25
	v_and_b32_e32 v31, 4, v2
	v_cmp_lt_u32_e32 vcc, 1, v27
	v_lshlrev_b32_e32 v77, 1, v29
	v_min_i32_e32 v29, s2, v25
	v_cndmask_b32_e32 v75, 0, v31, vcc
	v_ashrrev_i32_e32 v31, 31, v29
	v_xor_b32_e32 v25, 64, v25
	v_lshrrev_b32_e32 v31, 29, v31
	v_min_i32_e32 v25, s2, v25
	s_load_dwordx4 s[16:19], s[4:5], 0x0
	v_mul_lo_u32 v61, v29, s26
	v_add_u32_e32 v31, v29, v31
	v_lshlrev_b32_e32 v103, 4, v29
	v_ashrrev_i32_e32 v29, 31, v25
	v_lshrrev_b32_e32 v29, 29, v29
	v_add_u32_e32 v29, v25, v29
	v_ashrrev_i32_e32 v31, 3, v31
	v_ashrrev_i32_e32 v29, 3, v29
	v_lshlrev_b32_e32 v31, 2, v31
	v_lshlrev_b32_e32 v27, 2, v27
	s_movk_i32 s0, 0x4200
	v_mul_lo_u32 v63, v25, s26
	v_lshlrev_b32_e32 v29, 2, v29
	v_lshlrev_b32_e32 v105, 4, v25
	v_and_b32_e32 v25, 28, v2
	v_add3_u32 v102, v31, v27, s0
	v_add3_u32 v104, v29, v27, s0
	v_and_or_b32 v3, v71, 31, v3
	s_waitcnt lgkmcnt(0)
	v_add_co_u32_e64 v54, s[0:1], s18, v25
	v_mov_b32_e32 v25, 0x4a40
	s_movk_i32 s2, 0xffe4
	v_lshl_add_u32 v79, v3, 2, v25
	v_mad_i32_i24 v3, v1, s2, v23
	v_mov_b32_e32 v23, 0x5050
	v_lshrrev_b32_e32 v83, 3, v71
	v_lshrrev_b32_e32 v4, 5, v71
	v_lshl_add_u32 v81, v3, 2, v23
	v_lshl_add_u32 v85, v1, 7, v25
	v_lshlrev_b32_e32 v87, 4, v1
	v_add_u32_e32 v1, v83, v2
	v_mov_b32_e32 v3, 0x4200
	v_lshl_add_u32 v89, v1, 2, v3
	v_lshlrev_b32_e32 v1, 2, v4
	v_add3_u32 v97, v1, v2, s3
	v_add_u32_e32 v1, 32, v71
	v_lshrrev_b32_e32 v99, 3, v1
	v_lshl_add_u32 v1, v1, 2, v99
	v_lshl_add_u32 v101, v1, 2, v3
	v_and_b32_e32 v1, 60, v99
	v_add3_u32 v115, v2, v1, s3
	v_add_u32_e32 v1, 64, v71
	v_lshrrev_b32_e32 v23, 3, v1
	v_lshl_add_u32 v1, v1, 2, v23
	s_abs_i32 s4, s14
	v_lshl_add_u32 v122, v1, 2, v3
	v_and_b32_e32 v1, 60, v23
	v_cvt_f32_u32_e32 v25, s4
	v_add3_u32 v123, v2, v1, s3
	v_add_u32_e32 v1, 0x60, v71
	v_lshrrev_b32_e32 v23, 3, v1
	v_lshl_add_u32 v1, v1, 2, v23
	v_lshl_add_u32 v124, v1, 2, v3
	v_rcp_iflag_f32_e32 v3, v25
	v_and_b32_e32 v1, 60, v23
	v_and_b32_e32 v6, 0x7c, v2
	v_add3_u32 v125, v2, v1, s3
	v_mul_f32_e32 v2, 0x4f7ffffe, v3
	v_cvt_u32_f32_e32 v2, v2
	s_sub_i32 s2, 0, s4
	s_waitcnt vmcnt(0)
	v_sub_u32_e32 v3, 0, v69
	v_max_i32_e32 v3, v69, v3
	v_mul_lo_u32 v23, s2, v2
	v_mul_hi_u32 v23, v2, v23
	v_add_u32_e32 v2, v2, v23
	v_mul_hi_u32 v2, v3, v2
	v_mul_lo_u32 v23, v2, s4
	v_sub_u32_e32 v3, v3, v23
	v_add_u32_e32 v23, 1, v2
	v_cmp_le_u32_e64 s[2:3], s4, v3
	v_cndmask_b32_e64 v2, v2, v23, s[2:3]
	v_subrev_u32_e32 v23, s4, v3
	v_cndmask_b32_e64 v3, v3, v23, s[2:3]
	v_xor_b32_e32 v1, s14, v69
	v_add_u32_e32 v23, 1, v2
	v_cmp_le_u32_e64 s[2:3], s4, v3
	s_mul_i32 s23, s26, s15
	v_ashrrev_i32_e32 v1, 31, v1
	v_cndmask_b32_e64 v2, v2, v23, s[2:3]
	v_xor_b32_e32 v2, v2, v1
	s_mul_hi_i32 s25, s23, 0x90
	s_mul_i32 s24, s23, 0x90
	v_sub_u32_e32 v1, v2, v1
	s_movk_i32 s10, 0x90
	v_pk_mov_b32 v[2:3], s[24:25], s[24:25] op_sel:[0,1]
	v_mad_u64_u32 v[2:3], s[4:5], v4, s10, v[2:3]
	v_mad_i64_i32 v[4:5], s[4:5], v5, s10, v[2:3]
	v_add_co_u32_e64 v4, s[4:5], v4, v6
	v_addc_co_u32_e64 v5, s[4:5], 0, v5, s[4:5]
	v_mov_b32_e32 v65, s17
	v_add_co_u32_e64 v4, s[4:5], s16, v4
	v_addc_co_u32_e64 v5, s[4:5], v5, v65, s[4:5]
	v_add_co_u32_e64 v58, s[4:5], 16, v4
	v_addc_co_u32_e64 v23, s[4:5], 0, v5, s[4:5]
	v_mad_i64_i32 v[4:5], s[4:5], v7, s10, v[2:3]
	v_add_co_u32_e64 v4, s[4:5], v4, v6
	v_addc_co_u32_e64 v5, s[4:5], 0, v5, s[4:5]
	v_add_co_u32_e64 v4, s[4:5], s16, v4
	v_addc_co_u32_e64 v5, s[4:5], v5, v65, s[4:5]
	;; [unrolled: 2-line block ×3, first 2 shown]
	v_mad_i64_i32 v[4:5], s[4:5], v8, s10, v[2:3]
	v_add_co_u32_e64 v4, s[4:5], v4, v6
	v_addc_co_u32_e64 v5, s[4:5], 0, v5, s[4:5]
	v_add_co_u32_e64 v4, s[4:5], s16, v4
	v_addc_co_u32_e64 v5, s[4:5], v5, v65, s[4:5]
	v_mov_b32_e32 v27, s19
	v_add_co_u32_e64 v62, s[4:5], 16, v4
	v_addc_co_u32_e64 v55, s[0:1], 0, v27, s[0:1]
	v_addc_co_u32_e64 v27, s[4:5], 0, v5, s[4:5]
	v_mad_i64_i32 v[4:5], s[4:5], v9, s10, v[2:3]
	v_add_co_u32_e64 v4, s[4:5], v4, v6
	v_addc_co_u32_e64 v5, s[4:5], 0, v5, s[4:5]
	v_add_co_u32_e64 v4, s[4:5], s16, v4
	v_addc_co_u32_e64 v5, s[4:5], v5, v65, s[4:5]
	v_add_co_u32_e64 v64, s[4:5], 16, v4
	v_addc_co_u32_e64 v29, s[4:5], 0, v5, s[4:5]
	v_mad_i64_i32 v[4:5], s[4:5], v10, s10, v[2:3]
	v_add_co_u32_e64 v4, s[4:5], v4, v6
	v_addc_co_u32_e64 v5, s[4:5], 0, v5, s[4:5]
	v_add_co_u32_e64 v4, s[4:5], s16, v4
	v_addc_co_u32_e64 v5, s[4:5], v5, v65, s[4:5]
	v_add_co_u32_e64 v66, s[4:5], 16, v4
	;; [unrolled: 7-line block ×12, first 2 shown]
	v_addc_co_u32_e64 v53, s[4:5], 0, v5, s[4:5]
	v_mad_i64_i32 v[2:3], s[4:5], v21, s10, v[2:3]
	v_add_co_u32_e64 v2, s[4:5], v2, v6
	v_addc_co_u32_e64 v3, s[4:5], 0, v3, s[4:5]
	v_add_co_u32_e64 v2, s[4:5], s16, v2
	s_ashr_i32 s27, s8, 31
	v_addc_co_u32_e64 v3, s[4:5], v3, v65, s[4:5]
	s_add_u32 s6, s18, 0x90
	v_add_co_u32_e64 v88, s[4:5], 16, v2
	s_addc_u32 s7, s19, 0
	v_addc_co_u32_e64 v57, s[4:5], 0, v3, s[4:5]
	s_add_u32 s4, s16, s24
	s_addc_u32 s5, s17, s25
	v_pk_mov_b32 v[2:3], s[4:5], s[4:5] op_sel:[0,1]
	v_mad_i64_i32 v[92:93], s[4:5], v43, s10, v[2:3]
	v_mad_i64_i32 v[2:3], s[4:5], v61, s10, 0
	v_mov_b32_e32 v4, 0x90
	v_mad_i64_i32 v[2:3], s[4:5], s23, v4, v[2:3]
	v_lshlrev_b32_e32 v5, 2, v59
	v_add_co_u32_e64 v6, s[4:5], v2, v5
	v_addc_co_u32_e64 v7, s[4:5], 0, v3, s[4:5]
	v_add_co_u32_e64 v6, s[4:5], s16, v6
	v_addc_co_u32_e64 v7, s[4:5], v7, v65, s[4:5]
	v_add_co_u32_e64 v94, s[4:5], 4, v6
	v_cndmask_b32_e64 v6, 0, 1, vcc
	v_lshlrev_b32_e32 v6, 2, v6
	v_or_b32_e32 v2, v2, v6
	v_add_co_u32_e32 v2, vcc, s16, v2
	v_addc_co_u32_e32 v3, vcc, v3, v65, vcc
	v_add_co_u32_e32 v96, vcc, 4, v2
	v_addc_co_u32_e64 v59, s[4:5], 0, v7, s[4:5]
	v_addc_co_u32_e32 v61, vcc, 0, v3, vcc
	v_mad_i64_i32 v[2:3], s[4:5], v63, s10, 0
	v_mad_i64_i32 v[2:3], s[4:5], s23, v4, v[2:3]
	v_add_co_u32_e32 v4, vcc, v2, v5
	v_addc_co_u32_e32 v5, vcc, 0, v3, vcc
	v_add_co_u32_e32 v4, vcc, s16, v4
	v_addc_co_u32_e32 v5, vcc, v5, v65, vcc
	;; [unrolled: 2-line block ×3, first 2 shown]
	v_or_b32_e32 v2, v2, v6
	v_add_co_u32_e32 v2, vcc, s16, v2
	v_addc_co_u32_e32 v3, vcc, v3, v65, vcc
	v_mul_lo_u32 v56, v1, s12
	v_add_co_u32_e32 v100, vcc, 4, v2
	s_mov_b32 s23, s22
	v_mov_b32_e32 v67, 0
	v_cmp_gt_u32_e64 s[0:1], 4, v71
	v_mul_u32_u24_e32 v95, 0x84, v71
	v_cmp_gt_i32_e64 s[2:3], s11, v1
	v_ashrrev_i32_e32 v1, 31, v56
	v_addc_co_u32_e32 v65, vcc, 0, v3, vcc
	s_movk_i32 s10, 0x80
	v_pk_mov_b32 v[90:91], s[22:23], s[22:23] op_sel:[0,1]
	s_mov_b32 s16, 0x30303030
	v_add_u32_e32 v126, v102, v103
	v_add_u32_e32 v127, v104, v105
	v_mov_b32_e32 v43, 0
	s_branch .LBB232_6
.LBB232_4:                              ;   in Loop: Header=BB232_6 Depth=1
	s_or_b64 exec, exec, s[4:5]
	s_waitcnt lgkmcnt(0)
	s_barrier
	ds_read_b128 v[2:5], v87 offset:20560
	ds_read2_b32 v[102:103], v95 offset0:16 offset1:17
	ds_read_b128 v[18:21], v85
	ds_read_b128 v[14:17], v85 offset:16
	ds_read_b128 v[10:13], v85 offset:32
	;; [unrolled: 1-line block ×3, first 2 shown]
	ds_read_b32 v114, v97
	s_waitcnt lgkmcnt(5)
	v_and_b32_e32 v104, 0xf0f0f0f, v102
	v_mov_b32_e32 v128, 0
	s_waitcnt lgkmcnt(4)
	v_dot4c_i32_i8_e32 v128, v104, v18
	ds_read2_b32 v[104:105], v95 offset0:18 offset1:19
	v_lshrrev_b32_e32 v102, 4, v102
	v_and_b32_e32 v102, 0xf0f0f0f, v102
	v_mov_b32_e32 v141, 0
	s_waitcnt lgkmcnt(3)
	v_dot4c_i32_i8_e32 v141, v102, v10
	v_lshrrev_b32_e32 v102, 4, v103
	v_and_b32_e32 v102, 0xf0f0f0f, v102
	v_and_b32_e32 v106, 0xf0f0f0f, v103
	v_dot4c_i32_i8_e32 v141, v102, v11
	s_waitcnt lgkmcnt(0)
	v_lshrrev_b32_e32 v102, 4, v104
	v_dot4c_i32_i8_e32 v128, v106, v19
	ds_read2_b32 v[106:107], v95 offset0:20 offset1:21
	ds_read2_b32 v[112:113], v95 offset0:22 offset1:23
	;; [unrolled: 1-line block ×3, first 2 shown]
	v_and_b32_e32 v102, 0xf0f0f0f, v102
	v_dot4c_i32_i8_e32 v141, v102, v12
	v_lshrrev_b32_e32 v102, 4, v105
	v_and_b32_e32 v102, 0xf0f0f0f, v102
	v_dot4c_i32_i8_e32 v141, v102, v13
	s_waitcnt lgkmcnt(2)
	v_lshrrev_b32_e32 v102, 4, v106
	v_and_b32_e32 v102, 0xf0f0f0f, v102
	v_dot4c_i32_i8_e32 v141, v102, v6
	v_lshrrev_b32_e32 v102, 4, v107
	v_and_b32_e32 v110, 0xf0f0f0f, v104
	v_and_b32_e32 v102, 0xf0f0f0f, v102
	v_dot4c_i32_i8_e32 v128, v110, v20
	v_and_b32_e32 v110, 0xf0f0f0f, v105
	v_dot4c_i32_i8_e32 v141, v102, v7
	s_waitcnt lgkmcnt(1)
	v_lshrrev_b32_e32 v102, 4, v112
	v_dot4c_i32_i8_e32 v128, v110, v21
	v_and_b32_e32 v110, 0xf0f0f0f, v106
	v_and_b32_e32 v102, 0xf0f0f0f, v102
	v_dot4c_i32_i8_e32 v128, v110, v14
	v_and_b32_e32 v110, 0xf0f0f0f, v107
	v_dot4c_i32_i8_e32 v141, v102, v8
	v_lshrrev_b32_e32 v102, 4, v113
	v_dot4c_i32_i8_e32 v128, v110, v15
	v_and_b32_e32 v116, 0xf0f0f0f, v112
	v_and_b32_e32 v102, 0xf0f0f0f, v102
	v_dot4c_i32_i8_e32 v128, v116, v16
	v_and_b32_e32 v116, 0xf0f0f0f, v113
	v_dot4c_i32_i8_e32 v141, v102, v9
	v_add_u32_e32 v102, 0x10c0, v95
	ds_read2_b32 v[110:111], v89 offset0:1 offset1:3
	v_dot4c_i32_i8_e32 v128, v116, v17
	ds_read2_b32 v[116:117], v95 offset0:26 offset1:27
	ds_read2_b32 v[118:119], v95 offset0:28 offset1:29
	;; [unrolled: 1-line block ×3, first 2 shown]
	ds_read2_b32 v[102:103], v102 offset1:1
	v_mov_b32_e32 v130, 0
	ds_read_b32 v131, v115 offset:128
	ds_read_b32 v129, v123 offset:256
	;; [unrolled: 1-line block ×3, first 2 shown]
	v_add_u32_e32 v106, 0x10d0, v95
	v_add_u32_e32 v136, 0x2140, v95
	s_waitcnt lgkmcnt(3)
	v_and_b32_e32 v104, 0xf0f0f0f, v102
	v_dot4c_i32_i8_e32 v130, v104, v18
	v_and_b32_e32 v104, 0xf0f0f0f, v103
	v_dot4c_i32_i8_e32 v130, v104, v19
	v_add_u32_e32 v104, 0x10c8, v95
	ds_read2_b32 v[104:105], v104 offset1:1
	v_add_u32_e32 v107, 0x10d8, v95
	ds_read2_b32 v[132:133], v106 offset1:1
	ds_read2_b32 v[134:135], v107 offset1:1
	;; [unrolled: 1-line block ×3, first 2 shown]
	v_lshrrev_b32_e32 v102, 4, v102
	v_and_b32_e32 v102, 0xf0f0f0f, v102
	s_waitcnt lgkmcnt(3)
	v_and_b32_e32 v106, 0xf0f0f0f, v104
	v_dot4c_i32_i8_e32 v130, v106, v20
	v_and_b32_e32 v106, 0xf0f0f0f, v105
	v_dot4c_i32_i8_e32 v130, v106, v21
	s_waitcnt lgkmcnt(2)
	v_and_b32_e32 v106, 0xf0f0f0f, v132
	v_dot4c_i32_i8_e32 v130, v106, v14
	v_and_b32_e32 v106, 0xf0f0f0f, v133
	v_dot4c_i32_i8_e32 v130, v106, v15
	ds_read2_b32 v[106:107], v101 offset0:1 offset1:3
	s_waitcnt lgkmcnt(2)
	v_and_b32_e32 v138, 0xf0f0f0f, v134
	v_dot4c_i32_i8_e32 v130, v138, v16
	v_and_b32_e32 v138, 0xf0f0f0f, v135
	v_dot4c_i32_i8_e32 v130, v138, v17
	s_waitcnt lgkmcnt(0)
	v_and_b32_e32 v138, 0xff, v106
	v_mov_b32_e32 v147, 0
	v_mov_b32_e32 v149, 0
	v_mul_lo_u32 v130, v130, v138
	v_cvt_f32_i32_e32 v143, v130
	v_mov_b32_e32 v130, 0
	v_dot4c_i32_i8_e32 v130, v102, v10
	v_lshrrev_b32_e32 v102, 4, v103
	v_and_b32_e32 v102, 0xf0f0f0f, v102
	v_dot4c_i32_i8_e32 v130, v102, v11
	v_lshrrev_b32_e32 v102, 4, v104
	v_and_b32_e32 v102, 0xf0f0f0f, v102
	;; [unrolled: 3-line block ×7, first 2 shown]
	v_dot4c_i32_i8_e32 v130, v102, v9
	v_bfe_u32 v102, v106, 8, 8
	v_add_u32_e32 v103, 0x2150, v95
	v_mov_b32_e32 v151, 0
	v_mul_lo_u32 v102, v130, v102
	v_cvt_f32_i32_e32 v145, v102
	v_and_b32_e32 v102, 0xf0f0f0f, v136
	v_dot4c_i32_i8_e32 v147, v102, v18
	v_and_b32_e32 v102, 0xf0f0f0f, v137
	v_dot4c_i32_i8_e32 v147, v102, v19
	v_add_u32_e32 v102, 0x2148, v95
	ds_read2_b32 v[104:105], v102 offset1:1
	v_lshrrev_b32_e32 v136, 4, v136
	v_and_b32_e32 v136, 0xf0f0f0f, v136
	v_add_u32_e32 v102, 0x31c0, v95
	v_dot4c_i32_i8_e32 v149, v136, v10
	v_lshrrev_b32_e32 v136, 4, v137
	v_add_u32_e32 v130, 0x2158, v95
	ds_read2_b32 v[132:133], v103 offset1:1
	ds_read2_b32 v[134:135], v130 offset1:1
	;; [unrolled: 1-line block ×3, first 2 shown]
	s_waitcnt lgkmcnt(3)
	v_and_b32_e32 v102, 0xf0f0f0f, v104
	v_and_b32_e32 v136, 0xf0f0f0f, v136
	v_lshrrev_b32_e32 v104, 4, v104
	v_dot4c_i32_i8_e32 v149, v136, v11
	v_and_b32_e32 v104, 0xf0f0f0f, v104
	v_dot4c_i32_i8_e32 v149, v104, v12
	v_lshrrev_b32_e32 v104, 4, v105
	v_and_b32_e32 v104, 0xf0f0f0f, v104
	v_dot4c_i32_i8_e32 v147, v102, v20
	v_and_b32_e32 v102, 0xf0f0f0f, v105
	v_dot4c_i32_i8_e32 v149, v104, v13
	s_waitcnt lgkmcnt(2)
	v_lshrrev_b32_e32 v104, 4, v132
	v_dot4c_i32_i8_e32 v147, v102, v21
	v_and_b32_e32 v102, 0xf0f0f0f, v132
	v_and_b32_e32 v104, 0xf0f0f0f, v104
	v_dot4c_i32_i8_e32 v147, v102, v14
	v_and_b32_e32 v102, 0xf0f0f0f, v133
	v_dot4c_i32_i8_e32 v149, v104, v6
	v_lshrrev_b32_e32 v104, 4, v133
	v_dot4c_i32_i8_e32 v147, v102, v15
	ds_read2_b32 v[102:103], v122 offset0:1 offset1:3
	v_and_b32_e32 v104, 0xf0f0f0f, v104
	v_dot4c_i32_i8_e32 v149, v104, v7
	s_waitcnt lgkmcnt(2)
	v_lshrrev_b32_e32 v104, 4, v134
	v_and_b32_e32 v104, 0xf0f0f0f, v104
	v_dot4c_i32_i8_e32 v149, v104, v8
	v_lshrrev_b32_e32 v104, 4, v135
	v_and_b32_e32 v104, 0xf0f0f0f, v104
	v_dot4c_i32_i8_e32 v149, v104, v9
	s_waitcnt lgkmcnt(0)
	v_bfe_u32 v104, v102, 8, 8
	v_and_b32_e32 v130, 0xf0f0f0f, v134
	v_add_u32_e32 v136, 0x10e0, v95
	v_mul_lo_u32 v104, v149, v104
	v_cvt_f32_i32_e32 v149, v104
	v_and_b32_e32 v104, 0xf0f0f0f, v138
	v_dot4c_i32_i8_e32 v151, v104, v18
	v_and_b32_e32 v18, 0xf0f0f0f, v139
	v_dot4c_i32_i8_e32 v151, v18, v19
	v_add_u32_e32 v18, 0x31c8, v95
	ds_read2_b32 v[18:19], v18 offset1:1
	v_add_u32_e32 v104, 0x31d0, v95
	v_dot4c_i32_i8_e32 v147, v130, v16
	v_and_b32_e32 v130, 0xf0f0f0f, v135
	v_add_u32_e32 v105, 0x31d8, v95
	ds_read2_b32 v[132:133], v104 offset1:1
	ds_read2_b32 v[134:135], v105 offset1:1
	;; [unrolled: 1-line block ×3, first 2 shown]
	s_waitcnt lgkmcnt(3)
	v_and_b32_e32 v104, 0xf0f0f0f, v18
	v_dot4c_i32_i8_e32 v151, v104, v20
	v_and_b32_e32 v20, 0xf0f0f0f, v19
	ds_read2_b32 v[104:105], v124 offset0:1 offset1:3
	v_dot4c_i32_i8_e32 v151, v20, v21
	s_waitcnt lgkmcnt(3)
	v_and_b32_e32 v20, 0xf0f0f0f, v132
	v_dot4c_i32_i8_e32 v151, v20, v14
	v_and_b32_e32 v14, 0xf0f0f0f, v133
	v_dot4c_i32_i8_e32 v151, v14, v15
	s_waitcnt lgkmcnt(2)
	v_and_b32_e32 v14, 0xf0f0f0f, v134
	v_dot4c_i32_i8_e32 v151, v14, v16
	v_and_b32_e32 v14, 0xf0f0f0f, v135
	v_dot4c_i32_i8_e32 v151, v14, v17
	s_waitcnt lgkmcnt(0)
	v_and_b32_e32 v14, 0xff, v104
	v_mov_b32_e32 v15, 0
	v_dot4c_i32_i8_e32 v147, v130, v17
	v_mul_lo_u32 v14, v151, v14
	v_cvt_f32_i32_e32 v151, v14
	v_lshrrev_b32_e32 v14, 4, v138
	v_and_b32_e32 v14, 0xf0f0f0f, v14
	v_dot4c_i32_i8_e32 v15, v14, v10
	v_lshrrev_b32_e32 v10, 4, v139
	v_and_b32_e32 v10, 0xf0f0f0f, v10
	v_dot4c_i32_i8_e32 v15, v10, v11
	;; [unrolled: 3-line block ×8, first 2 shown]
	v_bfe_u32 v6, v104, 8, 8
	v_and_b32_e32 v132, 0xf0f0f0f, v108
	v_mov_b32_e32 v133, 0
	v_mul_lo_u32 v6, v15, v6
	v_cvt_f32_i32_e32 v138, v6
	ds_read_b128 v[18:21], v85 offset:64
	ds_read_b128 v[14:17], v85 offset:80
	;; [unrolled: 1-line block ×4, first 2 shown]
	v_lshrrev_b32_e32 v108, 4, v108
	s_waitcnt lgkmcnt(3)
	v_dot4c_i32_i8_e32 v133, v132, v18
	v_and_b32_e32 v132, 0xf0f0f0f, v109
	v_dot4c_i32_i8_e32 v133, v132, v19
	v_and_b32_e32 v132, 0xf0f0f0f, v116
	;; [unrolled: 2-line block ×4, first 2 shown]
	s_waitcnt lgkmcnt(2)
	v_dot4c_i32_i8_e32 v133, v132, v14
	v_and_b32_e32 v132, 0xf0f0f0f, v119
	v_dot4c_i32_i8_e32 v133, v132, v15
	v_and_b32_e32 v132, 0xf0f0f0f, v120
	v_dot4c_i32_i8_e32 v133, v132, v16
	v_and_b32_e32 v132, 0xf0f0f0f, v121
	v_dot4c_i32_i8_e32 v133, v132, v17
	v_and_b32_e32 v108, 0xf0f0f0f, v108
	v_mov_b32_e32 v132, 0
	s_waitcnt lgkmcnt(1)
	v_dot4c_i32_i8_e32 v132, v108, v10
	v_lshrrev_b32_e32 v108, 4, v109
	v_and_b32_e32 v108, 0xf0f0f0f, v108
	v_dot4c_i32_i8_e32 v132, v108, v11
	v_lshrrev_b32_e32 v108, 4, v116
	v_and_b32_e32 v108, 0xf0f0f0f, v108
	;; [unrolled: 3-line block ×4, first 2 shown]
	s_waitcnt lgkmcnt(0)
	v_dot4c_i32_i8_e32 v132, v108, v6
	v_lshrrev_b32_e32 v108, 4, v119
	v_and_b32_e32 v108, 0xf0f0f0f, v108
	v_dot4c_i32_i8_e32 v132, v108, v7
	v_lshrrev_b32_e32 v108, 4, v120
	v_cvt_f32_f16_e32 v117, v4
	v_cvt_f32_f16_sdwa v109, v4 dst_sel:DWORD dst_unused:UNUSED_PAD src0_sel:WORD_1
	v_and_b32_e32 v4, 0xff, v110
	v_bfe_u32 v118, v110, 16, 8
	v_and_b32_e32 v108, 0xf0f0f0f, v108
	v_mul_lo_u32 v4, v128, v4
	v_mul_lo_u32 v118, v133, v118
	v_dot4c_i32_i8_e32 v132, v108, v8
	v_lshrrev_b32_e32 v108, 4, v121
	v_cvt_f32_f16_e32 v116, v2
	v_cvt_f32_i32_e32 v121, v118
	v_cvt_f32_i32_e32 v120, v4
	v_and_b32_e32 v108, 0xf0f0f0f, v108
	v_lshrrev_b32_e32 v140, 24, v110
	v_dot4c_i32_i8_e32 v132, v108, v9
	v_bfe_u32 v110, v110, 8, 8
	v_pk_fma_f32 v[120:121], v[116:117], v[120:121], 0 op_sel_hi:[1,1,0]
	v_mul_lo_u32 v110, v141, v110
	v_mul_lo_u32 v116, v132, v140
	v_cvt_f32_f16_sdwa v108, v2 dst_sel:DWORD dst_unused:UNUSED_PAD src0_sel:WORD_1
	v_cvt_f32_f16_e32 v119, v5
	v_cvt_f32_f16_e32 v118, v3
	v_cvt_f32_i32_e32 v133, v116
	v_cvt_f32_i32_e32 v132, v110
	v_and_b32_e32 v148, 0xff, v102
	v_cvt_f32_f16_sdwa v5, v5 dst_sel:DWORD dst_unused:UNUSED_PAD src0_sel:WORD_1
	v_cvt_f32_f16_sdwa v4, v3 dst_sel:DWORD dst_unused:UNUSED_PAD src0_sel:WORD_1
	v_cvt_f32_f16_e32 v112, v114
	v_cvt_f32_f16_sdwa v114, v114 dst_sel:DWORD dst_unused:UNUSED_PAD src0_sel:WORD_1
	v_mul_lo_u32 v147, v147, v148
	v_cvt_f32_i32_e32 v147, v147
	v_cvt_f32_ubyte2_e32 v135, v111
	v_cvt_f32_ubyte0_e32 v134, v111
	v_pk_fma_f32 v[134:135], v[108:109], v[134:135], 0 op_sel_hi:[1,1,0]
	v_pk_fma_f32 v[120:121], v[118:119], v[132:133], v[120:121]
	v_cvt_f32_ubyte3_e32 v133, v111
	v_cvt_f32_ubyte1_e32 v132, v111
	v_pk_fma_f32 v[110:111], v[4:5], v[132:133], v[134:135]
	v_cvt_f32_ubyte0_e32 v144, v107
	v_cvt_f32_ubyte0_e32 v148, v103
	;; [unrolled: 1-line block ×3, first 2 shown]
	v_pk_mul_f32 v[110:111], v[110:111], v[114:115] op_sel_hi:[1,0]
	v_cvt_f32_ubyte1_e32 v139, v105
	v_pk_fma_f32 v[110:111], v[120:121], v[112:113], v[110:111] op_sel_hi:[1,0,1] neg_lo:[0,0,1] neg_hi:[0,0,1]
	v_fma_mix_f32 v4, v2, v143, 0 op_sel_hi:[1,0,0]
	v_fma_mix_f32 v108, v2, v144, 0 op_sel:[1,0,0] op_sel_hi:[1,0,0]
	v_fma_mix_f32 v112, v2, v147, 0 op_sel_hi:[1,0,0]
	v_fma_mix_f32 v114, v2, v148, 0 op_sel:[1,0,0] op_sel_hi:[1,0,0]
	;; [unrolled: 2-line block ×4, first 2 shown]
	v_and_b32_e32 v2, 0xf0f0f0f, v136
	v_mov_b32_e32 v116, 0
	v_dot4c_i32_i8_e32 v116, v2, v18
	v_and_b32_e32 v2, 0xf0f0f0f, v137
	v_cvt_f32_ubyte1_e32 v146, v107
	v_cvt_f32_ubyte1_e32 v150, v103
	v_dot4c_i32_i8_e32 v116, v2, v19
	v_add_u32_e32 v2, 0x10e8, v95
	v_fma_mix_f32 v4, v3, v145, v4 op_sel_hi:[1,0,0]
	v_fma_mix_f32 v108, v3, v146, v108 op_sel:[1,0,0] op_sel_hi:[1,0,0]
	v_fma_mix_f32 v112, v3, v149, v112 op_sel_hi:[1,0,0]
	v_fma_mix_f32 v114, v3, v150, v114 op_sel:[1,0,0] op_sel_hi:[1,0,0]
	ds_read2_b32 v[2:3], v2 offset1:1
	v_add_u32_e32 v118, 0x10f0, v95
	v_add_u32_e32 v132, 0x10f8, v95
	;; [unrolled: 1-line block ×3, first 2 shown]
	ds_read2_b32 v[120:121], v118 offset1:1
	ds_read2_b32 v[132:133], v132 offset1:1
	;; [unrolled: 1-line block ×3, first 2 shown]
	s_waitcnt lgkmcnt(3)
	v_and_b32_e32 v118, 0xf0f0f0f, v2
	v_dot4c_i32_i8_e32 v116, v118, v20
	v_and_b32_e32 v118, 0xf0f0f0f, v3
	v_dot4c_i32_i8_e32 v116, v118, v21
	s_waitcnt lgkmcnt(2)
	v_and_b32_e32 v118, 0xf0f0f0f, v120
	v_dot4c_i32_i8_e32 v116, v118, v14
	v_and_b32_e32 v118, 0xf0f0f0f, v121
	v_dot4c_i32_i8_e32 v116, v118, v15
	s_waitcnt lgkmcnt(1)
	v_and_b32_e32 v118, 0xf0f0f0f, v132
	v_dot4c_i32_i8_e32 v116, v118, v16
	v_and_b32_e32 v118, 0xf0f0f0f, v133
	v_lshrrev_b32_e32 v142, 24, v106
	v_dot4c_i32_i8_e32 v116, v118, v17
	v_bfe_u32 v106, v106, 16, 8
	v_lshrrev_b32_e32 v2, 4, v2
	v_and_b32_e32 v2, 0xf0f0f0f, v2
	v_mul_lo_u32 v106, v116, v106
	v_cvt_f32_i32_e32 v138, v106
	v_lshrrev_b32_e32 v106, 4, v136
	v_and_b32_e32 v106, 0xf0f0f0f, v106
	v_mov_b32_e32 v116, 0
	v_dot4c_i32_i8_e32 v116, v106, v10
	v_lshrrev_b32_e32 v106, 4, v137
	v_and_b32_e32 v106, 0xf0f0f0f, v106
	v_dot4c_i32_i8_e32 v116, v106, v11
	v_dot4c_i32_i8_e32 v116, v2, v12
	v_lshrrev_b32_e32 v2, 4, v3
	v_and_b32_e32 v2, 0xf0f0f0f, v2
	v_dot4c_i32_i8_e32 v116, v2, v13
	v_lshrrev_b32_e32 v2, 4, v120
	v_and_b32_e32 v2, 0xf0f0f0f, v2
	;; [unrolled: 3-line block ×5, first 2 shown]
	v_cvt_f32_f16_sdwa v3, v131 dst_sel:DWORD dst_unused:UNUSED_PAD src0_sel:WORD_1
	v_dot4c_i32_i8_e32 v116, v2, v9
	v_cvt_f32_ubyte2_e32 v139, v107
	v_cvt_f32_ubyte3_e32 v107, v107
	v_mul_f32_e32 v108, v108, v3
	v_mul_lo_u32 v2, v116, v142
	v_cvt_f32_i32_e32 v106, v2
	v_cvt_f32_f16_e32 v2, v131
	v_fma_mix_f32 v121, v4, v131, -v108 op_sel_hi:[0,1,0]
	v_mov_b32_e32 v108, v117
	v_pk_fma_f32 v[116:117], v[108:109], v[138:139], 0 op_sel_hi:[1,1,0]
	v_mov_b32_e32 v4, v119
	v_pk_fma_f32 v[106:107], v[4:5], v[106:107], v[116:117]
	v_pk_mul_f32 v[116:117], v[106:107], v[2:3]
	v_mov_b32_e32 v117, v116
	v_mov_b32_e32 v120, v110
	v_pk_fma_f32 v[2:3], v[106:107], v[2:3], v[116:117] neg_lo:[1,0,0] neg_hi:[1,0,0]
	v_pk_add_f32 v[90:91], v[90:91], v[120:121]
	v_mov_b32_e32 v2, v111
	v_pk_add_f32 v[90:91], v[90:91], v[2:3]
	s_waitcnt lgkmcnt(0)
	v_and_b32_e32 v2, 0xf0f0f0f, v134
	v_mov_b32_e32 v118, 0
	v_dot4c_i32_i8_e32 v118, v2, v18
	v_and_b32_e32 v2, 0xf0f0f0f, v135
	v_dot4c_i32_i8_e32 v118, v2, v19
	v_add_u32_e32 v2, 0x2168, v95
	ds_read2_b32 v[2:3], v2 offset1:1
	v_add_u32_e32 v106, 0x2170, v95
	v_add_u32_e32 v110, 0x2178, v95
	;; [unrolled: 1-line block ×3, first 2 shown]
	ds_read2_b32 v[106:107], v106 offset1:1
	ds_read2_b32 v[110:111], v110 offset1:1
	;; [unrolled: 1-line block ×3, first 2 shown]
	s_waitcnt lgkmcnt(3)
	v_and_b32_e32 v119, 0xf0f0f0f, v2
	v_dot4c_i32_i8_e32 v118, v119, v20
	v_and_b32_e32 v119, 0xf0f0f0f, v3
	v_dot4c_i32_i8_e32 v118, v119, v21
	s_waitcnt lgkmcnt(2)
	v_and_b32_e32 v119, 0xf0f0f0f, v106
	v_dot4c_i32_i8_e32 v118, v119, v14
	v_and_b32_e32 v119, 0xf0f0f0f, v107
	v_dot4c_i32_i8_e32 v118, v119, v15
	s_waitcnt lgkmcnt(1)
	v_and_b32_e32 v119, 0xf0f0f0f, v110
	v_dot4c_i32_i8_e32 v118, v119, v16
	v_and_b32_e32 v119, 0xf0f0f0f, v111
	v_lshrrev_b32_e32 v130, 24, v102
	v_dot4c_i32_i8_e32 v118, v119, v17
	v_bfe_u32 v102, v102, 16, 8
	v_mov_b32_e32 v120, 0
	v_lshrrev_b32_e32 v2, 4, v2
	v_mul_lo_u32 v102, v118, v102
	v_cvt_f32_i32_e32 v118, v102
	v_lshrrev_b32_e32 v102, 4, v134
	v_and_b32_e32 v102, 0xf0f0f0f, v102
	v_dot4c_i32_i8_e32 v120, v102, v10
	v_lshrrev_b32_e32 v102, 4, v135
	v_and_b32_e32 v102, 0xf0f0f0f, v102
	v_dot4c_i32_i8_e32 v120, v102, v11
	v_and_b32_e32 v2, 0xf0f0f0f, v2
	v_dot4c_i32_i8_e32 v120, v2, v12
	v_lshrrev_b32_e32 v2, 4, v3
	v_and_b32_e32 v2, 0xf0f0f0f, v2
	v_dot4c_i32_i8_e32 v120, v2, v13
	v_lshrrev_b32_e32 v2, 4, v106
	;; [unrolled: 3-line block ×5, first 2 shown]
	v_and_b32_e32 v2, 0xf0f0f0f, v2
	v_cvt_f32_f16_sdwa v3, v129 dst_sel:DWORD dst_unused:UNUSED_PAD src0_sel:WORD_1
	v_dot4c_i32_i8_e32 v120, v2, v9
	v_cvt_f32_ubyte2_e32 v119, v103
	v_cvt_f32_ubyte3_e32 v103, v103
	v_mul_f32_e32 v106, v114, v3
	v_mul_lo_u32 v2, v120, v130
	v_cvt_f32_i32_e32 v102, v2
	v_cvt_f32_f16_e32 v2, v129
	v_fma_mix_f32 v106, v112, v129, -v106 op_sel_hi:[0,1,0]
	v_add_f32_e32 v67, v67, v106
	v_pk_fma_f32 v[106:107], v[108:109], v[118:119], 0 op_sel_hi:[1,1,0]
	v_pk_fma_f32 v[102:103], v[4:5], v[102:103], v[106:107]
	v_pk_mul_f32 v[2:3], v[102:103], v[2:3]
	v_sub_f32_e32 v2, v2, v3
	v_add_f32_e32 v67, v67, v2
	s_waitcnt lgkmcnt(0)
	v_and_b32_e32 v2, 0xf0f0f0f, v116
	v_mov_b32_e32 v106, 0
	v_dot4c_i32_i8_e32 v106, v2, v18
	v_and_b32_e32 v2, 0xf0f0f0f, v117
	v_dot4c_i32_i8_e32 v106, v2, v19
	v_add_u32_e32 v2, 0x31e8, v95
	ds_read2_b32 v[2:3], v2 offset1:1
	v_add_u32_e32 v18, 0x31f0, v95
	v_add_u32_e32 v102, 0x31f8, v95
	ds_read2_b32 v[18:19], v18 offset1:1
	ds_read2_b32 v[102:103], v102 offset1:1
	v_lshrrev_b32_e32 v152, 24, v104
	s_waitcnt lgkmcnt(2)
	v_and_b32_e32 v107, 0xf0f0f0f, v2
	v_dot4c_i32_i8_e32 v106, v107, v20
	v_and_b32_e32 v20, 0xf0f0f0f, v3
	v_dot4c_i32_i8_e32 v106, v20, v21
	s_waitcnt lgkmcnt(1)
	v_and_b32_e32 v20, 0xf0f0f0f, v18
	v_dot4c_i32_i8_e32 v106, v20, v14
	v_and_b32_e32 v14, 0xf0f0f0f, v19
	v_dot4c_i32_i8_e32 v106, v14, v15
	s_waitcnt lgkmcnt(0)
	v_and_b32_e32 v14, 0xf0f0f0f, v102
	v_dot4c_i32_i8_e32 v106, v14, v16
	v_and_b32_e32 v14, 0xf0f0f0f, v103
	v_lshrrev_b32_e32 v16, 4, v116
	v_dot4c_i32_i8_e32 v106, v14, v17
	v_and_b32_e32 v16, 0xf0f0f0f, v16
	v_mov_b32_e32 v17, 0
	v_dot4c_i32_i8_e32 v17, v16, v10
	v_lshrrev_b32_e32 v10, 4, v117
	v_and_b32_e32 v10, 0xf0f0f0f, v10
	v_lshrrev_b32_e32 v2, 4, v2
	v_dot4c_i32_i8_e32 v17, v10, v11
	v_and_b32_e32 v2, 0xf0f0f0f, v2
	v_dot4c_i32_i8_e32 v17, v2, v12
	v_lshrrev_b32_e32 v2, 4, v3
	v_and_b32_e32 v2, 0xf0f0f0f, v2
	v_dot4c_i32_i8_e32 v17, v2, v13
	v_lshrrev_b32_e32 v2, 4, v18
	;; [unrolled: 3-line block ×5, first 2 shown]
	v_bfe_u32 v14, v104, 16, 8
	v_and_b32_e32 v2, 0xf0f0f0f, v2
	v_cvt_f32_f16_sdwa v3, v113 dst_sel:DWORD dst_unused:UNUSED_PAD src0_sel:WORD_1
	v_mul_lo_u32 v14, v106, v14
	v_dot4c_i32_i8_e32 v17, v2, v9
	v_cvt_f32_i32_e32 v14, v14
	v_mul_f32_e32 v8, v140, v3
	v_cvt_f32_ubyte2_e32 v15, v105
	v_mul_lo_u32 v2, v17, v152
	v_cvt_f32_i32_e32 v6, v2
	v_cvt_f32_f16_e32 v2, v113
	v_fma_mix_f32 v8, v128, v113, -v8 op_sel_hi:[0,1,0]
	v_cvt_f32_ubyte3_e32 v7, v105
	v_add_f32_e32 v10, v43, v8
	v_pk_fma_f32 v[8:9], v[108:109], v[14:15], 0 op_sel_hi:[1,1,0]
	v_pk_fma_f32 v[4:5], v[4:5], v[6:7], v[8:9]
	v_pk_mul_f32 v[2:3], v[4:5], v[2:3]
	v_sub_f32_e32 v2, v2, v3
	v_add_f32_e32 v43, v10, v2
	s_barrier
.LBB232_5:                              ;   in Loop: Header=BB232_6 Depth=1
	v_add_co_u32_e32 v58, vcc, 0x90, v58
	v_addc_co_u32_e32 v23, vcc, 0, v23, vcc
	v_add_co_u32_e32 v60, vcc, 0x90, v60
	v_addc_co_u32_e32 v25, vcc, 0, v25, vcc
	;; [unrolled: 2-line block ×20, first 2 shown]
	s_add_i32 s26, s26, -1
	s_addk_i32 s10, 0x100
	v_add_co_u32_e32 v100, vcc, 0x90, v100
	v_add_u32_e32 v71, 8, v71
	v_add_u32_e32 v99, 8, v99
	;; [unrolled: 1-line block ×3, first 2 shown]
	s_cmp_eq_u32 s26, 0
	v_addc_co_u32_e32 v65, vcc, 0, v65, vcc
	s_cbranch_scc1 .LBB232_19
.LBB232_6:                              ; =>This Inner Loop Header: Depth=1
	v_mov_b32_e32 v4, s27
	v_add_co_u32_e32 v2, vcc, s8, v58
	v_addc_co_u32_e32 v3, vcc, v23, v4, vcc
	global_load_dword v5, v[2:3], off
	v_add_co_u32_e32 v2, vcc, s8, v60
	v_addc_co_u32_e32 v3, vcc, v25, v4, vcc
	global_load_dword v6, v[2:3], off
	;; [unrolled: 3-line block ×21, first 2 shown]
	s_waitcnt vmcnt(20)
	ds_write_b32 v22, v5
	s_waitcnt vmcnt(19)
	ds_write_b32 v24, v6
	;; [unrolled: 2-line block ×17, first 2 shown]
	s_add_i32 s4, s10, 0xffffff80
	s_cmp_lt_i32 s4, s9
	s_waitcnt vmcnt(3)
	v_ashrrev_i32_e32 v3, v75, v102
	v_and_b32_e32 v3, 0xf0f0f0f, v3
	s_waitcnt vmcnt(2)
	v_ashrrev_i32_e32 v4, v77, v103
	v_and_or_b32 v3, v4, s16, v3
	ds_write_b32 v126, v3
	s_waitcnt vmcnt(1)
	v_ashrrev_i32_e32 v3, v75, v104
	v_and_b32_e32 v3, 0xf0f0f0f, v3
	s_waitcnt vmcnt(0)
	v_ashrrev_i32_e32 v2, v77, v2
	v_and_or_b32 v2, v2, s16, v3
	ds_write_b32 v127, v2
	s_cbranch_scc0 .LBB232_5
; %bb.7:                                ;   in Loop: Header=BB232_6 Depth=1
	v_cmp_gt_i32_e32 vcc, s12, v83
	s_and_b64 s[22:23], s[2:3], vcc
	s_and_saveexec_b64 s[4:5], s[22:23]
	s_cbranch_execz .LBB232_9
; %bb.8:                                ;   in Loop: Header=BB232_6 Depth=1
	v_add_u32_e32 v2, v56, v83
	v_mad_i64_i32 v[2:3], s[22:23], v2, 36, v[54:55]
	global_load_dword v2, v[2:3], off offset:4
	s_waitcnt vmcnt(0)
	ds_write_b32 v79, v2
.LBB232_9:                              ;   in Loop: Header=BB232_6 Depth=1
	s_or_b64 exec, exec, s[4:5]
	s_and_saveexec_b64 s[4:5], s[0:1]
	s_cbranch_execz .LBB232_12
; %bb.10:                               ;   in Loop: Header=BB232_6 Depth=1
	v_cmp_gt_i32_e32 vcc, s12, v71
	s_and_b64 s[22:23], s[2:3], vcc
	s_and_b64 exec, exec, s[22:23]
	s_cbranch_execz .LBB232_12
; %bb.11:                               ;   in Loop: Header=BB232_6 Depth=1
	v_add_u32_e32 v2, v56, v71
	v_mad_i64_i32 v[2:3], s[22:23], v2, 36, s[18:19]
	global_load_dword v2, v[2:3], off
	s_waitcnt vmcnt(0)
	ds_write_b32 v81, v2
.LBB232_12:                             ;   in Loop: Header=BB232_6 Depth=1
	s_or_b64 exec, exec, s[4:5]
	s_waitcnt lgkmcnt(0)
	s_barrier
	ds_read_b128 v[2:5], v87 offset:20560
	ds_read2_b32 v[102:103], v95 offset1:1
	ds_read_b128 v[18:21], v85
	ds_read_b128 v[14:17], v85 offset:16
	ds_read_b128 v[10:13], v85 offset:32
	ds_read_b128 v[6:9], v85 offset:48
	ds_read_b32 v114, v97
	s_waitcnt lgkmcnt(5)
	v_and_b32_e32 v104, 0xf0f0f0f, v102
	v_mov_b32_e32 v128, 0
	s_waitcnt lgkmcnt(4)
	v_dot4c_i32_i8_e32 v128, v104, v18
	ds_read2_b32 v[104:105], v95 offset0:2 offset1:3
	v_lshrrev_b32_e32 v102, 4, v102
	v_and_b32_e32 v102, 0xf0f0f0f, v102
	v_mov_b32_e32 v141, 0
	s_waitcnt lgkmcnt(3)
	v_dot4c_i32_i8_e32 v141, v102, v10
	v_lshrrev_b32_e32 v102, 4, v103
	v_and_b32_e32 v102, 0xf0f0f0f, v102
	v_and_b32_e32 v106, 0xf0f0f0f, v103
	v_dot4c_i32_i8_e32 v141, v102, v11
	s_waitcnt lgkmcnt(0)
	v_lshrrev_b32_e32 v102, 4, v104
	v_dot4c_i32_i8_e32 v128, v106, v19
	ds_read2_b32 v[106:107], v95 offset0:4 offset1:5
	ds_read2_b32 v[112:113], v95 offset0:6 offset1:7
	;; [unrolled: 1-line block ×3, first 2 shown]
	v_and_b32_e32 v102, 0xf0f0f0f, v102
	v_dot4c_i32_i8_e32 v141, v102, v12
	v_lshrrev_b32_e32 v102, 4, v105
	v_and_b32_e32 v102, 0xf0f0f0f, v102
	v_dot4c_i32_i8_e32 v141, v102, v13
	s_waitcnt lgkmcnt(2)
	v_lshrrev_b32_e32 v102, 4, v106
	v_and_b32_e32 v102, 0xf0f0f0f, v102
	v_dot4c_i32_i8_e32 v141, v102, v6
	v_lshrrev_b32_e32 v102, 4, v107
	v_and_b32_e32 v110, 0xf0f0f0f, v104
	v_and_b32_e32 v102, 0xf0f0f0f, v102
	v_dot4c_i32_i8_e32 v128, v110, v20
	v_and_b32_e32 v110, 0xf0f0f0f, v105
	v_dot4c_i32_i8_e32 v141, v102, v7
	s_waitcnt lgkmcnt(1)
	v_lshrrev_b32_e32 v102, 4, v112
	v_dot4c_i32_i8_e32 v128, v110, v21
	v_and_b32_e32 v110, 0xf0f0f0f, v106
	v_and_b32_e32 v102, 0xf0f0f0f, v102
	v_dot4c_i32_i8_e32 v128, v110, v14
	v_and_b32_e32 v110, 0xf0f0f0f, v107
	v_dot4c_i32_i8_e32 v141, v102, v8
	v_lshrrev_b32_e32 v102, 4, v113
	v_dot4c_i32_i8_e32 v128, v110, v15
	v_and_b32_e32 v116, 0xf0f0f0f, v112
	v_and_b32_e32 v102, 0xf0f0f0f, v102
	v_dot4c_i32_i8_e32 v128, v116, v16
	v_and_b32_e32 v116, 0xf0f0f0f, v113
	v_dot4c_i32_i8_e32 v141, v102, v9
	v_add_u32_e32 v102, 0x1080, v95
	ds_read2_b32 v[110:111], v89 offset1:2
	v_dot4c_i32_i8_e32 v128, v116, v17
	ds_read2_b32 v[116:117], v95 offset0:10 offset1:11
	ds_read2_b32 v[118:119], v95 offset0:12 offset1:13
	;; [unrolled: 1-line block ×3, first 2 shown]
	ds_read2_b32 v[102:103], v102 offset1:1
	v_mov_b32_e32 v130, 0
	ds_read_b32 v131, v115 offset:128
	ds_read_b32 v129, v123 offset:256
	;; [unrolled: 1-line block ×3, first 2 shown]
	v_add_u32_e32 v106, 0x1090, v95
	v_add_u32_e32 v136, 0x2100, v95
	s_waitcnt lgkmcnt(3)
	v_and_b32_e32 v104, 0xf0f0f0f, v102
	v_dot4c_i32_i8_e32 v130, v104, v18
	v_and_b32_e32 v104, 0xf0f0f0f, v103
	v_dot4c_i32_i8_e32 v130, v104, v19
	v_add_u32_e32 v104, 0x1088, v95
	ds_read2_b32 v[104:105], v104 offset1:1
	v_add_u32_e32 v107, 0x1098, v95
	ds_read2_b32 v[132:133], v106 offset1:1
	ds_read2_b32 v[134:135], v107 offset1:1
	ds_read2_b32 v[136:137], v136 offset1:1
	v_lshrrev_b32_e32 v102, 4, v102
	v_and_b32_e32 v102, 0xf0f0f0f, v102
	s_waitcnt lgkmcnt(3)
	v_and_b32_e32 v106, 0xf0f0f0f, v104
	v_dot4c_i32_i8_e32 v130, v106, v20
	v_and_b32_e32 v106, 0xf0f0f0f, v105
	v_dot4c_i32_i8_e32 v130, v106, v21
	s_waitcnt lgkmcnt(2)
	v_and_b32_e32 v106, 0xf0f0f0f, v132
	v_dot4c_i32_i8_e32 v130, v106, v14
	v_and_b32_e32 v106, 0xf0f0f0f, v133
	v_dot4c_i32_i8_e32 v130, v106, v15
	ds_read2_b32 v[106:107], v101 offset1:2
	s_waitcnt lgkmcnt(2)
	v_and_b32_e32 v138, 0xf0f0f0f, v134
	v_dot4c_i32_i8_e32 v130, v138, v16
	v_and_b32_e32 v138, 0xf0f0f0f, v135
	v_dot4c_i32_i8_e32 v130, v138, v17
	s_waitcnt lgkmcnt(0)
	v_and_b32_e32 v138, 0xff, v106
	v_mov_b32_e32 v147, 0
	v_mov_b32_e32 v149, 0
	v_mul_lo_u32 v130, v130, v138
	v_cvt_f32_i32_e32 v143, v130
	v_mov_b32_e32 v130, 0
	v_dot4c_i32_i8_e32 v130, v102, v10
	v_lshrrev_b32_e32 v102, 4, v103
	v_and_b32_e32 v102, 0xf0f0f0f, v102
	v_dot4c_i32_i8_e32 v130, v102, v11
	v_lshrrev_b32_e32 v102, 4, v104
	v_and_b32_e32 v102, 0xf0f0f0f, v102
	;; [unrolled: 3-line block ×7, first 2 shown]
	v_dot4c_i32_i8_e32 v130, v102, v9
	v_bfe_u32 v102, v106, 8, 8
	v_add_u32_e32 v103, 0x2110, v95
	v_mov_b32_e32 v151, 0
	v_mul_lo_u32 v102, v130, v102
	v_cvt_f32_i32_e32 v145, v102
	v_and_b32_e32 v102, 0xf0f0f0f, v136
	v_dot4c_i32_i8_e32 v147, v102, v18
	v_and_b32_e32 v102, 0xf0f0f0f, v137
	v_dot4c_i32_i8_e32 v147, v102, v19
	v_add_u32_e32 v102, 0x2108, v95
	ds_read2_b32 v[104:105], v102 offset1:1
	v_lshrrev_b32_e32 v136, 4, v136
	v_and_b32_e32 v136, 0xf0f0f0f, v136
	v_add_u32_e32 v102, 0x3180, v95
	v_dot4c_i32_i8_e32 v149, v136, v10
	v_lshrrev_b32_e32 v136, 4, v137
	v_add_u32_e32 v130, 0x2118, v95
	ds_read2_b32 v[132:133], v103 offset1:1
	ds_read2_b32 v[134:135], v130 offset1:1
	;; [unrolled: 1-line block ×3, first 2 shown]
	s_waitcnt lgkmcnt(3)
	v_and_b32_e32 v102, 0xf0f0f0f, v104
	v_and_b32_e32 v136, 0xf0f0f0f, v136
	v_lshrrev_b32_e32 v104, 4, v104
	v_dot4c_i32_i8_e32 v149, v136, v11
	v_and_b32_e32 v104, 0xf0f0f0f, v104
	v_dot4c_i32_i8_e32 v149, v104, v12
	v_lshrrev_b32_e32 v104, 4, v105
	v_and_b32_e32 v104, 0xf0f0f0f, v104
	v_dot4c_i32_i8_e32 v147, v102, v20
	v_and_b32_e32 v102, 0xf0f0f0f, v105
	v_dot4c_i32_i8_e32 v149, v104, v13
	s_waitcnt lgkmcnt(2)
	v_lshrrev_b32_e32 v104, 4, v132
	v_dot4c_i32_i8_e32 v147, v102, v21
	v_and_b32_e32 v102, 0xf0f0f0f, v132
	v_and_b32_e32 v104, 0xf0f0f0f, v104
	v_dot4c_i32_i8_e32 v147, v102, v14
	v_and_b32_e32 v102, 0xf0f0f0f, v133
	v_dot4c_i32_i8_e32 v149, v104, v6
	v_lshrrev_b32_e32 v104, 4, v133
	v_dot4c_i32_i8_e32 v147, v102, v15
	ds_read2_b32 v[102:103], v122 offset1:2
	v_and_b32_e32 v104, 0xf0f0f0f, v104
	v_dot4c_i32_i8_e32 v149, v104, v7
	s_waitcnt lgkmcnt(2)
	v_lshrrev_b32_e32 v104, 4, v134
	v_and_b32_e32 v104, 0xf0f0f0f, v104
	v_dot4c_i32_i8_e32 v149, v104, v8
	v_lshrrev_b32_e32 v104, 4, v135
	v_and_b32_e32 v104, 0xf0f0f0f, v104
	v_dot4c_i32_i8_e32 v149, v104, v9
	s_waitcnt lgkmcnt(0)
	v_bfe_u32 v104, v102, 8, 8
	v_and_b32_e32 v130, 0xf0f0f0f, v134
	v_add_u32_e32 v136, 0x10a0, v95
	v_mul_lo_u32 v104, v149, v104
	v_cvt_f32_i32_e32 v149, v104
	v_and_b32_e32 v104, 0xf0f0f0f, v138
	v_dot4c_i32_i8_e32 v151, v104, v18
	v_and_b32_e32 v18, 0xf0f0f0f, v139
	v_dot4c_i32_i8_e32 v151, v18, v19
	v_add_u32_e32 v18, 0x3188, v95
	ds_read2_b32 v[18:19], v18 offset1:1
	v_add_u32_e32 v104, 0x3190, v95
	v_dot4c_i32_i8_e32 v147, v130, v16
	v_and_b32_e32 v130, 0xf0f0f0f, v135
	v_add_u32_e32 v105, 0x3198, v95
	ds_read2_b32 v[132:133], v104 offset1:1
	ds_read2_b32 v[134:135], v105 offset1:1
	;; [unrolled: 1-line block ×3, first 2 shown]
	s_waitcnt lgkmcnt(3)
	v_and_b32_e32 v104, 0xf0f0f0f, v18
	v_dot4c_i32_i8_e32 v151, v104, v20
	v_and_b32_e32 v20, 0xf0f0f0f, v19
	ds_read2_b32 v[104:105], v124 offset1:2
	v_dot4c_i32_i8_e32 v151, v20, v21
	s_waitcnt lgkmcnt(3)
	v_and_b32_e32 v20, 0xf0f0f0f, v132
	v_dot4c_i32_i8_e32 v151, v20, v14
	v_and_b32_e32 v14, 0xf0f0f0f, v133
	v_dot4c_i32_i8_e32 v151, v14, v15
	s_waitcnt lgkmcnt(2)
	v_and_b32_e32 v14, 0xf0f0f0f, v134
	v_dot4c_i32_i8_e32 v151, v14, v16
	v_and_b32_e32 v14, 0xf0f0f0f, v135
	v_dot4c_i32_i8_e32 v151, v14, v17
	s_waitcnt lgkmcnt(0)
	v_and_b32_e32 v14, 0xff, v104
	v_mov_b32_e32 v15, 0
	v_dot4c_i32_i8_e32 v147, v130, v17
	v_mul_lo_u32 v14, v151, v14
	v_cvt_f32_i32_e32 v151, v14
	v_lshrrev_b32_e32 v14, 4, v138
	v_and_b32_e32 v14, 0xf0f0f0f, v14
	v_dot4c_i32_i8_e32 v15, v14, v10
	v_lshrrev_b32_e32 v10, 4, v139
	v_and_b32_e32 v10, 0xf0f0f0f, v10
	v_dot4c_i32_i8_e32 v15, v10, v11
	;; [unrolled: 3-line block ×8, first 2 shown]
	v_bfe_u32 v6, v104, 8, 8
	v_and_b32_e32 v132, 0xf0f0f0f, v108
	v_mov_b32_e32 v133, 0
	v_mul_lo_u32 v6, v15, v6
	v_cvt_f32_i32_e32 v138, v6
	ds_read_b128 v[18:21], v85 offset:64
	ds_read_b128 v[14:17], v85 offset:80
	;; [unrolled: 1-line block ×4, first 2 shown]
	v_lshrrev_b32_e32 v108, 4, v108
	s_waitcnt lgkmcnt(3)
	v_dot4c_i32_i8_e32 v133, v132, v18
	v_and_b32_e32 v132, 0xf0f0f0f, v109
	v_dot4c_i32_i8_e32 v133, v132, v19
	v_and_b32_e32 v132, 0xf0f0f0f, v116
	;; [unrolled: 2-line block ×4, first 2 shown]
	s_waitcnt lgkmcnt(2)
	v_dot4c_i32_i8_e32 v133, v132, v14
	v_and_b32_e32 v132, 0xf0f0f0f, v119
	v_dot4c_i32_i8_e32 v133, v132, v15
	v_and_b32_e32 v132, 0xf0f0f0f, v120
	;; [unrolled: 2-line block ×4, first 2 shown]
	v_mov_b32_e32 v132, 0
	s_waitcnt lgkmcnt(1)
	v_dot4c_i32_i8_e32 v132, v108, v10
	v_lshrrev_b32_e32 v108, 4, v109
	v_and_b32_e32 v108, 0xf0f0f0f, v108
	v_dot4c_i32_i8_e32 v132, v108, v11
	v_lshrrev_b32_e32 v108, 4, v116
	v_and_b32_e32 v108, 0xf0f0f0f, v108
	;; [unrolled: 3-line block ×4, first 2 shown]
	s_waitcnt lgkmcnt(0)
	v_dot4c_i32_i8_e32 v132, v108, v6
	v_lshrrev_b32_e32 v108, 4, v119
	v_and_b32_e32 v108, 0xf0f0f0f, v108
	v_dot4c_i32_i8_e32 v132, v108, v7
	v_lshrrev_b32_e32 v108, 4, v120
	v_cvt_f32_f16_e32 v117, v4
	v_cvt_f32_f16_sdwa v109, v4 dst_sel:DWORD dst_unused:UNUSED_PAD src0_sel:WORD_1
	v_and_b32_e32 v4, 0xff, v110
	v_bfe_u32 v118, v110, 16, 8
	v_and_b32_e32 v108, 0xf0f0f0f, v108
	v_mul_lo_u32 v4, v128, v4
	v_mul_lo_u32 v118, v133, v118
	v_dot4c_i32_i8_e32 v132, v108, v8
	v_lshrrev_b32_e32 v108, 4, v121
	v_cvt_f32_f16_e32 v116, v2
	v_cvt_f32_i32_e32 v121, v118
	v_cvt_f32_i32_e32 v120, v4
	v_and_b32_e32 v108, 0xf0f0f0f, v108
	v_lshrrev_b32_e32 v140, 24, v110
	v_dot4c_i32_i8_e32 v132, v108, v9
	v_bfe_u32 v110, v110, 8, 8
	v_pk_fma_f32 v[120:121], v[116:117], v[120:121], 0 op_sel_hi:[1,1,0]
	v_mul_lo_u32 v110, v141, v110
	v_mul_lo_u32 v116, v132, v140
	v_cvt_f32_f16_sdwa v108, v2 dst_sel:DWORD dst_unused:UNUSED_PAD src0_sel:WORD_1
	v_cvt_f32_f16_e32 v119, v5
	v_cvt_f32_f16_e32 v118, v3
	v_cvt_f32_i32_e32 v133, v116
	v_cvt_f32_i32_e32 v132, v110
	v_and_b32_e32 v148, 0xff, v102
	v_cvt_f32_f16_sdwa v5, v5 dst_sel:DWORD dst_unused:UNUSED_PAD src0_sel:WORD_1
	v_cvt_f32_f16_sdwa v4, v3 dst_sel:DWORD dst_unused:UNUSED_PAD src0_sel:WORD_1
	v_cvt_f32_f16_e32 v112, v114
	v_cvt_f32_f16_sdwa v114, v114 dst_sel:DWORD dst_unused:UNUSED_PAD src0_sel:WORD_1
	v_mul_lo_u32 v147, v147, v148
	v_cvt_f32_i32_e32 v147, v147
	v_cvt_f32_ubyte2_e32 v135, v111
	v_cvt_f32_ubyte0_e32 v134, v111
	v_pk_fma_f32 v[134:135], v[108:109], v[134:135], 0 op_sel_hi:[1,1,0]
	v_pk_fma_f32 v[120:121], v[118:119], v[132:133], v[120:121]
	v_cvt_f32_ubyte3_e32 v133, v111
	v_cvt_f32_ubyte1_e32 v132, v111
	v_pk_fma_f32 v[110:111], v[4:5], v[132:133], v[134:135]
	v_cvt_f32_ubyte0_e32 v144, v107
	v_cvt_f32_ubyte0_e32 v148, v103
	;; [unrolled: 1-line block ×3, first 2 shown]
	v_pk_mul_f32 v[110:111], v[110:111], v[114:115] op_sel_hi:[1,0]
	v_cvt_f32_ubyte1_e32 v139, v105
	v_pk_fma_f32 v[110:111], v[120:121], v[112:113], v[110:111] op_sel_hi:[1,0,1] neg_lo:[0,0,1] neg_hi:[0,0,1]
	v_fma_mix_f32 v4, v2, v143, 0 op_sel_hi:[1,0,0]
	v_fma_mix_f32 v108, v2, v144, 0 op_sel:[1,0,0] op_sel_hi:[1,0,0]
	v_fma_mix_f32 v112, v2, v147, 0 op_sel_hi:[1,0,0]
	v_fma_mix_f32 v114, v2, v148, 0 op_sel:[1,0,0] op_sel_hi:[1,0,0]
	v_fma_mix_f32 v116, v2, v151, 0 op_sel_hi:[1,0,0]
	v_fma_mix_f32 v2, v2, v153, 0 op_sel:[1,0,0] op_sel_hi:[1,0,0]
	v_fma_mix_f32 v128, v3, v138, v116 op_sel_hi:[1,0,0]
	v_fma_mix_f32 v140, v3, v139, v2 op_sel:[1,0,0] op_sel_hi:[1,0,0]
	v_and_b32_e32 v2, 0xf0f0f0f, v136
	v_mov_b32_e32 v116, 0
	v_dot4c_i32_i8_e32 v116, v2, v18
	v_and_b32_e32 v2, 0xf0f0f0f, v137
	v_cvt_f32_ubyte1_e32 v146, v107
	v_cvt_f32_ubyte1_e32 v150, v103
	v_dot4c_i32_i8_e32 v116, v2, v19
	v_add_u32_e32 v2, 0x10a8, v95
	v_fma_mix_f32 v4, v3, v145, v4 op_sel_hi:[1,0,0]
	v_fma_mix_f32 v108, v3, v146, v108 op_sel:[1,0,0] op_sel_hi:[1,0,0]
	v_fma_mix_f32 v112, v3, v149, v112 op_sel_hi:[1,0,0]
	v_fma_mix_f32 v114, v3, v150, v114 op_sel:[1,0,0] op_sel_hi:[1,0,0]
	ds_read2_b32 v[2:3], v2 offset1:1
	v_add_u32_e32 v118, 0x10b0, v95
	v_add_u32_e32 v132, 0x10b8, v95
	;; [unrolled: 1-line block ×3, first 2 shown]
	ds_read2_b32 v[120:121], v118 offset1:1
	ds_read2_b32 v[132:133], v132 offset1:1
	;; [unrolled: 1-line block ×3, first 2 shown]
	s_waitcnt lgkmcnt(3)
	v_and_b32_e32 v118, 0xf0f0f0f, v2
	v_dot4c_i32_i8_e32 v116, v118, v20
	v_and_b32_e32 v118, 0xf0f0f0f, v3
	v_dot4c_i32_i8_e32 v116, v118, v21
	s_waitcnt lgkmcnt(2)
	v_and_b32_e32 v118, 0xf0f0f0f, v120
	v_dot4c_i32_i8_e32 v116, v118, v14
	v_and_b32_e32 v118, 0xf0f0f0f, v121
	v_dot4c_i32_i8_e32 v116, v118, v15
	s_waitcnt lgkmcnt(1)
	v_and_b32_e32 v118, 0xf0f0f0f, v132
	v_dot4c_i32_i8_e32 v116, v118, v16
	v_and_b32_e32 v118, 0xf0f0f0f, v133
	v_lshrrev_b32_e32 v142, 24, v106
	v_dot4c_i32_i8_e32 v116, v118, v17
	v_bfe_u32 v106, v106, 16, 8
	v_lshrrev_b32_e32 v2, 4, v2
	v_and_b32_e32 v2, 0xf0f0f0f, v2
	v_mul_lo_u32 v106, v116, v106
	v_cvt_f32_i32_e32 v138, v106
	v_lshrrev_b32_e32 v106, 4, v136
	v_and_b32_e32 v106, 0xf0f0f0f, v106
	v_mov_b32_e32 v116, 0
	v_dot4c_i32_i8_e32 v116, v106, v10
	v_lshrrev_b32_e32 v106, 4, v137
	v_and_b32_e32 v106, 0xf0f0f0f, v106
	v_dot4c_i32_i8_e32 v116, v106, v11
	v_dot4c_i32_i8_e32 v116, v2, v12
	v_lshrrev_b32_e32 v2, 4, v3
	v_and_b32_e32 v2, 0xf0f0f0f, v2
	v_dot4c_i32_i8_e32 v116, v2, v13
	v_lshrrev_b32_e32 v2, 4, v120
	v_and_b32_e32 v2, 0xf0f0f0f, v2
	;; [unrolled: 3-line block ×5, first 2 shown]
	v_cvt_f32_f16_sdwa v3, v131 dst_sel:DWORD dst_unused:UNUSED_PAD src0_sel:WORD_1
	v_dot4c_i32_i8_e32 v116, v2, v9
	v_cvt_f32_ubyte2_e32 v139, v107
	v_cvt_f32_ubyte3_e32 v107, v107
	v_mul_f32_e32 v108, v108, v3
	v_mul_lo_u32 v2, v116, v142
	v_cvt_f32_i32_e32 v106, v2
	v_cvt_f32_f16_e32 v2, v131
	v_fma_mix_f32 v121, v4, v131, -v108 op_sel_hi:[0,1,0]
	v_mov_b32_e32 v108, v117
	v_pk_fma_f32 v[116:117], v[108:109], v[138:139], 0 op_sel_hi:[1,1,0]
	v_mov_b32_e32 v4, v119
	v_pk_fma_f32 v[106:107], v[4:5], v[106:107], v[116:117]
	v_pk_mul_f32 v[116:117], v[106:107], v[2:3]
	v_mov_b32_e32 v117, v116
	v_mov_b32_e32 v120, v110
	v_pk_fma_f32 v[2:3], v[106:107], v[2:3], v[116:117] neg_lo:[1,0,0] neg_hi:[1,0,0]
	v_pk_add_f32 v[90:91], v[90:91], v[120:121]
	v_mov_b32_e32 v2, v111
	v_pk_add_f32 v[90:91], v[90:91], v[2:3]
	s_waitcnt lgkmcnt(0)
	v_and_b32_e32 v2, 0xf0f0f0f, v134
	v_mov_b32_e32 v118, 0
	v_dot4c_i32_i8_e32 v118, v2, v18
	v_and_b32_e32 v2, 0xf0f0f0f, v135
	v_dot4c_i32_i8_e32 v118, v2, v19
	v_add_u32_e32 v2, 0x2128, v95
	ds_read2_b32 v[2:3], v2 offset1:1
	v_add_u32_e32 v106, 0x2130, v95
	v_add_u32_e32 v110, 0x2138, v95
	;; [unrolled: 1-line block ×3, first 2 shown]
	ds_read2_b32 v[106:107], v106 offset1:1
	ds_read2_b32 v[110:111], v110 offset1:1
	;; [unrolled: 1-line block ×3, first 2 shown]
	s_waitcnt lgkmcnt(3)
	v_and_b32_e32 v119, 0xf0f0f0f, v2
	v_dot4c_i32_i8_e32 v118, v119, v20
	v_and_b32_e32 v119, 0xf0f0f0f, v3
	v_dot4c_i32_i8_e32 v118, v119, v21
	s_waitcnt lgkmcnt(2)
	v_and_b32_e32 v119, 0xf0f0f0f, v106
	v_dot4c_i32_i8_e32 v118, v119, v14
	v_and_b32_e32 v119, 0xf0f0f0f, v107
	v_dot4c_i32_i8_e32 v118, v119, v15
	s_waitcnt lgkmcnt(1)
	v_and_b32_e32 v119, 0xf0f0f0f, v110
	v_dot4c_i32_i8_e32 v118, v119, v16
	v_and_b32_e32 v119, 0xf0f0f0f, v111
	v_lshrrev_b32_e32 v130, 24, v102
	v_dot4c_i32_i8_e32 v118, v119, v17
	v_bfe_u32 v102, v102, 16, 8
	v_mov_b32_e32 v120, 0
	v_lshrrev_b32_e32 v2, 4, v2
	v_mul_lo_u32 v102, v118, v102
	v_cvt_f32_i32_e32 v118, v102
	v_lshrrev_b32_e32 v102, 4, v134
	v_and_b32_e32 v102, 0xf0f0f0f, v102
	v_dot4c_i32_i8_e32 v120, v102, v10
	v_lshrrev_b32_e32 v102, 4, v135
	v_and_b32_e32 v102, 0xf0f0f0f, v102
	v_dot4c_i32_i8_e32 v120, v102, v11
	v_and_b32_e32 v2, 0xf0f0f0f, v2
	v_dot4c_i32_i8_e32 v120, v2, v12
	v_lshrrev_b32_e32 v2, 4, v3
	v_and_b32_e32 v2, 0xf0f0f0f, v2
	v_dot4c_i32_i8_e32 v120, v2, v13
	v_lshrrev_b32_e32 v2, 4, v106
	;; [unrolled: 3-line block ×5, first 2 shown]
	v_and_b32_e32 v2, 0xf0f0f0f, v2
	v_cvt_f32_f16_sdwa v3, v129 dst_sel:DWORD dst_unused:UNUSED_PAD src0_sel:WORD_1
	v_dot4c_i32_i8_e32 v120, v2, v9
	v_cvt_f32_ubyte2_e32 v119, v103
	v_cvt_f32_ubyte3_e32 v103, v103
	v_mul_f32_e32 v106, v114, v3
	v_mul_lo_u32 v2, v120, v130
	v_cvt_f32_i32_e32 v102, v2
	v_cvt_f32_f16_e32 v2, v129
	v_fma_mix_f32 v106, v112, v129, -v106 op_sel_hi:[0,1,0]
	v_add_f32_e32 v67, v67, v106
	v_pk_fma_f32 v[106:107], v[108:109], v[118:119], 0 op_sel_hi:[1,1,0]
	v_pk_fma_f32 v[102:103], v[4:5], v[102:103], v[106:107]
	v_pk_mul_f32 v[2:3], v[102:103], v[2:3]
	v_sub_f32_e32 v2, v2, v3
	v_add_f32_e32 v67, v67, v2
	s_waitcnt lgkmcnt(0)
	v_and_b32_e32 v2, 0xf0f0f0f, v116
	v_mov_b32_e32 v106, 0
	v_dot4c_i32_i8_e32 v106, v2, v18
	v_and_b32_e32 v2, 0xf0f0f0f, v117
	v_dot4c_i32_i8_e32 v106, v2, v19
	v_add_u32_e32 v2, 0x31a8, v95
	ds_read2_b32 v[2:3], v2 offset1:1
	v_add_u32_e32 v18, 0x31b0, v95
	v_add_u32_e32 v102, 0x31b8, v95
	ds_read2_b32 v[18:19], v18 offset1:1
	ds_read2_b32 v[102:103], v102 offset1:1
	v_lshrrev_b32_e32 v152, 24, v104
	s_waitcnt lgkmcnt(2)
	v_and_b32_e32 v107, 0xf0f0f0f, v2
	v_dot4c_i32_i8_e32 v106, v107, v20
	v_and_b32_e32 v20, 0xf0f0f0f, v3
	v_dot4c_i32_i8_e32 v106, v20, v21
	s_waitcnt lgkmcnt(1)
	v_and_b32_e32 v20, 0xf0f0f0f, v18
	v_dot4c_i32_i8_e32 v106, v20, v14
	v_and_b32_e32 v14, 0xf0f0f0f, v19
	v_dot4c_i32_i8_e32 v106, v14, v15
	s_waitcnt lgkmcnt(0)
	v_and_b32_e32 v14, 0xf0f0f0f, v102
	v_dot4c_i32_i8_e32 v106, v14, v16
	v_and_b32_e32 v14, 0xf0f0f0f, v103
	v_lshrrev_b32_e32 v16, 4, v116
	v_dot4c_i32_i8_e32 v106, v14, v17
	v_and_b32_e32 v16, 0xf0f0f0f, v16
	v_mov_b32_e32 v17, 0
	v_dot4c_i32_i8_e32 v17, v16, v10
	v_lshrrev_b32_e32 v10, 4, v117
	v_and_b32_e32 v10, 0xf0f0f0f, v10
	v_lshrrev_b32_e32 v2, 4, v2
	v_dot4c_i32_i8_e32 v17, v10, v11
	v_and_b32_e32 v2, 0xf0f0f0f, v2
	v_dot4c_i32_i8_e32 v17, v2, v12
	v_lshrrev_b32_e32 v2, 4, v3
	v_and_b32_e32 v2, 0xf0f0f0f, v2
	v_dot4c_i32_i8_e32 v17, v2, v13
	v_lshrrev_b32_e32 v2, 4, v18
	;; [unrolled: 3-line block ×5, first 2 shown]
	v_bfe_u32 v14, v104, 16, 8
	v_and_b32_e32 v2, 0xf0f0f0f, v2
	v_cvt_f32_f16_sdwa v3, v113 dst_sel:DWORD dst_unused:UNUSED_PAD src0_sel:WORD_1
	v_mul_lo_u32 v14, v106, v14
	v_dot4c_i32_i8_e32 v17, v2, v9
	v_cvt_f32_i32_e32 v14, v14
	v_mul_f32_e32 v8, v140, v3
	v_cvt_f32_ubyte2_e32 v15, v105
	v_mul_lo_u32 v2, v17, v152
	v_cvt_f32_i32_e32 v6, v2
	v_cvt_f32_f16_e32 v2, v113
	v_fma_mix_f32 v8, v128, v113, -v8 op_sel_hi:[0,1,0]
	v_cvt_f32_ubyte3_e32 v7, v105
	v_add_f32_e32 v10, v43, v8
	v_pk_fma_f32 v[8:9], v[108:109], v[14:15], 0 op_sel_hi:[1,1,0]
	v_pk_fma_f32 v[4:5], v[4:5], v[6:7], v[8:9]
	v_pk_mul_f32 v[2:3], v[4:5], v[2:3]
	v_sub_f32_e32 v2, v2, v3
	v_add_f32_e32 v43, v10, v2
	s_cmp_ge_i32 s10, s9
	s_barrier
	s_cbranch_scc1 .LBB232_5
; %bb.13:                               ;   in Loop: Header=BB232_6 Depth=1
	v_cmp_gt_i32_e32 vcc, s12, v99
	s_and_b64 s[22:23], s[2:3], vcc
	s_and_saveexec_b64 s[4:5], s[22:23]
	s_cbranch_execz .LBB232_15
; %bb.14:                               ;   in Loop: Header=BB232_6 Depth=1
	v_add_u32_e32 v2, v56, v99
	v_mad_i64_i32 v[2:3], s[22:23], v2, 36, v[54:55]
	global_load_dword v2, v[2:3], off offset:4
	s_waitcnt vmcnt(0)
	ds_write_b32 v79, v2
.LBB232_15:                             ;   in Loop: Header=BB232_6 Depth=1
	s_or_b64 exec, exec, s[4:5]
	s_and_saveexec_b64 s[4:5], s[0:1]
	s_cbranch_execz .LBB232_4
; %bb.16:                               ;   in Loop: Header=BB232_6 Depth=1
	v_add_u32_e32 v2, 4, v71
	v_cmp_gt_i32_e32 vcc, s12, v2
	s_and_b64 s[22:23], s[2:3], vcc
	s_and_b64 exec, exec, s[22:23]
	s_cbranch_execz .LBB232_4
; %bb.17:                               ;   in Loop: Header=BB232_6 Depth=1
	v_ashrrev_i32_e32 v2, 31, v71
	v_add_co_u32_e32 v3, vcc, v56, v71
	v_addc_co_u32_e32 v4, vcc, v1, v2, vcc
	v_mad_u64_u32 v[2:3], s[22:23], v3, 36, s[6:7]
	v_mad_i32_i24 v3, v4, 36, v3
	global_load_dword v2, v[2:3], off
	s_waitcnt vmcnt(0)
	ds_write_b32 v81, v2
	s_branch .LBB232_4
.LBB232_18:
	v_mov_b32_e32 v67, 0
	v_mov_b32_e32 v91, 0
	;; [unrolled: 1-line block ×3, first 2 shown]
.LBB232_19:
	s_mul_i32 s0, s14, s11
	s_waitcnt vmcnt(0)
	v_cmp_gt_i32_e32 vcc, s0, v69
	s_and_saveexec_b64 s[0:1], vcc
	s_cbranch_execz .LBB232_28
; %bb.20:
	v_and_b32_e32 v0, 0x3ff, v0
	v_add_u32_e32 v1, s15, v0
	v_mul_lo_u32 v0, v69, s13
	v_cmp_gt_u32_e32 vcc, s13, v1
	s_and_saveexec_b64 s[0:1], vcc
	s_cbranch_execz .LBB232_22
; %bb.21:
	v_bfe_u32 v2, v90, 16, 1
	s_movk_i32 s2, 0x7fff
	v_add3_u32 v2, v90, v2, s2
	v_lshrrev_b32_e32 v2, 16, v2
	v_mov_b32_e32 v3, 0x7fc0
	v_cmp_o_f32_e32 vcc, v90, v90
	v_cndmask_b32_e32 v4, v3, v2, vcc
	v_add_u32_e32 v2, v0, v1
	v_mov_b32_e32 v3, 0
	v_lshlrev_b64 v[2:3], 1, v[2:3]
	v_mov_b32_e32 v5, s21
	v_add_co_u32_e32 v2, vcc, s20, v2
	v_addc_co_u32_e32 v3, vcc, v5, v3, vcc
	global_store_short v[2:3], v4, off
.LBB232_22:
	s_or_b64 exec, exec, s[0:1]
	v_add_u32_e32 v2, 32, v1
	v_cmp_gt_u32_e32 vcc, s13, v2
	s_and_saveexec_b64 s[0:1], vcc
	s_cbranch_execz .LBB232_24
; %bb.23:
	v_bfe_u32 v3, v91, 16, 1
	s_movk_i32 s2, 0x7fff
	v_add3_u32 v3, v91, v3, s2
	v_lshrrev_b32_e32 v3, 16, v3
	v_mov_b32_e32 v4, 0x7fc0
	v_cmp_o_f32_e32 vcc, v91, v91
	v_cndmask_b32_e32 v4, v4, v3, vcc
	v_add_u32_e32 v2, v0, v2
	v_mov_b32_e32 v3, 0
	v_lshlrev_b64 v[2:3], 1, v[2:3]
	v_mov_b32_e32 v5, s21
	v_add_co_u32_e32 v2, vcc, s20, v2
	v_addc_co_u32_e32 v3, vcc, v5, v3, vcc
	global_store_short v[2:3], v4, off
.LBB232_24:
	s_or_b64 exec, exec, s[0:1]
	v_add_u32_e32 v2, 64, v1
	;; [unrolled: 21-line block ×3, first 2 shown]
	v_cmp_gt_u32_e32 vcc, s13, v1
	s_and_b64 exec, exec, vcc
	s_cbranch_execz .LBB232_28
; %bb.27:
	v_bfe_u32 v2, v43, 16, 1
	s_movk_i32 s0, 0x7fff
	v_add3_u32 v2, v43, v2, s0
	v_add_u32_e32 v0, v0, v1
	v_mov_b32_e32 v1, 0
	v_lshrrev_b32_e32 v2, 16, v2
	v_mov_b32_e32 v3, 0x7fc0
	v_cmp_o_f32_e32 vcc, v43, v43
	v_lshlrev_b64 v[0:1], 1, v[0:1]
	v_cndmask_b32_e32 v2, v3, v2, vcc
	v_mov_b32_e32 v3, s21
	v_add_co_u32_e32 v0, vcc, s20, v0
	v_addc_co_u32_e32 v1, vcc, v3, v1, vcc
	global_store_short v[0:1], v2, off
.LBB232_28:
	s_endpgm
	.section	.rodata,"a",@progbits
	.p2align	6, 0x0
	.amdhsa_kernel _ZL8moe_q4_KIN3c108BFloat16ELb1EEvPKvS3_PT_PKiS7_S7_iiiiiii
		.amdhsa_group_segment_fixed_size 20688
		.amdhsa_private_segment_fixed_size 0
		.amdhsa_kernarg_size 76
		.amdhsa_user_sgpr_count 6
		.amdhsa_user_sgpr_private_segment_buffer 1
		.amdhsa_user_sgpr_dispatch_ptr 0
		.amdhsa_user_sgpr_queue_ptr 0
		.amdhsa_user_sgpr_kernarg_segment_ptr 1
		.amdhsa_user_sgpr_dispatch_id 0
		.amdhsa_user_sgpr_flat_scratch_init 0
		.amdhsa_user_sgpr_kernarg_preload_length 0
		.amdhsa_user_sgpr_kernarg_preload_offset 0
		.amdhsa_user_sgpr_private_segment_size 0
		.amdhsa_uses_dynamic_stack 0
		.amdhsa_system_sgpr_private_segment_wavefront_offset 0
		.amdhsa_system_sgpr_workgroup_id_x 1
		.amdhsa_system_sgpr_workgroup_id_y 1
		.amdhsa_system_sgpr_workgroup_id_z 0
		.amdhsa_system_sgpr_workgroup_info 0
		.amdhsa_system_vgpr_workitem_id 1
		.amdhsa_next_free_vgpr 154
		.amdhsa_next_free_sgpr 28
		.amdhsa_accum_offset 156
		.amdhsa_reserve_vcc 1
		.amdhsa_reserve_flat_scratch 0
		.amdhsa_float_round_mode_32 0
		.amdhsa_float_round_mode_16_64 0
		.amdhsa_float_denorm_mode_32 3
		.amdhsa_float_denorm_mode_16_64 3
		.amdhsa_dx10_clamp 1
		.amdhsa_ieee_mode 1
		.amdhsa_fp16_overflow 0
		.amdhsa_tg_split 0
		.amdhsa_exception_fp_ieee_invalid_op 0
		.amdhsa_exception_fp_denorm_src 0
		.amdhsa_exception_fp_ieee_div_zero 0
		.amdhsa_exception_fp_ieee_overflow 0
		.amdhsa_exception_fp_ieee_underflow 0
		.amdhsa_exception_fp_ieee_inexact 0
		.amdhsa_exception_int_div_zero 0
	.end_amdhsa_kernel
	.section	.text._ZL8moe_q4_KIN3c108BFloat16ELb1EEvPKvS3_PT_PKiS7_S7_iiiiiii,"axG",@progbits,_ZL8moe_q4_KIN3c108BFloat16ELb1EEvPKvS3_PT_PKiS7_S7_iiiiiii,comdat
.Lfunc_end232:
	.size	_ZL8moe_q4_KIN3c108BFloat16ELb1EEvPKvS3_PT_PKiS7_S7_iiiiiii, .Lfunc_end232-_ZL8moe_q4_KIN3c108BFloat16ELb1EEvPKvS3_PT_PKiS7_S7_iiiiiii
                                        ; -- End function
	.section	.AMDGPU.csdata,"",@progbits
; Kernel info:
; codeLenInByte = 10864
; NumSgprs: 32
; NumVgprs: 154
; NumAgprs: 0
; TotalNumVgprs: 154
; ScratchSize: 0
; MemoryBound: 0
; FloatMode: 240
; IeeeMode: 1
; LDSByteSize: 20688 bytes/workgroup (compile time only)
; SGPRBlocks: 3
; VGPRBlocks: 19
; NumSGPRsForWavesPerEU: 32
; NumVGPRsForWavesPerEU: 154
; AccumOffset: 156
; Occupancy: 3
; WaveLimiterHint : 1
; COMPUTE_PGM_RSRC2:SCRATCH_EN: 0
; COMPUTE_PGM_RSRC2:USER_SGPR: 6
; COMPUTE_PGM_RSRC2:TRAP_HANDLER: 0
; COMPUTE_PGM_RSRC2:TGID_X_EN: 1
; COMPUTE_PGM_RSRC2:TGID_Y_EN: 1
; COMPUTE_PGM_RSRC2:TGID_Z_EN: 0
; COMPUTE_PGM_RSRC2:TIDIG_COMP_CNT: 1
; COMPUTE_PGM_RSRC3_GFX90A:ACCUM_OFFSET: 38
; COMPUTE_PGM_RSRC3_GFX90A:TG_SPLIT: 0
	.section	.text._ZL8moe_q5_KIN3c108BFloat16ELb0EEvPKvS3_PT_PKiS7_S7_iiiiiii,"axG",@progbits,_ZL8moe_q5_KIN3c108BFloat16ELb0EEvPKvS3_PT_PKiS7_S7_iiiiiii,comdat
	.globl	_ZL8moe_q5_KIN3c108BFloat16ELb0EEvPKvS3_PT_PKiS7_S7_iiiiiii ; -- Begin function _ZL8moe_q5_KIN3c108BFloat16ELb0EEvPKvS3_PT_PKiS7_S7_iiiiiii
	.p2align	8
	.type	_ZL8moe_q5_KIN3c108BFloat16ELb0EEvPKvS3_PT_PKiS7_S7_iiiiiii,@function
_ZL8moe_q5_KIN3c108BFloat16ELb0EEvPKvS3_PT_PKiS7_S7_iiiiiii: ; @_ZL8moe_q5_KIN3c108BFloat16ELb0EEvPKvS3_PT_PKiS7_S7_iiiiiii
; %bb.0:
	s_load_dwordx4 s[0:3], s[4:5], 0x18
	s_mov_b32 s8, s7
	s_mov_b32 s9, 0
	s_lshl_b64 s[10:11], s[8:9], 2
	s_waitcnt lgkmcnt(0)
	s_add_u32 s2, s2, s10
	s_addc_u32 s3, s3, s11
	s_load_dword s2, s[2:3], 0x0
	s_waitcnt lgkmcnt(0)
	s_cmpk_gt_u32 s2, 0xff
	s_cbranch_scc1 .LBB233_28
; %bb.1:
	s_load_dwordx2 s[10:11], s[4:5], 0x28
	s_lshl_b32 s3, s8, 3
	s_waitcnt lgkmcnt(0)
	s_load_dword s7, s[10:11], 0x0
	s_waitcnt lgkmcnt(0)
	s_cmp_gt_u32 s3, s7
	s_cbranch_scc1 .LBB233_28
; %bb.2:
	v_bfe_u32 v4, v0, 10, 10
	v_add_u32_e32 v78, s3, v4
	v_mov_b32_e32 v79, 0
	v_lshlrev_b64 v[2:3], 2, v[78:79]
	v_mov_b32_e32 v1, s1
	v_add_co_u32_e32 v2, vcc, s0, v2
	v_addc_co_u32_e32 v3, vcc, v1, v3, vcc
	global_load_dword v113, v[2:3], off
	s_load_dwordx2 s[18:19], s[4:5], 0x30
	s_load_dwordx2 s[16:17], s[4:5], 0x10
	s_load_dwordx4 s[8:11], s[4:5], 0x3c
	s_lshl_b32 s24, s6, 7
	s_mov_b32 s20, 0
	s_waitcnt lgkmcnt(0)
	s_cmpk_lt_i32 s19, 0x100
	s_cbranch_scc1 .LBB233_18
; %bb.3:
	s_ashr_i32 s0, s19, 31
	s_lshr_b32 s0, s0, 24
	s_add_i32 s0, s19, s0
	s_ashr_i32 s25, s0, 8
	s_ashr_i32 s0, s9, 31
	s_lshr_b32 s0, s0, 27
	v_and_b32_e32 v114, 0x3ff, v0
	s_add_i32 s0, s9, s0
	v_lshlrev_b32_e32 v1, 1, v114
	v_and_b32_e32 v6, 7, v114
	s_ashr_i32 s9, s0, 5
	v_and_or_b32 v1, v1, 48, v6
	v_mul_u32_u24_e32 v7, 0x41, v4
	s_lshl_b32 s0, s25, 3
	v_add_lshl_u32 v117, v1, v7, 2
	v_mov_b32_e32 v1, s0
	v_mad_i32_i24 v10, s25, v4, v1
	v_add_u32_e32 v11, s0, v10
	v_add_u32_e32 v12, s0, v11
	;; [unrolled: 1-line block ×6, first 2 shown]
	v_lshlrev_b32_e32 v1, 5, v4
	v_add_u32_e32 v17, s0, v16
	v_add_u32_e32 v7, v1, v114
	v_and_b32_e32 v24, 3, v114
	v_add_u32_e32 v18, s0, v17
	v_and_b32_e32 v22, 0x7f, v7
	v_lshrrev_b32_e32 v23, 3, v7
	v_add_u32_e32 v25, 0xfe, v24
	v_cmp_gt_u32_e32 vcc, 2, v24
	s_mul_i32 s18, s2, s18
	v_add_u32_e32 v19, s0, v18
	v_mul_i32_i24_e32 v90, s25, v22
	v_and_b32_e32 v23, 12, v23
	v_lshlrev_b32_e32 v22, 2, v22
	s_mov_b32 s2, 0x8e40
	v_cndmask_b32_e32 v25, v25, v24, vcc
	v_lshrrev_b32_e32 v3, 2, v114
	v_add_u32_e32 v20, s0, v19
	v_add3_u32 v133, v22, v23, s2
	v_lshlrev_b32_e32 v22, 3, v4
	v_and_b32_e32 v25, 0xff, v25
	v_cmp_ne_u32_e32 vcc, 0, v24
	v_and_b32_e32 v115, 6, v3
	v_add_u32_e32 v21, s0, v20
	v_add_u32_e32 v23, v3, v22
	v_addc_co_u32_e32 v91, vcc, 0, v25, vcc
	v_add_u16_e32 v3, v3, v22
	s_load_dwordx4 s[12:15], s[4:5], 0x0
	v_add_u32_e32 v77, s0, v21
	v_cmp_lt_u32_e32 vcc, 1, v24
	v_and_b32_e32 v23, 0x7f, v23
	v_lshlrev_b32_e32 v24, 2, v24
	v_lshrrev_b16_e32 v3, 1, v3
	v_add_u32_e32 v79, s0, v77
	v_lshlrev_b32_e32 v135, 1, v25
	v_lshl_or_b32 v25, v23, 4, v24
	v_and_b32_e32 v3, 60, v3
	s_mov_b32 s0, 0x8200
	v_add3_u32 v136, v25, v3, s0
	v_xor_b32_e32 v3, 64, v23
	v_lshlrev_b32_e32 v2, 2, v114
	v_mul_i32_i24_e32 v98, s25, v3
	v_lshl_or_b32 v22, v3, 4, v24
	v_lshrrev_b32_e32 v3, 1, v3
	v_and_b32_e32 v9, 28, v2
	v_and_b32_e32 v3, 60, v3
	v_add3_u32 v137, v22, v3, s0
	s_waitcnt lgkmcnt(0)
	v_mov_b32_e32 v3, s15
	v_add_co_u32_e64 v22, s[0:1], s14, v9
	v_mul_i32_i24_e32 v94, s25, v23
	v_and_or_b32 v1, v114, 31, v1
	v_addc_co_u32_e64 v23, s[0:1], 0, v3, s[0:1]
	v_mov_b32_e32 v3, 0x8a40
	s_movk_i32 s3, 0xffe4
	v_lshl_add_u32 v138, v1, 2, v3
	v_mad_i32_i24 v1, v4, s3, v7
	v_mov_b32_e32 v7, 0x9050
	v_lshrrev_b32_e32 v140, 3, v114
	v_lshrrev_b32_e32 v5, 5, v114
	v_lshl_add_u32 v139, v1, 2, v7
	v_lshl_add_u32 v141, v4, 7, v3
	v_add_u32_e32 v1, v140, v2
	v_mov_b32_e32 v3, 0x8200
	v_lshl_add_u32 v143, v1, 2, v3
	v_lshlrev_b32_e32 v1, 2, v5
	v_add3_u32 v145, v1, v2, s2
	v_add_u32_e32 v1, 32, v114
	v_lshrrev_b32_e32 v146, 3, v1
	v_lshl_add_u32 v1, v1, 2, v146
	v_lshl_add_u32 v147, v1, 2, v3
	v_and_b32_e32 v1, 60, v146
	v_add3_u32 v148, v2, v1, s2
	v_add_u32_e32 v1, 64, v114
	v_lshrrev_b32_e32 v7, 3, v1
	v_lshl_add_u32 v1, v1, 2, v7
	s_abs_i32 s4, s11
	v_lshl_add_u32 v149, v1, 2, v3
	v_and_b32_e32 v1, 60, v7
	v_cvt_f32_u32_e32 v24, s4
	v_add3_u32 v150, v2, v1, s2
	v_add_u32_e32 v1, 0x60, v114
	v_lshrrev_b32_e32 v7, 3, v1
	v_lshl_add_u32 v1, v1, 2, v7
	v_lshl_add_u32 v151, v1, 2, v3
	v_rcp_iflag_f32_e32 v3, v24
	v_and_b32_e32 v1, 60, v7
	v_and_b32_e32 v8, 0x7c, v2
	;; [unrolled: 1-line block ×3, first 2 shown]
	v_add3_u32 v152, v2, v1, s2
	v_mul_f32_e32 v2, 0x4f7ffffe, v3
	v_cvt_u32_f32_e32 v2, v2
	s_sub_i32 s2, 0, s4
	s_waitcnt vmcnt(0)
	v_sub_u32_e32 v3, 0, v113
	v_max_i32_e32 v3, v113, v3
	v_mul_lo_u32 v7, s2, v2
	v_mul_hi_u32 v7, v2, v7
	v_add_u32_e32 v2, v2, v7
	v_mul_hi_u32 v2, v3, v2
	v_mul_lo_u32 v7, v2, s4
	v_sub_u32_e32 v3, v3, v7
	v_add_u32_e32 v7, 1, v2
	v_cmp_le_u32_e64 s[2:3], s4, v3
	v_cndmask_b32_e64 v2, v2, v7, s[2:3]
	v_subrev_u32_e32 v7, s4, v3
	v_cndmask_b32_e64 v3, v3, v7, s[2:3]
	v_xor_b32_e32 v1, s11, v113
	v_add_u32_e32 v7, 1, v2
	v_cmp_le_u32_e64 s[2:3], s4, v3
	s_mul_i32 s21, s25, s24
	v_ashrrev_i32_e32 v1, 31, v1
	v_cndmask_b32_e64 v2, v2, v7, s[2:3]
	v_xor_b32_e32 v2, v2, v1
	s_mul_hi_i32 s23, s21, 0xb0
	s_mul_i32 s22, s21, 0xb0
	v_sub_u32_e32 v1, v2, v1
	s_movk_i32 s27, 0xb0
	v_pk_mov_b32 v[2:3], s[22:23], s[22:23] op_sel:[0,1]
	v_mul_i32_i24_e32 v6, s25, v4
	v_mad_u64_u32 v[2:3], s[4:5], v5, s27, v[2:3]
	v_mad_u64_u32 v[6:7], s[4:5], v6, s27, v[2:3]
	v_add_co_u32_e64 v5, s[4:5], v6, v9
	v_addc_co_u32_e64 v25, s[4:5], 0, v7, s[4:5]
	v_mov_b32_e32 v100, s13
	v_add_co_u32_e64 v5, s[4:5], s12, v5
	v_addc_co_u32_e64 v25, s[4:5], v25, v100, s[4:5]
	v_cndmask_b32_e32 v134, 0, v26, vcc
	v_add_co_u32_e64 v26, s[4:5], 16, v5
	v_addc_co_u32_e64 v25, s[4:5], 0, v25, s[4:5]
	v_add_co_u32_e64 v5, s[4:5], v6, v8
	v_addc_co_u32_e64 v6, s[4:5], 0, v7, s[4:5]
	v_add_co_u32_e64 v5, s[4:5], s12, v5
	v_addc_co_u32_e64 v6, s[4:5], v6, v100, s[4:5]
	v_add_co_u32_e64 v28, s[4:5], 48, v5
	v_addc_co_u32_e64 v27, s[4:5], 0, v6, s[4:5]
	v_mad_u64_u32 v[6:7], s[4:5], v10, s27, v[2:3]
	v_add_co_u32_e64 v5, s[4:5], v6, v9
	v_addc_co_u32_e64 v10, s[4:5], 0, v7, s[4:5]
	v_add_co_u32_e64 v5, s[4:5], s12, v5
	v_addc_co_u32_e64 v10, s[4:5], v10, v100, s[4:5]
	v_add_co_u32_e64 v30, s[4:5], 16, v5
	v_addc_co_u32_e64 v29, s[4:5], 0, v10, s[4:5]
	v_add_co_u32_e64 v5, s[4:5], v6, v8
	v_addc_co_u32_e64 v6, s[4:5], 0, v7, s[4:5]
	v_add_co_u32_e64 v5, s[4:5], s12, v5
	v_addc_co_u32_e64 v6, s[4:5], v6, v100, s[4:5]
	v_add_co_u32_e64 v32, s[4:5], 48, v5
	v_addc_co_u32_e64 v31, s[4:5], 0, v6, s[4:5]
	v_mad_u64_u32 v[6:7], s[4:5], v11, s27, v[2:3]
	v_add_co_u32_e64 v5, s[4:5], v6, v9
	v_addc_co_u32_e64 v10, s[4:5], 0, v7, s[4:5]
	v_add_co_u32_e64 v5, s[4:5], s12, v5
	v_addc_co_u32_e64 v10, s[4:5], v10, v100, s[4:5]
	;; [unrolled: 13-line block ×14, first 2 shown]
	v_add_co_u32_e64 v82, s[4:5], 16, v5
	v_addc_co_u32_e64 v83, s[4:5], 0, v10, s[4:5]
	v_add_co_u32_e64 v5, s[4:5], v6, v8
	v_addc_co_u32_e64 v6, s[4:5], 0, v7, s[4:5]
	;; [unrolled: 2-line block ×4, first 2 shown]
	s_mul_i32 s4, s25, 0x78
	v_mov_b32_e32 v5, s4
	v_lshlrev_b32_e32 v142, 4, v4
	v_mad_i32_i24 v4, s25, v4, v5
	v_mad_u64_u32 v[2:3], s[4:5], v4, s27, v[2:3]
	v_add_co_u32_e64 v4, s[4:5], v2, v9
	v_addc_co_u32_e64 v5, s[4:5], 0, v3, s[4:5]
	v_add_co_u32_e64 v4, s[4:5], s12, v4
	v_addc_co_u32_e64 v5, s[4:5], v5, v100, s[4:5]
	;; [unrolled: 2-line block ×4, first 2 shown]
	v_add_co_u32_e64 v2, s[4:5], s12, v2
	s_ashr_i32 s26, s18, 31
	v_addc_co_u32_e64 v3, s[4:5], v3, v100, s[4:5]
	s_add_u32 s6, s14, 0x90
	v_add_co_u32_e64 v88, s[4:5], 48, v2
	s_addc_u32 s7, s15, 0
	v_addc_co_u32_e64 v89, s[4:5], 0, v3, s[4:5]
	s_add_u32 s4, s12, s22
	s_addc_u32 s5, s13, s23
	v_pk_mov_b32 v[2:3], s[4:5], s[4:5] op_sel:[0,1]
	v_mad_u64_u32 v[92:93], s[4:5], v90, s27, v[2:3]
	v_mad_u64_u32 v[2:3], s[4:5], v94, s27, 0
	v_mov_b32_e32 v4, 0xb0
	v_mad_i64_i32 v[2:3], s[4:5], s21, v4, v[2:3]
	v_lshlrev_b32_e32 v5, 2, v91
	v_add_co_u32_e64 v6, s[4:5], v2, v5
	v_addc_co_u32_e64 v7, s[4:5], 0, v3, s[4:5]
	v_add_co_u32_e64 v6, s[4:5], s12, v6
	v_addc_co_u32_e64 v7, s[4:5], v7, v100, s[4:5]
	v_add_co_u32_e64 v94, s[4:5], 4, v6
	v_cndmask_b32_e64 v6, 0, 1, vcc
	v_lshlrev_b32_e32 v6, 2, v6
	v_or_b32_e32 v2, v2, v6
	v_add_co_u32_e32 v2, vcc, s12, v2
	v_addc_co_u32_e32 v3, vcc, v3, v100, vcc
	v_add_co_u32_e32 v96, vcc, 4, v2
	v_addc_co_u32_e64 v95, s[4:5], 0, v7, s[4:5]
	v_addc_co_u32_e32 v97, vcc, 0, v3, vcc
	v_mad_u64_u32 v[2:3], s[4:5], v98, s27, 0
	v_mad_i64_i32 v[2:3], s[4:5], s21, v4, v[2:3]
	v_add_co_u32_e32 v4, vcc, v2, v5
	v_addc_co_u32_e32 v5, vcc, 0, v3, vcc
	v_add_co_u32_e32 v4, vcc, s12, v4
	v_addc_co_u32_e32 v5, vcc, v5, v100, vcc
	;; [unrolled: 2-line block ×3, first 2 shown]
	v_or_b32_e32 v2, v2, v6
	v_add_co_u32_e32 v2, vcc, s12, v2
	v_addc_co_u32_e32 v3, vcc, v3, v100, vcc
	v_mul_lo_u32 v24, v1, s9
	v_add_co_u32_e32 v100, vcc, 4, v2
	s_mov_b32 s21, s20
	v_mov_b32_e32 v112, 0
	v_or_b32_e32 v116, 1, v115
	v_add_u32_e32 v118, 0x820, v117
	v_add_u32_e32 v119, 0x1040, v117
	;; [unrolled: 1-line block ×15, first 2 shown]
	v_cmp_gt_u32_e64 s[0:1], 4, v114
	v_mul_u32_u24_e32 v144, 0x104, v114
	v_cmp_gt_i32_e64 s[2:3], s8, v1
	v_ashrrev_i32_e32 v1, 31, v24
	v_addc_co_u32_e32 v101, vcc, 0, v3, vcc
	s_movk_i32 s12, 0x80
	v_pk_mov_b32 v[90:91], s[20:21], s[20:21] op_sel:[0,1]
	s_mov_b32 s13, 0x10101010
	s_mov_b32 s20, 0x30303030
	v_mov_b32_e32 v79, 0
	s_branch .LBB233_6
.LBB233_4:                              ;   in Loop: Header=BB233_6 Depth=1
	s_or_b64 exec, exec, s[4:5]
	s_waitcnt lgkmcnt(0)
	s_barrier
	ds_read_b128 v[18:21], v141
	ds_read_b128 v[14:17], v141 offset:16
	ds_read_b128 v[2:5], v142 offset:36944
	ds_read2_b32 v[102:103], v144 offset0:32 offset1:33
	ds_read_b128 v[10:13], v141 offset:32
	ds_read_b128 v[6:9], v141 offset:48
	ds_read_b32 v153, v145
	ds_read2_b32 v[104:105], v144 offset0:34 offset1:35
	v_mov_b32_e32 v161, 0
	s_waitcnt lgkmcnt(4)
	v_dot4c_i32_i8_e32 v161, v102, v18
	v_dot4c_i32_i8_e32 v161, v103, v19
	ds_read2_b32 v[106:107], v144 offset0:36 offset1:37
	ds_read2_b32 v[108:109], v144 offset0:38 offset1:39
	;; [unrolled: 1-line block ×3, first 2 shown]
	s_waitcnt lgkmcnt(3)
	v_dot4c_i32_i8_e32 v161, v104, v20
	v_dot4c_i32_i8_e32 v161, v105, v21
	ds_read2_b32 v[104:105], v144 offset0:42 offset1:43
	v_mov_b32_e32 v172, 0
	s_waitcnt lgkmcnt(3)
	v_dot4c_i32_i8_e32 v161, v106, v14
	s_waitcnt lgkmcnt(1)
	v_dot4c_i32_i8_e32 v172, v110, v10
	v_dot4c_i32_i8_e32 v161, v107, v15
	;; [unrolled: 1-line block ×4, first 2 shown]
	s_waitcnt lgkmcnt(0)
	v_dot4c_i32_i8_e32 v172, v104, v12
	v_add_u32_e32 v104, 0x2100, v144
	ds_read2_b32 v[102:103], v143 offset0:1 offset1:3
	v_dot4c_i32_i8_e32 v161, v109, v17
	ds_read2_b32 v[106:107], v144 offset0:44 offset1:45
	ds_read2_b32 v[108:109], v144 offset0:46 offset1:47
	;; [unrolled: 1-line block ×3, first 2 shown]
	v_dot4c_i32_i8_e32 v172, v105, v13
	ds_read2_b32 v[154:155], v144 offset0:58 offset1:59
	ds_read2_b32 v[156:157], v144 offset0:60 offset1:61
	;; [unrolled: 1-line block ×3, first 2 shown]
	ds_read2_b32 v[104:105], v104 offset1:1
	v_mov_b32_e32 v168, 0
	v_cvt_f32_f16_e32 v160, v153
	v_cvt_f32_f16_sdwa v162, v153 dst_sel:DWORD dst_unused:UNUSED_PAD src0_sel:WORD_1
	ds_read_b32 v173, v148 offset:128
	ds_read_b32 v174, v150 offset:256
	;; [unrolled: 1-line block ×3, first 2 shown]
	s_waitcnt lgkmcnt(3)
	v_dot4c_i32_i8_e32 v168, v104, v18
	v_add_u32_e32 v104, 0x2108, v144
	v_dot4c_i32_i8_e32 v168, v105, v19
	ds_read2_b32 v[104:105], v104 offset1:1
	v_dot4c_i32_i8_e32 v172, v106, v6
	v_dot4c_i32_i8_e32 v172, v107, v7
	;; [unrolled: 1-line block ×3, first 2 shown]
	v_add_u32_e32 v106, 0x2110, v144
	v_dot4c_i32_i8_e32 v172, v109, v9
	v_add_u32_e32 v108, 0x2118, v144
	v_add_u32_e32 v109, 0x2120, v144
	ds_read2_b32 v[106:107], v106 offset1:1
	ds_read2_b32 v[164:165], v108 offset1:1
	;; [unrolled: 1-line block ×3, first 2 shown]
	s_waitcnt lgkmcnt(3)
	v_dot4c_i32_i8_e32 v168, v104, v20
	ds_read2_b32 v[108:109], v147 offset0:1 offset1:3
	v_dot4c_i32_i8_e32 v168, v105, v21
	s_waitcnt lgkmcnt(3)
	v_dot4c_i32_i8_e32 v168, v106, v14
	v_dot4c_i32_i8_e32 v168, v107, v15
	s_waitcnt lgkmcnt(2)
	v_dot4c_i32_i8_e32 v168, v164, v16
	v_dot4c_i32_i8_e32 v168, v165, v17
	s_waitcnt lgkmcnt(0)
	v_and_b32_e32 v104, 0xff, v108
	v_add_u32_e32 v106, 0x2130, v144
	v_add_u32_e32 v164, 0x2138, v144
	v_mul_lo_u32 v104, v168, v104
	v_cvt_f32_i32_e32 v176, v104
	v_add_u32_e32 v104, 0x2128, v144
	ds_read2_b32 v[104:105], v104 offset1:1
	v_mov_b32_e32 v168, 0
	v_dot4c_i32_i8_e32 v168, v166, v10
	v_add_u32_e32 v166, 0x4180, v144
	v_dot4c_i32_i8_e32 v168, v167, v11
	ds_read2_b32 v[106:107], v106 offset1:1
	ds_read2_b32 v[164:165], v164 offset1:1
	;; [unrolled: 1-line block ×3, first 2 shown]
	s_waitcnt lgkmcnt(3)
	v_dot4c_i32_i8_e32 v168, v104, v12
	v_dot4c_i32_i8_e32 v168, v105, v13
	s_waitcnt lgkmcnt(2)
	v_dot4c_i32_i8_e32 v168, v106, v6
	v_dot4c_i32_i8_e32 v168, v107, v7
	;; [unrolled: 3-line block ×3, first 2 shown]
	v_bfe_u32 v104, v108, 8, 8
	v_mov_b32_e32 v170, 0
	s_waitcnt lgkmcnt(0)
	v_dot4c_i32_i8_e32 v170, v166, v18
	v_mul_lo_u32 v104, v168, v104
	v_cvt_f32_i32_e32 v178, v104
	v_add_u32_e32 v104, 0x4188, v144
	ds_read2_b32 v[104:105], v104 offset1:1
	v_add_u32_e32 v106, 0x4190, v144
	v_add_u32_e32 v168, 0x41a0, v144
	v_dot4c_i32_i8_e32 v170, v167, v19
	v_add_u32_e32 v107, 0x4198, v144
	ds_read2_b32 v[164:165], v106 offset1:1
	ds_read2_b32 v[166:167], v107 offset1:1
	ds_read2_b32 v[168:169], v168 offset1:1
	s_waitcnt lgkmcnt(3)
	v_dot4c_i32_i8_e32 v170, v104, v20
	ds_read2_b32 v[106:107], v149 offset0:1 offset1:3
	v_dot4c_i32_i8_e32 v170, v105, v21
	s_waitcnt lgkmcnt(3)
	v_dot4c_i32_i8_e32 v170, v164, v14
	v_dot4c_i32_i8_e32 v170, v165, v15
	s_waitcnt lgkmcnt(2)
	v_dot4c_i32_i8_e32 v170, v166, v16
	v_dot4c_i32_i8_e32 v170, v167, v17
	s_waitcnt lgkmcnt(0)
	v_and_b32_e32 v104, 0xff, v106
	v_add_u32_e32 v164, 0x41b0, v144
	v_add_u32_e32 v166, 0x41b8, v144
	v_mul_lo_u32 v104, v170, v104
	v_cvt_f32_i32_e32 v181, v104
	v_add_u32_e32 v104, 0x41a8, v144
	ds_read2_b32 v[104:105], v104 offset1:1
	v_mov_b32_e32 v170, 0
	v_dot4c_i32_i8_e32 v170, v168, v10
	v_add_u32_e32 v168, 0x6200, v144
	v_dot4c_i32_i8_e32 v170, v169, v11
	ds_read2_b32 v[164:165], v164 offset1:1
	ds_read2_b32 v[166:167], v166 offset1:1
	;; [unrolled: 1-line block ×3, first 2 shown]
	s_waitcnt lgkmcnt(3)
	v_dot4c_i32_i8_e32 v170, v104, v12
	v_dot4c_i32_i8_e32 v170, v105, v13
	s_waitcnt lgkmcnt(2)
	v_dot4c_i32_i8_e32 v170, v164, v6
	v_dot4c_i32_i8_e32 v170, v165, v7
	;; [unrolled: 3-line block ×3, first 2 shown]
	v_bfe_u32 v104, v106, 8, 8
	v_add_u32_e32 v105, 0x6218, v144
	v_mov_b32_e32 v190, 0
	v_mul_lo_u32 v104, v170, v104
	v_mov_b32_e32 v170, 0
	s_waitcnt lgkmcnt(0)
	v_dot4c_i32_i8_e32 v170, v168, v18
	v_add_u32_e32 v18, 0x6208, v144
	v_dot4c_i32_i8_e32 v170, v169, v19
	ds_read2_b32 v[18:19], v18 offset1:1
	v_cvt_f32_i32_e32 v183, v104
	v_add_u32_e32 v104, 0x6210, v144
	v_add_u32_e32 v168, 0x6220, v144
	ds_read2_b32 v[164:165], v104 offset1:1
	ds_read2_b32 v[166:167], v105 offset1:1
	;; [unrolled: 1-line block ×3, first 2 shown]
	s_waitcnt lgkmcnt(3)
	v_dot4c_i32_i8_e32 v170, v18, v20
	ds_read2_b32 v[104:105], v151 offset0:1 offset1:3
	v_dot4c_i32_i8_e32 v170, v19, v21
	s_waitcnt lgkmcnt(3)
	v_dot4c_i32_i8_e32 v170, v164, v14
	v_mov_b32_e32 v18, 0
	v_dot4c_i32_i8_e32 v170, v165, v15
	s_waitcnt lgkmcnt(1)
	v_dot4c_i32_i8_e32 v18, v168, v10
	v_add_u32_e32 v10, 0x6228, v144
	v_dot4c_i32_i8_e32 v170, v166, v16
	v_dot4c_i32_i8_e32 v18, v169, v11
	ds_read2_b32 v[10:11], v10 offset1:1
	v_dot4c_i32_i8_e32 v170, v167, v17
	s_waitcnt lgkmcnt(1)
	v_and_b32_e32 v14, 0xff, v104
	v_add_u32_e32 v16, 0x6238, v144
	v_add_u32_e32 v19, 0x2140, v144
	v_mul_lo_u32 v14, v170, v14
	v_cvt_f32_i32_e32 v186, v14
	v_add_u32_e32 v14, 0x6230, v144
	ds_read2_b32 v[14:15], v14 offset1:1
	ds_read2_b32 v[16:17], v16 offset1:1
	;; [unrolled: 1-line block ×3, first 2 shown]
	s_waitcnt lgkmcnt(3)
	v_dot4c_i32_i8_e32 v18, v10, v12
	v_dot4c_i32_i8_e32 v18, v11, v13
	s_waitcnt lgkmcnt(2)
	v_dot4c_i32_i8_e32 v18, v14, v6
	v_dot4c_i32_i8_e32 v18, v15, v7
	;; [unrolled: 3-line block ×3, first 2 shown]
	v_bfe_u32 v6, v104, 8, 8
	v_lshrrev_b32_e32 v163, 24, v102
	v_cvt_f32_ubyte0_e32 v177, v109
	v_mul_lo_u32 v6, v18, v6
	v_cvt_f32_i32_e32 v188, v6
	ds_read_b128 v[18:21], v141 offset:64
	ds_read_b128 v[14:17], v141 offset:80
	;; [unrolled: 1-line block ×4, first 2 shown]
	ds_read2_b32 v[166:167], v144 offset0:50 offset1:51
	s_waitcnt lgkmcnt(4)
	v_dot4c_i32_i8_e32 v190, v110, v18
	v_dot4c_i32_i8_e32 v190, v111, v19
	ds_read2_b32 v[110:111], v144 offset0:52 offset1:53
	ds_read2_b32 v[168:169], v144 offset0:54 offset1:55
	;; [unrolled: 1-line block ×3, first 2 shown]
	v_cvt_f32_ubyte0_e32 v182, v107
	s_waitcnt lgkmcnt(3)
	v_dot4c_i32_i8_e32 v190, v166, v20
	v_mov_b32_e32 v166, 0
	v_dot4c_i32_i8_e32 v190, v167, v21
	s_waitcnt lgkmcnt(0)
	v_dot4c_i32_i8_e32 v166, v170, v10
	v_dot4c_i32_i8_e32 v166, v171, v11
	;; [unrolled: 1-line block ×10, first 2 shown]
	v_cvt_f32_f16_e32 v155, v4
	v_cvt_f32_f16_sdwa v111, v4 dst_sel:DWORD dst_unused:UNUSED_PAD src0_sel:WORD_1
	v_and_b32_e32 v4, 0xff, v102
	v_bfe_u32 v156, v102, 16, 8
	v_dot4c_i32_i8_e32 v166, v158, v8
	v_mul_lo_u32 v4, v161, v4
	v_mul_lo_u32 v156, v190, v156
	v_dot4c_i32_i8_e32 v166, v159, v9
	v_cvt_f32_f16_e32 v154, v2
	v_cvt_f32_i32_e32 v159, v156
	v_cvt_f32_i32_e32 v158, v4
	v_bfe_u32 v102, v102, 8, 8
	v_mul_lo_u32 v102, v172, v102
	v_cvt_f32_f16_sdwa v110, v2 dst_sel:DWORD dst_unused:UNUSED_PAD src0_sel:WORD_1
	v_pk_fma_f32 v[158:159], v[154:155], v[158:159], 0 op_sel_hi:[1,1,0]
	v_mul_lo_u32 v154, v166, v163
	v_cvt_f32_f16_e32 v157, v5
	v_cvt_f32_f16_e32 v156, v3
	v_cvt_f32_i32_e32 v167, v154
	v_cvt_f32_i32_e32 v166, v102
	v_cvt_f32_f16_sdwa v5, v5 dst_sel:DWORD dst_unused:UNUSED_PAD src0_sel:WORD_1
	v_cvt_f32_f16_sdwa v4, v3 dst_sel:DWORD dst_unused:UNUSED_PAD src0_sel:WORD_1
	v_cvt_f32_ubyte2_e32 v169, v103
	v_cvt_f32_ubyte0_e32 v168, v103
	v_cvt_f32_ubyte0_e32 v187, v105
	v_pk_fma_f32 v[168:169], v[110:111], v[168:169], 0 op_sel_hi:[1,1,0]
	v_pk_fma_f32 v[158:159], v[156:157], v[166:167], v[158:159]
	v_cvt_f32_ubyte3_e32 v167, v103
	v_cvt_f32_ubyte1_e32 v166, v103
	v_fma_mix_f32 v154, v2, v181, 0 op_sel_hi:[1,0,0]
	v_cvt_f32_ubyte1_e32 v189, v105
	v_pk_fma_f32 v[102:103], v[4:5], v[166:167], v[168:169]
	v_fma_mix_f32 v4, v2, v176, 0 op_sel_hi:[1,0,0]
	v_fma_mix_f32 v110, v2, v177, 0 op_sel:[1,0,0] op_sel_hi:[1,0,0]
	v_fma_mix_f32 v156, v2, v182, 0 op_sel:[1,0,0] op_sel_hi:[1,0,0]
	v_fma_mix_f32 v166, v3, v183, v154 op_sel_hi:[1,0,0]
	v_fma_mix_f32 v154, v2, v186, 0 op_sel_hi:[1,0,0]
	v_fma_mix_f32 v2, v2, v187, 0 op_sel:[1,0,0] op_sel_hi:[1,0,0]
	v_cvt_f32_ubyte1_e32 v179, v109
	v_cvt_f32_ubyte1_e32 v184, v107
	v_fma_mix_f32 v169, v3, v189, v2 op_sel:[1,0,0] op_sel_hi:[1,0,0]
	v_add_u32_e32 v2, 0x2148, v144
	v_fma_mix_f32 v4, v3, v178, v4 op_sel_hi:[1,0,0]
	v_fma_mix_f32 v110, v3, v179, v110 op_sel:[1,0,0] op_sel_hi:[1,0,0]
	v_fma_mix_f32 v167, v3, v184, v156 op_sel:[1,0,0] op_sel_hi:[1,0,0]
	v_fma_mix_f32 v168, v3, v188, v154 op_sel_hi:[1,0,0]
	ds_read2_b32 v[2:3], v2 offset1:1
	v_pk_mul_f32 v[102:103], v[102:103], v[162:163] op_sel_hi:[1,0]
	v_mov_b32_e32 v154, 0
	v_pk_fma_f32 v[102:103], v[158:159], v[160:161], v[102:103] op_sel_hi:[1,0,1] neg_lo:[0,0,1] neg_hi:[0,0,1]
	v_dot4c_i32_i8_e32 v154, v164, v18
	v_add_u32_e32 v156, 0x2150, v144
	v_add_u32_e32 v160, 0x2158, v144
	;; [unrolled: 1-line block ×3, first 2 shown]
	v_dot4c_i32_i8_e32 v154, v165, v19
	ds_read2_b32 v[158:159], v156 offset1:1
	ds_read2_b32 v[160:161], v160 offset1:1
	;; [unrolled: 1-line block ×3, first 2 shown]
	s_waitcnt lgkmcnt(3)
	v_dot4c_i32_i8_e32 v154, v2, v20
	v_dot4c_i32_i8_e32 v154, v3, v21
	s_waitcnt lgkmcnt(2)
	v_dot4c_i32_i8_e32 v154, v158, v14
	v_dot4c_i32_i8_e32 v154, v159, v15
	;; [unrolled: 3-line block ×3, first 2 shown]
	v_bfe_u32 v2, v108, 16, 8
	v_lshrrev_b32_e32 v175, 24, v108
	v_mov_b32_e32 v108, 0
	v_mul_lo_u32 v2, v154, v2
	v_add_u32_e32 v154, 0x2168, v144
	ds_read2_b32 v[158:159], v154 offset1:1
	s_waitcnt lgkmcnt(1)
	v_dot4c_i32_i8_e32 v108, v162, v10
	v_add_u32_e32 v156, 0x2170, v144
	v_add_u32_e32 v162, 0x2178, v144
	v_dot4c_i32_i8_e32 v108, v163, v11
	v_add_u32_e32 v154, 0x41c0, v144
	ds_read2_b32 v[160:161], v156 offset1:1
	ds_read2_b32 v[162:163], v162 offset1:1
	;; [unrolled: 1-line block ×3, first 2 shown]
	s_waitcnt lgkmcnt(3)
	v_dot4c_i32_i8_e32 v108, v158, v12
	v_dot4c_i32_i8_e32 v108, v159, v13
	s_waitcnt lgkmcnt(2)
	v_dot4c_i32_i8_e32 v108, v160, v6
	v_dot4c_i32_i8_e32 v108, v161, v7
	s_waitcnt lgkmcnt(1)
	v_dot4c_i32_i8_e32 v108, v162, v8
	v_cvt_f32_f16_sdwa v159, v173 dst_sel:DWORD dst_unused:UNUSED_PAD src0_sel:WORD_1
	v_dot4c_i32_i8_e32 v108, v163, v9
	v_cvt_f32_i32_e32 v2, v2
	v_cvt_f32_f16_e32 v158, v173
	v_mul_f32_e32 v110, v110, v159
	v_mul_lo_u32 v108, v108, v175
	v_cvt_f32_i32_e32 v108, v108
	v_cvt_f32_ubyte2_e32 v3, v109
	v_fma_mix_f32 v161, v4, v173, -v110 op_sel_hi:[0,1,0]
	v_mov_b32_e32 v110, v155
	v_cvt_f32_ubyte3_e32 v109, v109
	v_pk_fma_f32 v[2:3], v[110:111], v[2:3], 0 op_sel_hi:[1,1,0]
	v_mov_b32_e32 v4, v157
	v_pk_fma_f32 v[2:3], v[4:5], v[108:109], v[2:3]
	v_pk_mul_f32 v[108:109], v[2:3], v[158:159]
	v_mov_b32_e32 v109, v108
	v_mov_b32_e32 v160, v102
	v_pk_fma_f32 v[2:3], v[2:3], v[158:159], v[108:109] neg_lo:[1,0,0] neg_hi:[1,0,0]
	v_pk_add_f32 v[90:91], v[90:91], v[160:161]
	v_mov_b32_e32 v2, v103
	v_pk_add_f32 v[90:91], v[90:91], v[2:3]
	v_add_u32_e32 v2, 0x41c8, v144
	ds_read2_b32 v[2:3], v2 offset1:1
	v_mov_b32_e32 v156, 0
	s_waitcnt lgkmcnt(1)
	v_dot4c_i32_i8_e32 v156, v164, v18
	v_add_u32_e32 v102, 0x41d0, v144
	v_add_u32_e32 v108, 0x41d8, v144
	v_add_u32_e32 v154, 0x41e0, v144
	v_dot4c_i32_i8_e32 v156, v165, v19
	ds_read2_b32 v[102:103], v102 offset1:1
	ds_read2_b32 v[108:109], v108 offset1:1
	;; [unrolled: 1-line block ×3, first 2 shown]
	s_waitcnt lgkmcnt(3)
	v_dot4c_i32_i8_e32 v156, v2, v20
	v_dot4c_i32_i8_e32 v156, v3, v21
	s_waitcnt lgkmcnt(2)
	v_dot4c_i32_i8_e32 v156, v102, v14
	v_add_u32_e32 v102, 0x41e8, v144
	v_dot4c_i32_i8_e32 v156, v103, v15
	ds_read2_b32 v[102:103], v102 offset1:1
	s_waitcnt lgkmcnt(2)
	v_dot4c_i32_i8_e32 v156, v108, v16
	v_lshrrev_b32_e32 v180, 24, v106
	v_dot4c_i32_i8_e32 v156, v109, v17
	v_bfe_u32 v2, v106, 16, 8
	v_mov_b32_e32 v106, 0
	s_waitcnt lgkmcnt(1)
	v_dot4c_i32_i8_e32 v106, v154, v10
	v_mul_lo_u32 v2, v156, v2
	v_add_u32_e32 v108, 0x41f0, v144
	v_add_u32_e32 v154, 0x41f8, v144
	;; [unrolled: 1-line block ×3, first 2 shown]
	v_dot4c_i32_i8_e32 v106, v155, v11
	ds_read2_b32 v[108:109], v108 offset1:1
	ds_read2_b32 v[154:155], v154 offset1:1
	;; [unrolled: 1-line block ×3, first 2 shown]
	s_waitcnt lgkmcnt(3)
	v_dot4c_i32_i8_e32 v106, v102, v12
	v_dot4c_i32_i8_e32 v106, v103, v13
	s_waitcnt lgkmcnt(2)
	v_dot4c_i32_i8_e32 v106, v108, v6
	v_dot4c_i32_i8_e32 v106, v109, v7
	;; [unrolled: 3-line block ×3, first 2 shown]
	v_cvt_f32_i32_e32 v2, v2
	v_cvt_f32_f16_sdwa v103, v174 dst_sel:DWORD dst_unused:UNUSED_PAD src0_sel:WORD_1
	v_cvt_f32_ubyte2_e32 v3, v107
	v_mul_lo_u32 v102, v106, v180
	v_cvt_f32_i32_e32 v106, v102
	v_cvt_f32_f16_e32 v102, v174
	v_cvt_f32_ubyte3_e32 v107, v107
	v_pk_fma_f32 v[2:3], v[110:111], v[2:3], 0 op_sel_hi:[1,1,0]
	v_mul_f32_e32 v108, v167, v103
	v_pk_fma_f32 v[2:3], v[4:5], v[106:107], v[2:3]
	v_fma_mix_f32 v108, v166, v174, -v108 op_sel_hi:[0,1,0]
	v_pk_mul_f32 v[2:3], v[2:3], v[102:103]
	v_add_f32_e32 v108, v112, v108
	v_sub_f32_e32 v2, v2, v3
	v_add_f32_e32 v112, v108, v2
	v_add_u32_e32 v2, 0x6248, v144
	ds_read2_b32 v[2:3], v2 offset1:1
	v_mov_b32_e32 v108, 0
	s_waitcnt lgkmcnt(1)
	v_dot4c_i32_i8_e32 v108, v156, v18
	v_add_u32_e32 v18, 0x6250, v144
	v_add_u32_e32 v102, 0x6258, v144
	;; [unrolled: 1-line block ×3, first 2 shown]
	v_dot4c_i32_i8_e32 v108, v157, v19
	ds_read2_b32 v[18:19], v18 offset1:1
	ds_read2_b32 v[102:103], v102 offset1:1
	;; [unrolled: 1-line block ×3, first 2 shown]
	s_waitcnt lgkmcnt(3)
	v_dot4c_i32_i8_e32 v108, v2, v20
	v_dot4c_i32_i8_e32 v108, v3, v21
	s_waitcnt lgkmcnt(2)
	v_dot4c_i32_i8_e32 v108, v18, v14
	v_mov_b32_e32 v18, 0
	s_waitcnt lgkmcnt(0)
	v_dot4c_i32_i8_e32 v18, v106, v10
	v_add_u32_e32 v10, 0x6268, v144
	v_dot4c_i32_i8_e32 v18, v107, v11
	ds_read2_b32 v[10:11], v10 offset1:1
	v_add_u32_e32 v14, 0x6270, v144
	v_dot4c_i32_i8_e32 v108, v19, v15
	ds_read2_b32 v[14:15], v14 offset1:1
	v_dot4c_i32_i8_e32 v108, v102, v16
	v_add_u32_e32 v16, 0x6278, v144
	v_dot4c_i32_i8_e32 v108, v103, v17
	ds_read2_b32 v[16:17], v16 offset1:1
	s_waitcnt lgkmcnt(2)
	v_dot4c_i32_i8_e32 v18, v10, v12
	v_dot4c_i32_i8_e32 v18, v11, v13
	s_waitcnt lgkmcnt(1)
	v_dot4c_i32_i8_e32 v18, v14, v6
	v_dot4c_i32_i8_e32 v18, v15, v7
	v_bfe_u32 v2, v104, 16, 8
	s_waitcnt lgkmcnt(0)
	v_dot4c_i32_i8_e32 v18, v16, v8
	v_lshrrev_b32_e32 v185, 24, v104
	v_mul_lo_u32 v2, v108, v2
	v_dot4c_i32_i8_e32 v18, v17, v9
	v_cvt_f32_i32_e32 v2, v2
	v_cvt_f32_f16_sdwa v7, v153 dst_sel:DWORD dst_unused:UNUSED_PAD src0_sel:WORD_1
	v_cvt_f32_ubyte2_e32 v3, v105
	v_mul_lo_u32 v6, v18, v185
	v_cvt_f32_i32_e32 v8, v6
	v_cvt_f32_f16_e32 v6, v153
	v_cvt_f32_ubyte3_e32 v9, v105
	v_pk_fma_f32 v[2:3], v[110:111], v[2:3], 0 op_sel_hi:[1,1,0]
	v_mul_f32_e32 v10, v169, v7
	v_pk_fma_f32 v[2:3], v[4:5], v[8:9], v[2:3]
	v_fma_mix_f32 v10, v168, v153, -v10 op_sel_hi:[0,1,0]
	v_pk_mul_f32 v[2:3], v[2:3], v[6:7]
	v_add_f32_e32 v10, v79, v10
	v_sub_f32_e32 v2, v2, v3
	v_add_f32_e32 v79, v10, v2
	s_barrier
.LBB233_5:                              ;   in Loop: Header=BB233_6 Depth=1
	v_add_co_u32_e32 v26, vcc, 0xb0, v26
	v_addc_co_u32_e32 v25, vcc, 0, v25, vcc
	v_add_co_u32_e32 v28, vcc, 0xb0, v28
	v_addc_co_u32_e32 v27, vcc, 0, v27, vcc
	;; [unrolled: 2-line block ×36, first 2 shown]
	s_add_i32 s25, s25, -1
	s_addk_i32 s12, 0x100
	v_add_co_u32_e32 v100, vcc, 0xb0, v100
	v_add_u32_e32 v114, 8, v114
	v_add_u32_e32 v146, 8, v146
	;; [unrolled: 1-line block ×3, first 2 shown]
	s_cmp_eq_u32 s25, 0
	v_addc_co_u32_e32 v101, vcc, 0, v101, vcc
	s_cbranch_scc1 .LBB233_19
.LBB233_6:                              ; =>This Inner Loop Header: Depth=1
	v_mov_b32_e32 v6, s26
	v_add_co_u32_e32 v2, vcc, s18, v28
	v_addc_co_u32_e32 v3, vcc, v27, v6, vcc
	global_load_dword v7, v[2:3], off
	v_add_co_u32_e32 v2, vcc, s18, v26
	v_addc_co_u32_e32 v3, vcc, v25, v6, vcc
	global_load_dword v8, v[2:3], off
	v_add_co_u32_e32 v2, vcc, s18, v32
	v_addc_co_u32_e32 v3, vcc, v31, v6, vcc
	v_add_co_u32_e32 v4, vcc, s18, v30
	v_addc_co_u32_e32 v5, vcc, v29, v6, vcc
	global_load_dword v9, v[2:3], off
	v_add_co_u32_e32 v2, vcc, s18, v36
	v_addc_co_u32_e32 v3, vcc, v35, v6, vcc
	global_load_dword v10, v[4:5], off
	;; [unrolled: 3-line block ×13, first 2 shown]
	s_add_i32 s4, s12, 0xffffff80
	global_load_dword v4, v[4:5], off
	s_cmp_lt_i32 s4, s19
	s_waitcnt vmcnt(15)
	v_lshrrev_b32_e32 v2, 4, v7
	v_and_b32_e32 v103, 0xf0f0f0f, v2
	v_add_co_u32_e32 v2, vcc, s18, v60
	v_addc_co_u32_e32 v3, vcc, v59, v6, vcc
	global_load_dword v5, v[2:3], off
	v_add_co_u32_e32 v2, vcc, s18, v58
	v_addc_co_u32_e32 v3, vcc, v57, v6, vcc
	global_load_dword v2, v[2:3], off
	v_and_b32_e32 v102, 0xf0f0f0f, v7
	s_waitcnt vmcnt(16)
	v_ashrrev_i32_e32 v7, v115, v8
	v_lshlrev_b32_e32 v3, 4, v7
	v_ashrrev_i32_e32 v7, v116, v8
	v_lshlrev_b32_e32 v7, 4, v7
	v_and_or_b32 v3, v3, s13, v102
	v_and_or_b32 v7, v7, s13, v103
	ds_write2_b32 v117, v3, v7 offset1:8
	s_waitcnt vmcnt(15)
	v_and_b32_e32 v3, 0xf0f0f0f, v9
	v_lshrrev_b32_e32 v7, 4, v9
	s_waitcnt vmcnt(14)
	v_ashrrev_i32_e32 v8, v115, v10
	v_ashrrev_i32_e32 v9, v116, v10
	v_and_b32_e32 v7, 0xf0f0f0f, v7
	v_lshlrev_b32_e32 v8, 4, v8
	v_lshlrev_b32_e32 v9, 4, v9
	v_and_or_b32 v3, v8, s13, v3
	v_and_or_b32 v7, v9, s13, v7
	ds_write2_b32 v118, v3, v7 offset1:8
	s_waitcnt vmcnt(13)
	v_lshrrev_b32_e32 v7, 4, v11
	s_waitcnt vmcnt(12)
	v_ashrrev_i32_e32 v8, v115, v12
	v_ashrrev_i32_e32 v9, v116, v12
	v_and_b32_e32 v3, 0xf0f0f0f, v11
	v_and_b32_e32 v7, 0xf0f0f0f, v7
	v_lshlrev_b32_e32 v8, 4, v8
	v_lshlrev_b32_e32 v9, 4, v9
	v_and_or_b32 v3, v8, s13, v3
	v_and_or_b32 v7, v9, s13, v7
	ds_write2_b32 v119, v3, v7 offset1:8
	s_waitcnt vmcnt(11)
	v_lshrrev_b32_e32 v7, 4, v13
	s_waitcnt vmcnt(10)
	v_ashrrev_i32_e32 v8, v115, v14
	v_ashrrev_i32_e32 v9, v116, v14
	v_and_b32_e32 v3, 0xf0f0f0f, v13
	v_and_b32_e32 v7, 0xf0f0f0f, v7
	v_lshlrev_b32_e32 v8, 4, v8
	v_lshlrev_b32_e32 v9, 4, v9
	v_and_or_b32 v3, v8, s13, v3
	v_and_or_b32 v7, v9, s13, v7
	ds_write2_b32 v120, v3, v7 offset1:8
	s_waitcnt vmcnt(9)
	v_lshrrev_b32_e32 v7, 4, v15
	s_waitcnt vmcnt(8)
	v_ashrrev_i32_e32 v8, v115, v16
	v_ashrrev_i32_e32 v9, v116, v16
	v_and_b32_e32 v3, 0xf0f0f0f, v15
	v_and_b32_e32 v7, 0xf0f0f0f, v7
	v_lshlrev_b32_e32 v8, 4, v8
	v_lshlrev_b32_e32 v9, 4, v9
	v_and_or_b32 v3, v8, s13, v3
	v_and_or_b32 v7, v9, s13, v7
	ds_write2_b32 v121, v3, v7 offset1:8
	s_waitcnt vmcnt(7)
	v_lshrrev_b32_e32 v7, 4, v17
	s_waitcnt vmcnt(6)
	v_ashrrev_i32_e32 v8, v115, v18
	v_ashrrev_i32_e32 v9, v116, v18
	v_and_b32_e32 v3, 0xf0f0f0f, v17
	v_and_b32_e32 v7, 0xf0f0f0f, v7
	v_lshlrev_b32_e32 v8, 4, v8
	v_lshlrev_b32_e32 v9, 4, v9
	v_and_or_b32 v3, v8, s13, v3
	v_and_or_b32 v7, v9, s13, v7
	ds_write2_b32 v122, v3, v7 offset1:8
	s_waitcnt vmcnt(5)
	v_lshrrev_b32_e32 v7, 4, v19
	s_waitcnt vmcnt(4)
	v_ashrrev_i32_e32 v8, v115, v20
	v_ashrrev_i32_e32 v9, v116, v20
	v_and_b32_e32 v3, 0xf0f0f0f, v19
	v_and_b32_e32 v7, 0xf0f0f0f, v7
	v_lshlrev_b32_e32 v8, 4, v8
	v_lshlrev_b32_e32 v9, 4, v9
	v_and_or_b32 v3, v8, s13, v3
	v_and_or_b32 v7, v9, s13, v7
	ds_write2_b32 v123, v3, v7 offset1:8
	s_waitcnt vmcnt(3)
	v_lshrrev_b32_e32 v7, 4, v21
	s_waitcnt vmcnt(2)
	v_ashrrev_i32_e32 v8, v115, v4
	v_ashrrev_i32_e32 v4, v116, v4
	v_and_b32_e32 v3, 0xf0f0f0f, v21
	v_and_b32_e32 v7, 0xf0f0f0f, v7
	v_lshlrev_b32_e32 v8, 4, v8
	v_lshlrev_b32_e32 v4, 4, v4
	v_and_or_b32 v3, v8, s13, v3
	v_and_or_b32 v4, v4, s13, v7
	ds_write2_b32 v124, v3, v4 offset1:8
	s_waitcnt vmcnt(1)
	v_and_b32_e32 v3, 0xf0f0f0f, v5
	v_lshrrev_b32_e32 v4, 4, v5
	s_waitcnt vmcnt(0)
	v_ashrrev_i32_e32 v5, v115, v2
	v_ashrrev_i32_e32 v2, v116, v2
	v_and_b32_e32 v4, 0xf0f0f0f, v4
	v_lshlrev_b32_e32 v2, 4, v2
	v_lshlrev_b32_e32 v5, 4, v5
	v_and_or_b32 v4, v2, s13, v4
	v_add_co_u32_e32 v2, vcc, s18, v64
	v_and_or_b32 v5, v5, s13, v3
	v_addc_co_u32_e32 v3, vcc, v63, v6, vcc
	global_load_dword v7, v[2:3], off
	v_add_co_u32_e32 v2, vcc, s18, v62
	v_addc_co_u32_e32 v3, vcc, v61, v6, vcc
	global_load_dword v8, v[2:3], off
	v_add_co_u32_e32 v2, vcc, s18, v68
	;; [unrolled: 3-line block ×18, first 2 shown]
	v_addc_co_u32_e32 v3, vcc, v101, v6, vcc
	global_load_dword v2, v[2:3], off
	ds_write2_b32 v125, v5, v4 offset1:8
	s_waitcnt vmcnt(18)
	v_lshrrev_b32_e32 v4, 4, v7
	s_waitcnt vmcnt(17)
	v_ashrrev_i32_e32 v5, v115, v8
	v_ashrrev_i32_e32 v6, v116, v8
	v_and_b32_e32 v3, 0xf0f0f0f, v7
	v_and_b32_e32 v4, 0xf0f0f0f, v4
	v_lshlrev_b32_e32 v5, 4, v5
	v_lshlrev_b32_e32 v6, 4, v6
	v_and_or_b32 v3, v5, s13, v3
	v_and_or_b32 v4, v6, s13, v4
	ds_write2_b32 v126, v3, v4 offset1:8
	s_waitcnt vmcnt(16)
	v_lshrrev_b32_e32 v4, 4, v9
	s_waitcnt vmcnt(15)
	v_ashrrev_i32_e32 v5, v115, v10
	v_ashrrev_i32_e32 v6, v116, v10
	v_and_b32_e32 v3, 0xf0f0f0f, v9
	v_and_b32_e32 v4, 0xf0f0f0f, v4
	v_lshlrev_b32_e32 v5, 4, v5
	v_lshlrev_b32_e32 v6, 4, v6
	v_and_or_b32 v3, v5, s13, v3
	v_and_or_b32 v4, v6, s13, v4
	ds_write2_b32 v127, v3, v4 offset1:8
	s_waitcnt vmcnt(14)
	v_lshrrev_b32_e32 v4, 4, v11
	s_waitcnt vmcnt(13)
	v_ashrrev_i32_e32 v5, v115, v12
	v_ashrrev_i32_e32 v6, v116, v12
	v_and_b32_e32 v3, 0xf0f0f0f, v11
	v_and_b32_e32 v4, 0xf0f0f0f, v4
	v_lshlrev_b32_e32 v5, 4, v5
	v_lshlrev_b32_e32 v6, 4, v6
	v_and_or_b32 v3, v5, s13, v3
	v_and_or_b32 v4, v6, s13, v4
	ds_write2_b32 v128, v3, v4 offset1:8
	s_waitcnt vmcnt(12)
	v_lshrrev_b32_e32 v4, 4, v13
	s_waitcnt vmcnt(11)
	v_ashrrev_i32_e32 v5, v115, v14
	v_ashrrev_i32_e32 v6, v116, v14
	v_and_b32_e32 v3, 0xf0f0f0f, v13
	v_and_b32_e32 v4, 0xf0f0f0f, v4
	v_lshlrev_b32_e32 v5, 4, v5
	v_lshlrev_b32_e32 v6, 4, v6
	v_and_or_b32 v3, v5, s13, v3
	v_and_or_b32 v4, v6, s13, v4
	ds_write2_b32 v129, v3, v4 offset1:8
	s_waitcnt vmcnt(10)
	v_lshrrev_b32_e32 v4, 4, v15
	s_waitcnt vmcnt(9)
	v_ashrrev_i32_e32 v5, v115, v16
	v_ashrrev_i32_e32 v6, v116, v16
	v_and_b32_e32 v3, 0xf0f0f0f, v15
	v_and_b32_e32 v4, 0xf0f0f0f, v4
	v_lshlrev_b32_e32 v5, 4, v5
	v_lshlrev_b32_e32 v6, 4, v6
	v_and_or_b32 v3, v5, s13, v3
	v_and_or_b32 v4, v6, s13, v4
	ds_write2_b32 v130, v3, v4 offset1:8
	s_waitcnt vmcnt(8)
	v_lshrrev_b32_e32 v4, 4, v17
	s_waitcnt vmcnt(7)
	v_ashrrev_i32_e32 v5, v115, v18
	v_ashrrev_i32_e32 v6, v116, v18
	v_and_b32_e32 v3, 0xf0f0f0f, v17
	v_and_b32_e32 v4, 0xf0f0f0f, v4
	v_lshlrev_b32_e32 v5, 4, v5
	v_lshlrev_b32_e32 v6, 4, v6
	v_and_or_b32 v3, v5, s13, v3
	v_and_or_b32 v4, v6, s13, v4
	ds_write2_b32 v131, v3, v4 offset1:8
	s_waitcnt vmcnt(6)
	v_lshrrev_b32_e32 v4, 4, v19
	s_waitcnt vmcnt(5)
	v_ashrrev_i32_e32 v5, v115, v20
	v_ashrrev_i32_e32 v6, v116, v20
	v_and_b32_e32 v3, 0xf0f0f0f, v19
	v_and_b32_e32 v4, 0xf0f0f0f, v4
	v_lshlrev_b32_e32 v5, 4, v5
	v_lshlrev_b32_e32 v6, 4, v6
	v_and_or_b32 v3, v5, s13, v3
	v_and_or_b32 v4, v6, s13, v4
	ds_write2_b32 v132, v3, v4 offset1:8
	s_waitcnt vmcnt(4)
	ds_write_b32 v133, v21
	s_waitcnt vmcnt(3)
	v_ashrrev_i32_e32 v3, v134, v102
	v_and_b32_e32 v3, 0xf0f0f0f, v3
	s_waitcnt vmcnt(2)
	v_ashrrev_i32_e32 v4, v135, v103
	v_and_or_b32 v3, v4, s20, v3
	ds_write_b32 v136, v3
	s_waitcnt vmcnt(1)
	v_ashrrev_i32_e32 v3, v134, v104
	v_and_b32_e32 v3, 0xf0f0f0f, v3
	s_waitcnt vmcnt(0)
	v_ashrrev_i32_e32 v2, v135, v2
	v_and_or_b32 v2, v2, s20, v3
	ds_write_b32 v137, v2
	s_cbranch_scc0 .LBB233_5
; %bb.7:                                ;   in Loop: Header=BB233_6 Depth=1
	v_cmp_gt_i32_e32 vcc, s9, v140
	s_and_b64 s[22:23], s[2:3], vcc
	s_and_saveexec_b64 s[4:5], s[22:23]
	s_cbranch_execz .LBB233_9
; %bb.8:                                ;   in Loop: Header=BB233_6 Depth=1
	v_add_u32_e32 v2, v24, v140
	v_mad_i64_i32 v[2:3], s[22:23], v2, 36, v[22:23]
	global_load_dword v2, v[2:3], off offset:4
	s_waitcnt vmcnt(0)
	ds_write_b32 v138, v2
.LBB233_9:                              ;   in Loop: Header=BB233_6 Depth=1
	s_or_b64 exec, exec, s[4:5]
	s_and_saveexec_b64 s[4:5], s[0:1]
	s_cbranch_execz .LBB233_12
; %bb.10:                               ;   in Loop: Header=BB233_6 Depth=1
	v_cmp_gt_i32_e32 vcc, s9, v114
	s_and_b64 s[22:23], s[2:3], vcc
	s_and_b64 exec, exec, s[22:23]
	s_cbranch_execz .LBB233_12
; %bb.11:                               ;   in Loop: Header=BB233_6 Depth=1
	v_add_u32_e32 v2, v24, v114
	v_mad_i64_i32 v[2:3], s[22:23], v2, 36, s[14:15]
	global_load_dword v2, v[2:3], off
	s_waitcnt vmcnt(0)
	ds_write_b32 v139, v2
.LBB233_12:                             ;   in Loop: Header=BB233_6 Depth=1
	s_or_b64 exec, exec, s[4:5]
	s_waitcnt lgkmcnt(0)
	s_barrier
	ds_read_b128 v[18:21], v141
	ds_read_b128 v[14:17], v141 offset:16
	ds_read_b128 v[2:5], v142 offset:36944
	ds_read2_b32 v[102:103], v144 offset1:1
	ds_read_b128 v[10:13], v141 offset:32
	ds_read_b128 v[6:9], v141 offset:48
	ds_read_b32 v153, v145
	ds_read2_b32 v[104:105], v144 offset0:2 offset1:3
	v_mov_b32_e32 v161, 0
	s_waitcnt lgkmcnt(4)
	v_dot4c_i32_i8_e32 v161, v102, v18
	v_dot4c_i32_i8_e32 v161, v103, v19
	ds_read2_b32 v[106:107], v144 offset0:4 offset1:5
	ds_read2_b32 v[108:109], v144 offset0:6 offset1:7
	ds_read2_b32 v[110:111], v144 offset0:8 offset1:9
	s_waitcnt lgkmcnt(3)
	v_dot4c_i32_i8_e32 v161, v104, v20
	v_dot4c_i32_i8_e32 v161, v105, v21
	ds_read2_b32 v[104:105], v144 offset0:10 offset1:11
	v_mov_b32_e32 v172, 0
	s_waitcnt lgkmcnt(3)
	v_dot4c_i32_i8_e32 v161, v106, v14
	s_waitcnt lgkmcnt(1)
	v_dot4c_i32_i8_e32 v172, v110, v10
	v_dot4c_i32_i8_e32 v161, v107, v15
	;; [unrolled: 1-line block ×4, first 2 shown]
	s_waitcnt lgkmcnt(0)
	v_dot4c_i32_i8_e32 v172, v104, v12
	v_add_u32_e32 v104, 0x2080, v144
	ds_read2_b32 v[102:103], v143 offset1:2
	v_dot4c_i32_i8_e32 v161, v109, v17
	ds_read2_b32 v[106:107], v144 offset0:12 offset1:13
	ds_read2_b32 v[108:109], v144 offset0:14 offset1:15
	;; [unrolled: 1-line block ×3, first 2 shown]
	v_dot4c_i32_i8_e32 v172, v105, v13
	ds_read2_b32 v[154:155], v144 offset0:26 offset1:27
	ds_read2_b32 v[156:157], v144 offset0:28 offset1:29
	;; [unrolled: 1-line block ×3, first 2 shown]
	ds_read2_b32 v[104:105], v104 offset1:1
	v_mov_b32_e32 v168, 0
	v_cvt_f32_f16_e32 v160, v153
	v_cvt_f32_f16_sdwa v162, v153 dst_sel:DWORD dst_unused:UNUSED_PAD src0_sel:WORD_1
	ds_read_b32 v173, v148 offset:128
	ds_read_b32 v174, v150 offset:256
	;; [unrolled: 1-line block ×3, first 2 shown]
	s_waitcnt lgkmcnt(3)
	v_dot4c_i32_i8_e32 v168, v104, v18
	v_add_u32_e32 v104, 0x2088, v144
	v_dot4c_i32_i8_e32 v168, v105, v19
	ds_read2_b32 v[104:105], v104 offset1:1
	v_dot4c_i32_i8_e32 v172, v106, v6
	v_dot4c_i32_i8_e32 v172, v107, v7
	;; [unrolled: 1-line block ×3, first 2 shown]
	v_add_u32_e32 v106, 0x2090, v144
	v_dot4c_i32_i8_e32 v172, v109, v9
	v_add_u32_e32 v108, 0x2098, v144
	v_add_u32_e32 v109, 0x20a0, v144
	ds_read2_b32 v[106:107], v106 offset1:1
	ds_read2_b32 v[164:165], v108 offset1:1
	;; [unrolled: 1-line block ×3, first 2 shown]
	s_waitcnt lgkmcnt(3)
	v_dot4c_i32_i8_e32 v168, v104, v20
	ds_read2_b32 v[108:109], v147 offset1:2
	v_dot4c_i32_i8_e32 v168, v105, v21
	s_waitcnt lgkmcnt(3)
	v_dot4c_i32_i8_e32 v168, v106, v14
	v_dot4c_i32_i8_e32 v168, v107, v15
	s_waitcnt lgkmcnt(2)
	v_dot4c_i32_i8_e32 v168, v164, v16
	v_dot4c_i32_i8_e32 v168, v165, v17
	s_waitcnt lgkmcnt(0)
	v_and_b32_e32 v104, 0xff, v108
	v_add_u32_e32 v106, 0x20b0, v144
	v_add_u32_e32 v164, 0x20b8, v144
	v_mul_lo_u32 v104, v168, v104
	v_cvt_f32_i32_e32 v176, v104
	v_add_u32_e32 v104, 0x20a8, v144
	ds_read2_b32 v[104:105], v104 offset1:1
	v_mov_b32_e32 v168, 0
	v_dot4c_i32_i8_e32 v168, v166, v10
	v_add_u32_e32 v166, 0x4100, v144
	v_dot4c_i32_i8_e32 v168, v167, v11
	ds_read2_b32 v[106:107], v106 offset1:1
	ds_read2_b32 v[164:165], v164 offset1:1
	;; [unrolled: 1-line block ×3, first 2 shown]
	s_waitcnt lgkmcnt(3)
	v_dot4c_i32_i8_e32 v168, v104, v12
	v_dot4c_i32_i8_e32 v168, v105, v13
	s_waitcnt lgkmcnt(2)
	v_dot4c_i32_i8_e32 v168, v106, v6
	v_dot4c_i32_i8_e32 v168, v107, v7
	;; [unrolled: 3-line block ×3, first 2 shown]
	v_bfe_u32 v104, v108, 8, 8
	v_mov_b32_e32 v170, 0
	s_waitcnt lgkmcnt(0)
	v_dot4c_i32_i8_e32 v170, v166, v18
	v_mul_lo_u32 v104, v168, v104
	v_cvt_f32_i32_e32 v178, v104
	v_add_u32_e32 v104, 0x4108, v144
	ds_read2_b32 v[104:105], v104 offset1:1
	v_add_u32_e32 v106, 0x4110, v144
	v_add_u32_e32 v168, 0x4120, v144
	v_dot4c_i32_i8_e32 v170, v167, v19
	v_add_u32_e32 v107, 0x4118, v144
	ds_read2_b32 v[164:165], v106 offset1:1
	ds_read2_b32 v[166:167], v107 offset1:1
	ds_read2_b32 v[168:169], v168 offset1:1
	s_waitcnt lgkmcnt(3)
	v_dot4c_i32_i8_e32 v170, v104, v20
	ds_read2_b32 v[106:107], v149 offset1:2
	v_dot4c_i32_i8_e32 v170, v105, v21
	s_waitcnt lgkmcnt(3)
	v_dot4c_i32_i8_e32 v170, v164, v14
	v_dot4c_i32_i8_e32 v170, v165, v15
	s_waitcnt lgkmcnt(2)
	v_dot4c_i32_i8_e32 v170, v166, v16
	v_dot4c_i32_i8_e32 v170, v167, v17
	s_waitcnt lgkmcnt(0)
	v_and_b32_e32 v104, 0xff, v106
	v_add_u32_e32 v164, 0x4130, v144
	v_add_u32_e32 v166, 0x4138, v144
	v_mul_lo_u32 v104, v170, v104
	v_cvt_f32_i32_e32 v181, v104
	v_add_u32_e32 v104, 0x4128, v144
	ds_read2_b32 v[104:105], v104 offset1:1
	v_mov_b32_e32 v170, 0
	v_dot4c_i32_i8_e32 v170, v168, v10
	v_add_u32_e32 v168, 0x6180, v144
	v_dot4c_i32_i8_e32 v170, v169, v11
	ds_read2_b32 v[164:165], v164 offset1:1
	ds_read2_b32 v[166:167], v166 offset1:1
	;; [unrolled: 1-line block ×3, first 2 shown]
	s_waitcnt lgkmcnt(3)
	v_dot4c_i32_i8_e32 v170, v104, v12
	v_dot4c_i32_i8_e32 v170, v105, v13
	s_waitcnt lgkmcnt(2)
	v_dot4c_i32_i8_e32 v170, v164, v6
	v_dot4c_i32_i8_e32 v170, v165, v7
	;; [unrolled: 3-line block ×3, first 2 shown]
	v_bfe_u32 v104, v106, 8, 8
	v_add_u32_e32 v105, 0x6198, v144
	v_mov_b32_e32 v190, 0
	v_mul_lo_u32 v104, v170, v104
	v_mov_b32_e32 v170, 0
	s_waitcnt lgkmcnt(0)
	v_dot4c_i32_i8_e32 v170, v168, v18
	v_add_u32_e32 v18, 0x6188, v144
	v_dot4c_i32_i8_e32 v170, v169, v19
	ds_read2_b32 v[18:19], v18 offset1:1
	v_cvt_f32_i32_e32 v183, v104
	v_add_u32_e32 v104, 0x6190, v144
	v_add_u32_e32 v168, 0x61a0, v144
	ds_read2_b32 v[164:165], v104 offset1:1
	ds_read2_b32 v[166:167], v105 offset1:1
	;; [unrolled: 1-line block ×3, first 2 shown]
	s_waitcnt lgkmcnt(3)
	v_dot4c_i32_i8_e32 v170, v18, v20
	ds_read2_b32 v[104:105], v151 offset1:2
	v_dot4c_i32_i8_e32 v170, v19, v21
	s_waitcnt lgkmcnt(3)
	v_dot4c_i32_i8_e32 v170, v164, v14
	v_mov_b32_e32 v18, 0
	v_dot4c_i32_i8_e32 v170, v165, v15
	s_waitcnt lgkmcnt(1)
	v_dot4c_i32_i8_e32 v18, v168, v10
	v_add_u32_e32 v10, 0x61a8, v144
	v_dot4c_i32_i8_e32 v170, v166, v16
	v_dot4c_i32_i8_e32 v18, v169, v11
	ds_read2_b32 v[10:11], v10 offset1:1
	v_dot4c_i32_i8_e32 v170, v167, v17
	s_waitcnt lgkmcnt(1)
	v_and_b32_e32 v14, 0xff, v104
	v_add_u32_e32 v16, 0x61b8, v144
	v_add_u32_e32 v19, 0x20c0, v144
	v_mul_lo_u32 v14, v170, v14
	v_cvt_f32_i32_e32 v186, v14
	v_add_u32_e32 v14, 0x61b0, v144
	ds_read2_b32 v[14:15], v14 offset1:1
	ds_read2_b32 v[16:17], v16 offset1:1
	;; [unrolled: 1-line block ×3, first 2 shown]
	s_waitcnt lgkmcnt(3)
	v_dot4c_i32_i8_e32 v18, v10, v12
	v_dot4c_i32_i8_e32 v18, v11, v13
	s_waitcnt lgkmcnt(2)
	v_dot4c_i32_i8_e32 v18, v14, v6
	v_dot4c_i32_i8_e32 v18, v15, v7
	s_waitcnt lgkmcnt(1)
	v_dot4c_i32_i8_e32 v18, v16, v8
	v_dot4c_i32_i8_e32 v18, v17, v9
	v_bfe_u32 v6, v104, 8, 8
	v_lshrrev_b32_e32 v163, 24, v102
	v_cvt_f32_ubyte0_e32 v177, v109
	v_mul_lo_u32 v6, v18, v6
	v_cvt_f32_i32_e32 v188, v6
	ds_read_b128 v[18:21], v141 offset:64
	ds_read_b128 v[14:17], v141 offset:80
	;; [unrolled: 1-line block ×4, first 2 shown]
	ds_read2_b32 v[166:167], v144 offset0:18 offset1:19
	s_waitcnt lgkmcnt(4)
	v_dot4c_i32_i8_e32 v190, v110, v18
	v_dot4c_i32_i8_e32 v190, v111, v19
	ds_read2_b32 v[110:111], v144 offset0:20 offset1:21
	ds_read2_b32 v[168:169], v144 offset0:22 offset1:23
	;; [unrolled: 1-line block ×3, first 2 shown]
	v_cvt_f32_ubyte0_e32 v182, v107
	s_waitcnt lgkmcnt(3)
	v_dot4c_i32_i8_e32 v190, v166, v20
	v_mov_b32_e32 v166, 0
	v_dot4c_i32_i8_e32 v190, v167, v21
	s_waitcnt lgkmcnt(0)
	v_dot4c_i32_i8_e32 v166, v170, v10
	v_dot4c_i32_i8_e32 v166, v171, v11
	;; [unrolled: 1-line block ×10, first 2 shown]
	v_cvt_f32_f16_e32 v155, v4
	v_cvt_f32_f16_sdwa v111, v4 dst_sel:DWORD dst_unused:UNUSED_PAD src0_sel:WORD_1
	v_and_b32_e32 v4, 0xff, v102
	v_bfe_u32 v156, v102, 16, 8
	v_dot4c_i32_i8_e32 v166, v158, v8
	v_mul_lo_u32 v4, v161, v4
	v_mul_lo_u32 v156, v190, v156
	v_dot4c_i32_i8_e32 v166, v159, v9
	v_cvt_f32_f16_e32 v154, v2
	v_cvt_f32_i32_e32 v159, v156
	v_cvt_f32_i32_e32 v158, v4
	v_bfe_u32 v102, v102, 8, 8
	v_mul_lo_u32 v102, v172, v102
	v_cvt_f32_f16_sdwa v110, v2 dst_sel:DWORD dst_unused:UNUSED_PAD src0_sel:WORD_1
	v_pk_fma_f32 v[158:159], v[154:155], v[158:159], 0 op_sel_hi:[1,1,0]
	v_mul_lo_u32 v154, v166, v163
	v_cvt_f32_f16_e32 v157, v5
	v_cvt_f32_f16_e32 v156, v3
	v_cvt_f32_i32_e32 v167, v154
	v_cvt_f32_i32_e32 v166, v102
	v_cvt_f32_f16_sdwa v5, v5 dst_sel:DWORD dst_unused:UNUSED_PAD src0_sel:WORD_1
	v_cvt_f32_f16_sdwa v4, v3 dst_sel:DWORD dst_unused:UNUSED_PAD src0_sel:WORD_1
	v_cvt_f32_ubyte2_e32 v169, v103
	v_cvt_f32_ubyte0_e32 v168, v103
	v_cvt_f32_ubyte0_e32 v187, v105
	v_pk_fma_f32 v[168:169], v[110:111], v[168:169], 0 op_sel_hi:[1,1,0]
	v_pk_fma_f32 v[158:159], v[156:157], v[166:167], v[158:159]
	v_cvt_f32_ubyte3_e32 v167, v103
	v_cvt_f32_ubyte1_e32 v166, v103
	v_fma_mix_f32 v154, v2, v181, 0 op_sel_hi:[1,0,0]
	v_cvt_f32_ubyte1_e32 v189, v105
	v_pk_fma_f32 v[102:103], v[4:5], v[166:167], v[168:169]
	v_fma_mix_f32 v4, v2, v176, 0 op_sel_hi:[1,0,0]
	v_fma_mix_f32 v110, v2, v177, 0 op_sel:[1,0,0] op_sel_hi:[1,0,0]
	v_fma_mix_f32 v156, v2, v182, 0 op_sel:[1,0,0] op_sel_hi:[1,0,0]
	v_fma_mix_f32 v166, v3, v183, v154 op_sel_hi:[1,0,0]
	v_fma_mix_f32 v154, v2, v186, 0 op_sel_hi:[1,0,0]
	v_fma_mix_f32 v2, v2, v187, 0 op_sel:[1,0,0] op_sel_hi:[1,0,0]
	v_cvt_f32_ubyte1_e32 v179, v109
	v_cvt_f32_ubyte1_e32 v184, v107
	v_fma_mix_f32 v169, v3, v189, v2 op_sel:[1,0,0] op_sel_hi:[1,0,0]
	v_add_u32_e32 v2, 0x20c8, v144
	v_fma_mix_f32 v4, v3, v178, v4 op_sel_hi:[1,0,0]
	v_fma_mix_f32 v110, v3, v179, v110 op_sel:[1,0,0] op_sel_hi:[1,0,0]
	v_fma_mix_f32 v167, v3, v184, v156 op_sel:[1,0,0] op_sel_hi:[1,0,0]
	v_fma_mix_f32 v168, v3, v188, v154 op_sel_hi:[1,0,0]
	ds_read2_b32 v[2:3], v2 offset1:1
	v_pk_mul_f32 v[102:103], v[102:103], v[162:163] op_sel_hi:[1,0]
	v_mov_b32_e32 v154, 0
	v_pk_fma_f32 v[102:103], v[158:159], v[160:161], v[102:103] op_sel_hi:[1,0,1] neg_lo:[0,0,1] neg_hi:[0,0,1]
	v_dot4c_i32_i8_e32 v154, v164, v18
	v_add_u32_e32 v156, 0x20d0, v144
	v_add_u32_e32 v160, 0x20d8, v144
	;; [unrolled: 1-line block ×3, first 2 shown]
	v_dot4c_i32_i8_e32 v154, v165, v19
	ds_read2_b32 v[158:159], v156 offset1:1
	ds_read2_b32 v[160:161], v160 offset1:1
	ds_read2_b32 v[162:163], v162 offset1:1
	s_waitcnt lgkmcnt(3)
	v_dot4c_i32_i8_e32 v154, v2, v20
	v_dot4c_i32_i8_e32 v154, v3, v21
	s_waitcnt lgkmcnt(2)
	v_dot4c_i32_i8_e32 v154, v158, v14
	v_dot4c_i32_i8_e32 v154, v159, v15
	;; [unrolled: 3-line block ×3, first 2 shown]
	v_bfe_u32 v2, v108, 16, 8
	v_lshrrev_b32_e32 v175, 24, v108
	v_mov_b32_e32 v108, 0
	v_mul_lo_u32 v2, v154, v2
	v_add_u32_e32 v154, 0x20e8, v144
	ds_read2_b32 v[158:159], v154 offset1:1
	s_waitcnt lgkmcnt(1)
	v_dot4c_i32_i8_e32 v108, v162, v10
	v_add_u32_e32 v156, 0x20f0, v144
	v_add_u32_e32 v162, 0x20f8, v144
	v_dot4c_i32_i8_e32 v108, v163, v11
	v_add_u32_e32 v154, 0x4140, v144
	ds_read2_b32 v[160:161], v156 offset1:1
	ds_read2_b32 v[162:163], v162 offset1:1
	ds_read2_b32 v[164:165], v154 offset1:1
	s_waitcnt lgkmcnt(3)
	v_dot4c_i32_i8_e32 v108, v158, v12
	v_dot4c_i32_i8_e32 v108, v159, v13
	s_waitcnt lgkmcnt(2)
	v_dot4c_i32_i8_e32 v108, v160, v6
	v_dot4c_i32_i8_e32 v108, v161, v7
	s_waitcnt lgkmcnt(1)
	v_dot4c_i32_i8_e32 v108, v162, v8
	v_cvt_f32_f16_sdwa v159, v173 dst_sel:DWORD dst_unused:UNUSED_PAD src0_sel:WORD_1
	v_dot4c_i32_i8_e32 v108, v163, v9
	v_cvt_f32_i32_e32 v2, v2
	v_cvt_f32_f16_e32 v158, v173
	v_mul_f32_e32 v110, v110, v159
	v_mul_lo_u32 v108, v108, v175
	v_cvt_f32_i32_e32 v108, v108
	v_cvt_f32_ubyte2_e32 v3, v109
	v_fma_mix_f32 v161, v4, v173, -v110 op_sel_hi:[0,1,0]
	v_mov_b32_e32 v110, v155
	v_cvt_f32_ubyte3_e32 v109, v109
	v_pk_fma_f32 v[2:3], v[110:111], v[2:3], 0 op_sel_hi:[1,1,0]
	v_mov_b32_e32 v4, v157
	v_pk_fma_f32 v[2:3], v[4:5], v[108:109], v[2:3]
	v_pk_mul_f32 v[108:109], v[2:3], v[158:159]
	v_mov_b32_e32 v109, v108
	v_mov_b32_e32 v160, v102
	v_pk_fma_f32 v[2:3], v[2:3], v[158:159], v[108:109] neg_lo:[1,0,0] neg_hi:[1,0,0]
	v_pk_add_f32 v[90:91], v[90:91], v[160:161]
	v_mov_b32_e32 v2, v103
	v_pk_add_f32 v[90:91], v[90:91], v[2:3]
	v_add_u32_e32 v2, 0x4148, v144
	ds_read2_b32 v[2:3], v2 offset1:1
	v_mov_b32_e32 v156, 0
	s_waitcnt lgkmcnt(1)
	v_dot4c_i32_i8_e32 v156, v164, v18
	v_add_u32_e32 v102, 0x4150, v144
	v_add_u32_e32 v108, 0x4158, v144
	;; [unrolled: 1-line block ×3, first 2 shown]
	v_dot4c_i32_i8_e32 v156, v165, v19
	ds_read2_b32 v[102:103], v102 offset1:1
	ds_read2_b32 v[108:109], v108 offset1:1
	;; [unrolled: 1-line block ×3, first 2 shown]
	s_waitcnt lgkmcnt(3)
	v_dot4c_i32_i8_e32 v156, v2, v20
	v_dot4c_i32_i8_e32 v156, v3, v21
	s_waitcnt lgkmcnt(2)
	v_dot4c_i32_i8_e32 v156, v102, v14
	v_add_u32_e32 v102, 0x4168, v144
	v_dot4c_i32_i8_e32 v156, v103, v15
	ds_read2_b32 v[102:103], v102 offset1:1
	s_waitcnt lgkmcnt(2)
	v_dot4c_i32_i8_e32 v156, v108, v16
	v_lshrrev_b32_e32 v180, 24, v106
	v_dot4c_i32_i8_e32 v156, v109, v17
	v_bfe_u32 v2, v106, 16, 8
	v_mov_b32_e32 v106, 0
	s_waitcnt lgkmcnt(1)
	v_dot4c_i32_i8_e32 v106, v154, v10
	v_mul_lo_u32 v2, v156, v2
	v_add_u32_e32 v108, 0x4170, v144
	v_add_u32_e32 v154, 0x4178, v144
	;; [unrolled: 1-line block ×3, first 2 shown]
	v_dot4c_i32_i8_e32 v106, v155, v11
	ds_read2_b32 v[108:109], v108 offset1:1
	ds_read2_b32 v[154:155], v154 offset1:1
	;; [unrolled: 1-line block ×3, first 2 shown]
	s_waitcnt lgkmcnt(3)
	v_dot4c_i32_i8_e32 v106, v102, v12
	v_dot4c_i32_i8_e32 v106, v103, v13
	s_waitcnt lgkmcnt(2)
	v_dot4c_i32_i8_e32 v106, v108, v6
	v_dot4c_i32_i8_e32 v106, v109, v7
	;; [unrolled: 3-line block ×3, first 2 shown]
	v_cvt_f32_i32_e32 v2, v2
	v_cvt_f32_f16_sdwa v103, v174 dst_sel:DWORD dst_unused:UNUSED_PAD src0_sel:WORD_1
	v_cvt_f32_ubyte2_e32 v3, v107
	v_mul_lo_u32 v102, v106, v180
	v_cvt_f32_i32_e32 v106, v102
	v_cvt_f32_f16_e32 v102, v174
	v_cvt_f32_ubyte3_e32 v107, v107
	v_pk_fma_f32 v[2:3], v[110:111], v[2:3], 0 op_sel_hi:[1,1,0]
	v_mul_f32_e32 v108, v167, v103
	v_pk_fma_f32 v[2:3], v[4:5], v[106:107], v[2:3]
	v_fma_mix_f32 v108, v166, v174, -v108 op_sel_hi:[0,1,0]
	v_pk_mul_f32 v[2:3], v[2:3], v[102:103]
	v_add_f32_e32 v108, v112, v108
	v_sub_f32_e32 v2, v2, v3
	v_add_f32_e32 v112, v108, v2
	v_add_u32_e32 v2, 0x61c8, v144
	ds_read2_b32 v[2:3], v2 offset1:1
	v_mov_b32_e32 v108, 0
	s_waitcnt lgkmcnt(1)
	v_dot4c_i32_i8_e32 v108, v156, v18
	v_add_u32_e32 v18, 0x61d0, v144
	v_add_u32_e32 v102, 0x61d8, v144
	;; [unrolled: 1-line block ×3, first 2 shown]
	v_dot4c_i32_i8_e32 v108, v157, v19
	ds_read2_b32 v[18:19], v18 offset1:1
	ds_read2_b32 v[102:103], v102 offset1:1
	;; [unrolled: 1-line block ×3, first 2 shown]
	s_waitcnt lgkmcnt(3)
	v_dot4c_i32_i8_e32 v108, v2, v20
	v_dot4c_i32_i8_e32 v108, v3, v21
	s_waitcnt lgkmcnt(2)
	v_dot4c_i32_i8_e32 v108, v18, v14
	v_mov_b32_e32 v18, 0
	s_waitcnt lgkmcnt(0)
	v_dot4c_i32_i8_e32 v18, v106, v10
	v_add_u32_e32 v10, 0x61e8, v144
	v_dot4c_i32_i8_e32 v18, v107, v11
	ds_read2_b32 v[10:11], v10 offset1:1
	v_add_u32_e32 v14, 0x61f0, v144
	v_dot4c_i32_i8_e32 v108, v19, v15
	ds_read2_b32 v[14:15], v14 offset1:1
	v_dot4c_i32_i8_e32 v108, v102, v16
	v_add_u32_e32 v16, 0x61f8, v144
	v_dot4c_i32_i8_e32 v108, v103, v17
	ds_read2_b32 v[16:17], v16 offset1:1
	s_waitcnt lgkmcnt(2)
	v_dot4c_i32_i8_e32 v18, v10, v12
	v_dot4c_i32_i8_e32 v18, v11, v13
	s_waitcnt lgkmcnt(1)
	v_dot4c_i32_i8_e32 v18, v14, v6
	v_dot4c_i32_i8_e32 v18, v15, v7
	v_bfe_u32 v2, v104, 16, 8
	s_waitcnt lgkmcnt(0)
	v_dot4c_i32_i8_e32 v18, v16, v8
	v_lshrrev_b32_e32 v185, 24, v104
	v_mul_lo_u32 v2, v108, v2
	v_dot4c_i32_i8_e32 v18, v17, v9
	v_cvt_f32_i32_e32 v2, v2
	v_cvt_f32_f16_sdwa v7, v153 dst_sel:DWORD dst_unused:UNUSED_PAD src0_sel:WORD_1
	v_cvt_f32_ubyte2_e32 v3, v105
	v_mul_lo_u32 v6, v18, v185
	v_cvt_f32_i32_e32 v8, v6
	v_cvt_f32_f16_e32 v6, v153
	v_cvt_f32_ubyte3_e32 v9, v105
	v_pk_fma_f32 v[2:3], v[110:111], v[2:3], 0 op_sel_hi:[1,1,0]
	v_mul_f32_e32 v10, v169, v7
	v_pk_fma_f32 v[2:3], v[4:5], v[8:9], v[2:3]
	v_fma_mix_f32 v10, v168, v153, -v10 op_sel_hi:[0,1,0]
	v_pk_mul_f32 v[2:3], v[2:3], v[6:7]
	v_add_f32_e32 v10, v79, v10
	v_sub_f32_e32 v2, v2, v3
	v_add_f32_e32 v79, v10, v2
	s_cmp_ge_i32 s12, s19
	s_barrier
	s_cbranch_scc1 .LBB233_5
; %bb.13:                               ;   in Loop: Header=BB233_6 Depth=1
	v_cmp_gt_i32_e32 vcc, s9, v146
	s_and_b64 s[22:23], s[2:3], vcc
	s_and_saveexec_b64 s[4:5], s[22:23]
	s_cbranch_execz .LBB233_15
; %bb.14:                               ;   in Loop: Header=BB233_6 Depth=1
	v_add_u32_e32 v2, v24, v146
	v_mad_i64_i32 v[2:3], s[22:23], v2, 36, v[22:23]
	global_load_dword v2, v[2:3], off offset:4
	s_waitcnt vmcnt(0)
	ds_write_b32 v138, v2
.LBB233_15:                             ;   in Loop: Header=BB233_6 Depth=1
	s_or_b64 exec, exec, s[4:5]
	s_and_saveexec_b64 s[4:5], s[0:1]
	s_cbranch_execz .LBB233_4
; %bb.16:                               ;   in Loop: Header=BB233_6 Depth=1
	v_add_u32_e32 v2, 4, v114
	v_cmp_gt_i32_e32 vcc, s9, v2
	s_and_b64 s[22:23], s[2:3], vcc
	s_and_b64 exec, exec, s[22:23]
	s_cbranch_execz .LBB233_4
; %bb.17:                               ;   in Loop: Header=BB233_6 Depth=1
	v_ashrrev_i32_e32 v2, 31, v114
	v_add_co_u32_e32 v3, vcc, v24, v114
	v_addc_co_u32_e32 v4, vcc, v1, v2, vcc
	v_mad_u64_u32 v[2:3], s[22:23], v3, 36, s[6:7]
	v_mad_i32_i24 v3, v4, 36, v3
	global_load_dword v2, v[2:3], off
	s_waitcnt vmcnt(0)
	ds_write_b32 v139, v2
	s_branch .LBB233_4
.LBB233_18:
	v_mov_b32_e32 v112, 0
	v_mov_b32_e32 v91, 0
	v_mov_b32_e32 v90, 0
.LBB233_19:
	s_mul_i32 s0, s11, s8
	s_waitcnt vmcnt(0)
	v_cmp_gt_i32_e32 vcc, s0, v113
	s_and_saveexec_b64 s[0:1], vcc
	s_cbranch_execz .LBB233_28
; %bb.20:
	v_and_b32_e32 v0, 0x3ff, v0
	v_add_u32_e32 v1, s24, v0
	v_mul_lo_u32 v0, v113, s10
	v_cmp_gt_u32_e32 vcc, s10, v1
	s_and_saveexec_b64 s[0:1], vcc
	s_cbranch_execz .LBB233_22
; %bb.21:
	v_bfe_u32 v2, v90, 16, 1
	s_movk_i32 s2, 0x7fff
	v_add3_u32 v2, v90, v2, s2
	v_lshrrev_b32_e32 v2, 16, v2
	v_mov_b32_e32 v3, 0x7fc0
	v_cmp_o_f32_e32 vcc, v90, v90
	v_cndmask_b32_e32 v4, v3, v2, vcc
	v_add_u32_e32 v2, v0, v1
	v_mov_b32_e32 v3, 0
	v_lshlrev_b64 v[2:3], 1, v[2:3]
	v_mov_b32_e32 v5, s17
	v_add_co_u32_e32 v2, vcc, s16, v2
	v_addc_co_u32_e32 v3, vcc, v5, v3, vcc
	global_store_short v[2:3], v4, off
.LBB233_22:
	s_or_b64 exec, exec, s[0:1]
	v_add_u32_e32 v2, 32, v1
	v_cmp_gt_u32_e32 vcc, s10, v2
	s_and_saveexec_b64 s[0:1], vcc
	s_cbranch_execz .LBB233_24
; %bb.23:
	v_bfe_u32 v3, v91, 16, 1
	s_movk_i32 s2, 0x7fff
	v_add3_u32 v3, v91, v3, s2
	v_lshrrev_b32_e32 v3, 16, v3
	v_mov_b32_e32 v4, 0x7fc0
	v_cmp_o_f32_e32 vcc, v91, v91
	v_cndmask_b32_e32 v4, v4, v3, vcc
	v_add_u32_e32 v2, v0, v2
	v_mov_b32_e32 v3, 0
	v_lshlrev_b64 v[2:3], 1, v[2:3]
	v_mov_b32_e32 v5, s17
	v_add_co_u32_e32 v2, vcc, s16, v2
	v_addc_co_u32_e32 v3, vcc, v5, v3, vcc
	global_store_short v[2:3], v4, off
.LBB233_24:
	s_or_b64 exec, exec, s[0:1]
	v_add_u32_e32 v2, 64, v1
	;; [unrolled: 21-line block ×3, first 2 shown]
	v_cmp_gt_u32_e32 vcc, s10, v1
	s_and_b64 exec, exec, vcc
	s_cbranch_execz .LBB233_28
; %bb.27:
	v_bfe_u32 v2, v79, 16, 1
	s_movk_i32 s0, 0x7fff
	v_add3_u32 v2, v79, v2, s0
	v_add_u32_e32 v0, v0, v1
	v_mov_b32_e32 v1, 0
	v_lshrrev_b32_e32 v2, 16, v2
	v_mov_b32_e32 v3, 0x7fc0
	v_cmp_o_f32_e32 vcc, v79, v79
	v_lshlrev_b64 v[0:1], 1, v[0:1]
	v_cndmask_b32_e32 v2, v3, v2, vcc
	v_mov_b32_e32 v3, s17
	v_add_co_u32_e32 v0, vcc, s16, v0
	v_addc_co_u32_e32 v1, vcc, v3, v1, vcc
	global_store_short v[0:1], v2, off
.LBB233_28:
	s_endpgm
	.section	.rodata,"a",@progbits
	.p2align	6, 0x0
	.amdhsa_kernel _ZL8moe_q5_KIN3c108BFloat16ELb0EEvPKvS3_PT_PKiS7_S7_iiiiiii
		.amdhsa_group_segment_fixed_size 37072
		.amdhsa_private_segment_fixed_size 0
		.amdhsa_kernarg_size 76
		.amdhsa_user_sgpr_count 6
		.amdhsa_user_sgpr_private_segment_buffer 1
		.amdhsa_user_sgpr_dispatch_ptr 0
		.amdhsa_user_sgpr_queue_ptr 0
		.amdhsa_user_sgpr_kernarg_segment_ptr 1
		.amdhsa_user_sgpr_dispatch_id 0
		.amdhsa_user_sgpr_flat_scratch_init 0
		.amdhsa_user_sgpr_kernarg_preload_length 0
		.amdhsa_user_sgpr_kernarg_preload_offset 0
		.amdhsa_user_sgpr_private_segment_size 0
		.amdhsa_uses_dynamic_stack 0
		.amdhsa_system_sgpr_private_segment_wavefront_offset 0
		.amdhsa_system_sgpr_workgroup_id_x 1
		.amdhsa_system_sgpr_workgroup_id_y 1
		.amdhsa_system_sgpr_workgroup_id_z 0
		.amdhsa_system_sgpr_workgroup_info 0
		.amdhsa_system_vgpr_workitem_id 1
		.amdhsa_next_free_vgpr 191
		.amdhsa_next_free_sgpr 28
		.amdhsa_accum_offset 192
		.amdhsa_reserve_vcc 1
		.amdhsa_reserve_flat_scratch 0
		.amdhsa_float_round_mode_32 0
		.amdhsa_float_round_mode_16_64 0
		.amdhsa_float_denorm_mode_32 3
		.amdhsa_float_denorm_mode_16_64 3
		.amdhsa_dx10_clamp 1
		.amdhsa_ieee_mode 1
		.amdhsa_fp16_overflow 0
		.amdhsa_tg_split 0
		.amdhsa_exception_fp_ieee_invalid_op 0
		.amdhsa_exception_fp_denorm_src 0
		.amdhsa_exception_fp_ieee_div_zero 0
		.amdhsa_exception_fp_ieee_overflow 0
		.amdhsa_exception_fp_ieee_underflow 0
		.amdhsa_exception_fp_ieee_inexact 0
		.amdhsa_exception_int_div_zero 0
	.end_amdhsa_kernel
	.section	.text._ZL8moe_q5_KIN3c108BFloat16ELb0EEvPKvS3_PT_PKiS7_S7_iiiiiii,"axG",@progbits,_ZL8moe_q5_KIN3c108BFloat16ELb0EEvPKvS3_PT_PKiS7_S7_iiiiiii,comdat
.Lfunc_end233:
	.size	_ZL8moe_q5_KIN3c108BFloat16ELb0EEvPKvS3_PT_PKiS7_S7_iiiiiii, .Lfunc_end233-_ZL8moe_q5_KIN3c108BFloat16ELb0EEvPKvS3_PT_PKiS7_S7_iiiiiii
                                        ; -- End function
	.section	.AMDGPU.csdata,"",@progbits
; Kernel info:
; codeLenInByte = 11272
; NumSgprs: 32
; NumVgprs: 191
; NumAgprs: 0
; TotalNumVgprs: 191
; ScratchSize: 0
; MemoryBound: 0
; FloatMode: 240
; IeeeMode: 1
; LDSByteSize: 37072 bytes/workgroup (compile time only)
; SGPRBlocks: 3
; VGPRBlocks: 23
; NumSGPRsForWavesPerEU: 32
; NumVGPRsForWavesPerEU: 191
; AccumOffset: 192
; Occupancy: 1
; WaveLimiterHint : 1
; COMPUTE_PGM_RSRC2:SCRATCH_EN: 0
; COMPUTE_PGM_RSRC2:USER_SGPR: 6
; COMPUTE_PGM_RSRC2:TRAP_HANDLER: 0
; COMPUTE_PGM_RSRC2:TGID_X_EN: 1
; COMPUTE_PGM_RSRC2:TGID_Y_EN: 1
; COMPUTE_PGM_RSRC2:TGID_Z_EN: 0
; COMPUTE_PGM_RSRC2:TIDIG_COMP_CNT: 1
; COMPUTE_PGM_RSRC3_GFX90A:ACCUM_OFFSET: 47
; COMPUTE_PGM_RSRC3_GFX90A:TG_SPLIT: 0
	.section	.text._ZL8moe_q5_KIN3c108BFloat16ELb1EEvPKvS3_PT_PKiS7_S7_iiiiiii,"axG",@progbits,_ZL8moe_q5_KIN3c108BFloat16ELb1EEvPKvS3_PT_PKiS7_S7_iiiiiii,comdat
	.globl	_ZL8moe_q5_KIN3c108BFloat16ELb1EEvPKvS3_PT_PKiS7_S7_iiiiiii ; -- Begin function _ZL8moe_q5_KIN3c108BFloat16ELb1EEvPKvS3_PT_PKiS7_S7_iiiiiii
	.p2align	8
	.type	_ZL8moe_q5_KIN3c108BFloat16ELb1EEvPKvS3_PT_PKiS7_S7_iiiiiii,@function
_ZL8moe_q5_KIN3c108BFloat16ELb1EEvPKvS3_PT_PKiS7_S7_iiiiiii: ; @_ZL8moe_q5_KIN3c108BFloat16ELb1EEvPKvS3_PT_PKiS7_S7_iiiiiii
; %bb.0:
	s_load_dwordx4 s[0:3], s[4:5], 0x18
	s_mov_b32 s8, s7
	s_mov_b32 s9, 0
	s_lshl_b64 s[10:11], s[8:9], 2
	s_waitcnt lgkmcnt(0)
	s_add_u32 s2, s2, s10
	s_addc_u32 s3, s3, s11
	s_load_dword s2, s[2:3], 0x0
	s_waitcnt lgkmcnt(0)
	s_cmpk_gt_u32 s2, 0xff
	s_cbranch_scc1 .LBB234_28
; %bb.1:
	s_load_dwordx2 s[10:11], s[4:5], 0x28
	s_lshl_b32 s3, s8, 3
	s_waitcnt lgkmcnt(0)
	s_load_dword s7, s[10:11], 0x0
	s_waitcnt lgkmcnt(0)
	s_cmp_gt_u32 s3, s7
	s_cbranch_scc1 .LBB234_28
; %bb.2:
	v_bfe_u32 v1, v0, 10, 10
	v_add_u32_e32 v78, s3, v1
	v_mov_b32_e32 v79, 0
	v_lshlrev_b64 v[2:3], 2, v[78:79]
	v_mov_b32_e32 v4, s1
	v_add_co_u32_e32 v2, vcc, s0, v2
	v_addc_co_u32_e32 v3, vcc, v4, v3, vcc
	global_load_dword v101, v[2:3], off
	s_load_dwordx8 s[8:15], s[4:5], 0x30
	s_load_dwordx2 s[20:21], s[4:5], 0x10
	s_waitcnt lgkmcnt(0)
	s_lshl_b32 s15, s6, 7
	s_mov_b32 s22, 0
	s_cmpk_lt_i32 s9, 0x100
	s_cbranch_scc1 .LBB234_18
; %bb.3:
	s_ashr_i32 s0, s9, 31
	s_lshr_b32 s0, s0, 24
	s_add_i32 s0, s9, s0
	s_ashr_i32 s26, s0, 8
	s_ashr_i32 s0, s12, 31
	s_lshr_b32 s0, s0, 27
	s_add_i32 s0, s12, s0
	v_and_b32_e32 v103, 0x3ff, v0
	s_ashr_i32 s12, s0, 5
	s_not_b32 s0, s15
	v_lshlrev_b32_e32 v2, 1, v103
	v_and_b32_e32 v8, 7, v103
	s_mul_i32 s8, s2, s8
	s_add_i32 s2, s0, s10
	v_and_or_b32 v2, v2, 48, v8
	v_lshlrev_b32_e32 v3, 2, v103
	v_min_i32_e32 v8, s2, v1
	v_lshlrev_b32_e32 v2, 2, v2
	s_movk_i32 s3, 0x104
	v_mul_lo_u32 v9, v8, s26
	v_mad_u64_u32 v[22:23], s[0:1], v8, s3, v[2:3]
	v_add_u32_e32 v8, 8, v1
	v_min_i32_e32 v8, s2, v8
	v_mul_lo_u32 v10, v8, s26
	v_mad_u64_u32 v[24:25], s[0:1], v8, s3, v[2:3]
	v_add_u32_e32 v8, 16, v1
	v_min_i32_e32 v8, s2, v8
	;; [unrolled: 4-line block ×15, first 2 shown]
	v_mad_u64_u32 v[52:53], s[0:1], v8, s3, v[2:3]
	v_lshlrev_b32_e32 v2, 5, v1
	v_mul_lo_u32 v87, v8, s26
	v_add_u32_e32 v8, v2, v103
	v_and_b32_e32 v23, 0x7f, v8
	v_min_i32_e32 v23, s2, v23
	v_ashrrev_i32_e32 v25, 31, v23
	v_lshrrev_b32_e32 v25, 27, v25
	v_add_u32_e32 v25, v23, v25
	v_ashrrev_i32_e32 v25, 5, v25
	v_mul_lo_u32 v91, v23, s26
	v_lshlrev_b32_e32 v25, 2, v25
	v_lshlrev_b32_e32 v23, 2, v23
	s_mov_b32 s3, 0x8e40
	v_add3_u32 v109, v25, v23, s3
	v_and_b32_e32 v23, 3, v103
	v_add_u32_e32 v25, 0xfe, v23
	v_cmp_gt_u32_e32 vcc, 2, v23
	v_lshrrev_b32_e32 v5, 2, v103
	v_cndmask_b32_e32 v25, v25, v23, vcc
	v_and_b32_e32 v105, 6, v5
	v_lshl_add_u32 v5, v1, 3, v5
	v_and_b32_e32 v25, 0xff, v25
	v_cmp_ne_u32_e32 vcc, 0, v23
	v_addc_co_u32_e32 v93, vcc, 0, v25, vcc
	v_and_b32_e32 v5, 0x7f, v5
	v_and_b32_e32 v27, 4, v3
	v_cmp_lt_u32_e32 vcc, 1, v23
	v_lshlrev_b32_e32 v113, 1, v25
	v_min_i32_e32 v25, s2, v5
	v_cndmask_b32_e32 v111, 0, v27, vcc
	v_ashrrev_i32_e32 v27, 31, v25
	v_xor_b32_e32 v5, 64, v5
	v_lshrrev_b32_e32 v27, 29, v27
	v_min_i32_e32 v5, s2, v5
	s_load_dwordx4 s[16:19], s[4:5], 0x0
	v_mul_lo_u32 v95, v25, s26
	v_add_u32_e32 v27, v25, v27
	v_lshlrev_b32_e32 v135, 4, v25
	v_ashrrev_i32_e32 v25, 31, v5
	v_lshrrev_b32_e32 v25, 29, v25
	v_add_u32_e32 v25, v5, v25
	v_ashrrev_i32_e32 v27, 3, v27
	v_ashrrev_i32_e32 v25, 3, v25
	v_and_b32_e32 v7, 28, v3
	v_lshlrev_b32_e32 v27, 2, v27
	v_lshlrev_b32_e32 v23, 2, v23
	s_mov_b32 s0, 0x8200
	v_lshlrev_b32_e32 v25, 2, v25
	v_add3_u32 v134, v27, v23, s0
	v_mul_lo_u32 v97, v5, s26
	v_add3_u32 v136, v25, v23, s0
	v_lshlrev_b32_e32 v137, 4, v5
	s_waitcnt lgkmcnt(0)
	v_mov_b32_e32 v5, s19
	v_add_co_u32_e64 v54, s[0:1], s18, v7
	v_and_or_b32 v2, v103, 31, v2
	v_addc_co_u32_e64 v55, s[0:1], 0, v5, s[0:1]
	v_mov_b32_e32 v5, 0x8a40
	s_movk_i32 s2, 0xffe4
	v_lshl_add_u32 v115, v2, 2, v5
	v_mad_i32_i24 v2, v1, s2, v8
	v_mov_b32_e32 v8, 0x9050
	v_lshrrev_b32_e32 v119, 3, v103
	v_lshrrev_b32_e32 v4, 5, v103
	v_lshl_add_u32 v117, v2, 2, v8
	v_lshl_add_u32 v121, v1, 7, v5
	v_lshlrev_b32_e32 v127, 4, v1
	v_add_u32_e32 v1, v119, v3
	v_mov_b32_e32 v2, 0x8200
	v_lshl_add_u32 v129, v1, 2, v2
	v_lshlrev_b32_e32 v1, 2, v4
	v_add3_u32 v133, v1, v3, s3
	v_add_u32_e32 v1, 32, v103
	v_lshrrev_b32_e32 v144, 3, v1
	v_lshl_add_u32 v1, v1, 2, v144
	v_lshl_add_u32 v145, v1, 2, v2
	v_and_b32_e32 v1, 60, v144
	v_add3_u32 v146, v3, v1, s3
	v_add_u32_e32 v1, 64, v103
	v_lshrrev_b32_e32 v5, 3, v1
	v_lshl_add_u32 v1, v1, 2, v5
	s_abs_i32 s4, s14
	v_lshl_add_u32 v147, v1, 2, v2
	v_and_b32_e32 v1, 60, v5
	v_cvt_f32_u32_e32 v8, s4
	v_add3_u32 v148, v3, v1, s3
	v_add_u32_e32 v1, 0x60, v103
	v_lshrrev_b32_e32 v5, 3, v1
	v_lshl_add_u32 v1, v1, 2, v5
	v_lshl_add_u32 v149, v1, 2, v2
	v_rcp_iflag_f32_e32 v2, v8
	s_sub_i32 s2, 0, s4
	v_and_b32_e32 v1, 60, v5
	v_and_b32_e32 v6, 0x7c, v3
	v_mul_f32_e32 v2, 0x4f7ffffe, v2
	v_cvt_u32_f32_e32 v2, v2
	v_add3_u32 v150, v3, v1, s3
	s_waitcnt vmcnt(0)
	v_sub_u32_e32 v3, 0, v101
	v_max_i32_e32 v3, v101, v3
	v_mul_lo_u32 v5, s2, v2
	v_mul_hi_u32 v5, v2, v5
	v_add_u32_e32 v2, v2, v5
	v_mul_hi_u32 v2, v3, v2
	v_mul_lo_u32 v5, v2, s4
	v_sub_u32_e32 v3, v3, v5
	v_add_u32_e32 v5, 1, v2
	v_cmp_le_u32_e64 s[2:3], s4, v3
	v_cndmask_b32_e64 v2, v2, v5, s[2:3]
	v_subrev_u32_e32 v5, s4, v3
	v_cndmask_b32_e64 v3, v3, v5, s[2:3]
	v_xor_b32_e32 v1, s14, v101
	v_add_u32_e32 v5, 1, v2
	v_cmp_le_u32_e64 s[2:3], s4, v3
	s_mul_i32 s23, s26, s15
	v_ashrrev_i32_e32 v1, 31, v1
	v_cndmask_b32_e64 v2, v2, v5, s[2:3]
	v_xor_b32_e32 v2, v2, v1
	s_mul_hi_i32 s25, s23, 0xb0
	s_mul_i32 s24, s23, 0xb0
	v_sub_u32_e32 v1, v2, v1
	s_movk_i32 s10, 0xb0
	v_pk_mov_b32 v[2:3], s[24:25], s[24:25] op_sel:[0,1]
	v_mad_u64_u32 v[2:3], s[4:5], v4, s10, v[2:3]
	v_mad_i64_i32 v[4:5], s[4:5], v9, s10, v[2:3]
	v_add_co_u32_e64 v8, s[4:5], v4, v7
	v_addc_co_u32_e64 v9, s[4:5], 0, v5, s[4:5]
	v_mov_b32_e32 v122, s17
	v_add_co_u32_e64 v8, s[4:5], s16, v8
	v_addc_co_u32_e64 v9, s[4:5], v9, v122, s[4:5]
	v_add_co_u32_e64 v58, s[4:5], 16, v8
	v_addc_co_u32_e64 v23, s[4:5], 0, v9, s[4:5]
	v_add_co_u32_e64 v4, s[4:5], v4, v6
	v_addc_co_u32_e64 v5, s[4:5], 0, v5, s[4:5]
	v_add_co_u32_e64 v4, s[4:5], s16, v4
	v_addc_co_u32_e64 v5, s[4:5], v5, v122, s[4:5]
	v_add_co_u32_e64 v60, s[4:5], 48, v4
	v_addc_co_u32_e64 v25, s[4:5], 0, v5, s[4:5]
	v_mad_i64_i32 v[4:5], s[4:5], v10, s10, v[2:3]
	v_add_co_u32_e64 v8, s[4:5], v4, v7
	v_addc_co_u32_e64 v9, s[4:5], 0, v5, s[4:5]
	v_add_co_u32_e64 v8, s[4:5], s16, v8
	v_addc_co_u32_e64 v9, s[4:5], v9, v122, s[4:5]
	v_add_co_u32_e64 v62, s[4:5], 16, v8
	v_addc_co_u32_e64 v27, s[4:5], 0, v9, s[4:5]
	v_add_co_u32_e64 v4, s[4:5], v4, v6
	v_addc_co_u32_e64 v5, s[4:5], 0, v5, s[4:5]
	v_add_co_u32_e64 v4, s[4:5], s16, v4
	v_addc_co_u32_e64 v5, s[4:5], v5, v122, s[4:5]
	v_add_co_u32_e64 v64, s[4:5], 48, v4
	v_addc_co_u32_e64 v29, s[4:5], 0, v5, s[4:5]
	v_mad_i64_i32 v[4:5], s[4:5], v11, s10, v[2:3]
	v_add_co_u32_e64 v8, s[4:5], v4, v7
	v_addc_co_u32_e64 v9, s[4:5], 0, v5, s[4:5]
	;; [unrolled: 13-line block ×15, first 2 shown]
	v_add_co_u32_e64 v4, s[4:5], s16, v4
	v_addc_co_u32_e64 v5, s[4:5], v5, v122, s[4:5]
	v_add_co_u32_e64 v118, s[4:5], 16, v4
	v_addc_co_u32_e64 v87, s[4:5], 0, v5, s[4:5]
	;; [unrolled: 2-line block ×3, first 2 shown]
	v_add_co_u32_e64 v2, s[4:5], s16, v2
	s_ashr_i32 s27, s8, 31
	v_addc_co_u32_e64 v3, s[4:5], v3, v122, s[4:5]
	s_add_u32 s6, s18, 0x90
	v_add_co_u32_e64 v120, s[4:5], 48, v2
	s_addc_u32 s7, s19, 0
	v_addc_co_u32_e64 v89, s[4:5], 0, v3, s[4:5]
	s_add_u32 s4, s16, s24
	s_addc_u32 s5, s17, s25
	v_pk_mov_b32 v[2:3], s[4:5], s[4:5] op_sel:[0,1]
	v_mad_i64_i32 v[124:125], s[4:5], v91, s10, v[2:3]
	v_mad_i64_i32 v[2:3], s[4:5], v95, s10, 0
	v_mov_b32_e32 v4, 0xb0
	v_mad_i64_i32 v[2:3], s[4:5], s23, v4, v[2:3]
	v_lshlrev_b32_e32 v5, 2, v93
	v_add_co_u32_e64 v6, s[4:5], v2, v5
	v_addc_co_u32_e64 v7, s[4:5], 0, v3, s[4:5]
	v_add_co_u32_e64 v6, s[4:5], s16, v6
	v_addc_co_u32_e64 v7, s[4:5], v7, v122, s[4:5]
	v_add_co_u32_e64 v126, s[4:5], 4, v6
	v_cndmask_b32_e64 v6, 0, 1, vcc
	v_lshlrev_b32_e32 v6, 2, v6
	v_or_b32_e32 v2, v2, v6
	v_add_co_u32_e32 v2, vcc, s16, v2
	v_addc_co_u32_e32 v3, vcc, v3, v122, vcc
	v_add_co_u32_e32 v128, vcc, 4, v2
	v_addc_co_u32_e64 v91, s[4:5], 0, v7, s[4:5]
	v_addc_co_u32_e32 v93, vcc, 0, v3, vcc
	v_mad_i64_i32 v[2:3], s[4:5], v97, s10, 0
	v_mad_i64_i32 v[2:3], s[4:5], s23, v4, v[2:3]
	v_add_co_u32_e32 v4, vcc, v2, v5
	v_addc_co_u32_e32 v5, vcc, 0, v3, vcc
	v_add_co_u32_e32 v4, vcc, s16, v4
	v_addc_co_u32_e32 v5, vcc, v5, v122, vcc
	v_add_co_u32_e32 v130, vcc, 4, v4
	v_addc_co_u32_e32 v95, vcc, 0, v5, vcc
	v_or_b32_e32 v2, v2, v6
	v_add_co_u32_e32 v2, vcc, s16, v2
	v_addc_co_u32_e32 v3, vcc, v3, v122, vcc
	v_mul_lo_u32 v56, v1, s12
	v_add_co_u32_e32 v132, vcc, 4, v2
	s_mov_b32 s23, s22
	v_mov_b32_e32 v99, 0
	v_or_b32_e32 v107, 1, v105
	v_cmp_gt_u32_e64 s[0:1], 4, v103
	v_mul_u32_u24_e32 v131, 0x104, v103
	v_cmp_gt_i32_e64 s[2:3], s11, v1
	v_ashrrev_i32_e32 v1, 31, v56
	v_addc_co_u32_e32 v97, vcc, 0, v3, vcc
	s_movk_i32 s10, 0x80
	v_pk_mov_b32 v[122:123], s[22:23], s[22:23] op_sel:[0,1]
	s_mov_b32 s16, 0x10101010
	s_mov_b32 s17, 0x30303030
	v_add_u32_e32 v151, v134, v135
	v_add_u32_e32 v152, v136, v137
	v_mov_b32_e32 v79, 0
	s_branch .LBB234_6
.LBB234_4:                              ;   in Loop: Header=BB234_6 Depth=1
	s_or_b64 exec, exec, s[4:5]
	s_waitcnt lgkmcnt(0)
	s_barrier
	ds_read_b128 v[18:21], v121
	ds_read_b128 v[14:17], v121 offset:16
	ds_read_b128 v[2:5], v127 offset:36944
	ds_read2_b32 v[134:135], v131 offset0:32 offset1:33
	ds_read_b128 v[10:13], v121 offset:32
	ds_read_b128 v[6:9], v121 offset:48
	ds_read_b32 v153, v133
	ds_read2_b32 v[136:137], v131 offset0:34 offset1:35
	v_mov_b32_e32 v161, 0
	s_waitcnt lgkmcnt(4)
	v_dot4c_i32_i8_e32 v161, v134, v18
	v_dot4c_i32_i8_e32 v161, v135, v19
	ds_read2_b32 v[138:139], v131 offset0:36 offset1:37
	ds_read2_b32 v[140:141], v131 offset0:38 offset1:39
	;; [unrolled: 1-line block ×3, first 2 shown]
	s_waitcnt lgkmcnt(3)
	v_dot4c_i32_i8_e32 v161, v136, v20
	v_dot4c_i32_i8_e32 v161, v137, v21
	ds_read2_b32 v[136:137], v131 offset0:42 offset1:43
	v_mov_b32_e32 v172, 0
	s_waitcnt lgkmcnt(3)
	v_dot4c_i32_i8_e32 v161, v138, v14
	s_waitcnt lgkmcnt(1)
	v_dot4c_i32_i8_e32 v172, v142, v10
	v_dot4c_i32_i8_e32 v161, v139, v15
	;; [unrolled: 1-line block ×4, first 2 shown]
	s_waitcnt lgkmcnt(0)
	v_dot4c_i32_i8_e32 v172, v136, v12
	v_add_u32_e32 v136, 0x2100, v131
	ds_read2_b32 v[134:135], v129 offset0:1 offset1:3
	v_dot4c_i32_i8_e32 v161, v141, v17
	ds_read2_b32 v[138:139], v131 offset0:44 offset1:45
	ds_read2_b32 v[140:141], v131 offset0:46 offset1:47
	;; [unrolled: 1-line block ×3, first 2 shown]
	v_dot4c_i32_i8_e32 v172, v137, v13
	ds_read2_b32 v[154:155], v131 offset0:58 offset1:59
	ds_read2_b32 v[156:157], v131 offset0:60 offset1:61
	;; [unrolled: 1-line block ×3, first 2 shown]
	ds_read2_b32 v[136:137], v136 offset1:1
	v_mov_b32_e32 v168, 0
	v_cvt_f32_f16_e32 v160, v153
	v_cvt_f32_f16_sdwa v162, v153 dst_sel:DWORD dst_unused:UNUSED_PAD src0_sel:WORD_1
	ds_read_b32 v173, v146 offset:128
	ds_read_b32 v174, v148 offset:256
	;; [unrolled: 1-line block ×3, first 2 shown]
	s_waitcnt lgkmcnt(3)
	v_dot4c_i32_i8_e32 v168, v136, v18
	v_add_u32_e32 v136, 0x2108, v131
	v_dot4c_i32_i8_e32 v168, v137, v19
	ds_read2_b32 v[136:137], v136 offset1:1
	v_dot4c_i32_i8_e32 v172, v138, v6
	v_dot4c_i32_i8_e32 v172, v139, v7
	;; [unrolled: 1-line block ×3, first 2 shown]
	v_add_u32_e32 v138, 0x2110, v131
	v_dot4c_i32_i8_e32 v172, v141, v9
	v_add_u32_e32 v140, 0x2118, v131
	v_add_u32_e32 v141, 0x2120, v131
	ds_read2_b32 v[138:139], v138 offset1:1
	ds_read2_b32 v[164:165], v140 offset1:1
	;; [unrolled: 1-line block ×3, first 2 shown]
	s_waitcnt lgkmcnt(3)
	v_dot4c_i32_i8_e32 v168, v136, v20
	ds_read2_b32 v[140:141], v145 offset0:1 offset1:3
	v_dot4c_i32_i8_e32 v168, v137, v21
	s_waitcnt lgkmcnt(3)
	v_dot4c_i32_i8_e32 v168, v138, v14
	v_dot4c_i32_i8_e32 v168, v139, v15
	s_waitcnt lgkmcnt(2)
	v_dot4c_i32_i8_e32 v168, v164, v16
	v_dot4c_i32_i8_e32 v168, v165, v17
	s_waitcnt lgkmcnt(0)
	v_and_b32_e32 v136, 0xff, v140
	v_add_u32_e32 v138, 0x2130, v131
	v_add_u32_e32 v164, 0x2138, v131
	v_mul_lo_u32 v136, v168, v136
	v_cvt_f32_i32_e32 v176, v136
	v_add_u32_e32 v136, 0x2128, v131
	ds_read2_b32 v[136:137], v136 offset1:1
	v_mov_b32_e32 v168, 0
	v_dot4c_i32_i8_e32 v168, v166, v10
	v_add_u32_e32 v166, 0x4180, v131
	v_dot4c_i32_i8_e32 v168, v167, v11
	ds_read2_b32 v[138:139], v138 offset1:1
	ds_read2_b32 v[164:165], v164 offset1:1
	;; [unrolled: 1-line block ×3, first 2 shown]
	s_waitcnt lgkmcnt(3)
	v_dot4c_i32_i8_e32 v168, v136, v12
	v_dot4c_i32_i8_e32 v168, v137, v13
	s_waitcnt lgkmcnt(2)
	v_dot4c_i32_i8_e32 v168, v138, v6
	v_dot4c_i32_i8_e32 v168, v139, v7
	;; [unrolled: 3-line block ×3, first 2 shown]
	v_bfe_u32 v136, v140, 8, 8
	v_mov_b32_e32 v170, 0
	s_waitcnt lgkmcnt(0)
	v_dot4c_i32_i8_e32 v170, v166, v18
	v_mul_lo_u32 v136, v168, v136
	v_cvt_f32_i32_e32 v178, v136
	v_add_u32_e32 v136, 0x4188, v131
	ds_read2_b32 v[136:137], v136 offset1:1
	v_add_u32_e32 v138, 0x4190, v131
	v_add_u32_e32 v168, 0x41a0, v131
	v_dot4c_i32_i8_e32 v170, v167, v19
	v_add_u32_e32 v139, 0x4198, v131
	ds_read2_b32 v[164:165], v138 offset1:1
	ds_read2_b32 v[166:167], v139 offset1:1
	;; [unrolled: 1-line block ×3, first 2 shown]
	s_waitcnt lgkmcnt(3)
	v_dot4c_i32_i8_e32 v170, v136, v20
	ds_read2_b32 v[138:139], v147 offset0:1 offset1:3
	v_dot4c_i32_i8_e32 v170, v137, v21
	s_waitcnt lgkmcnt(3)
	v_dot4c_i32_i8_e32 v170, v164, v14
	v_dot4c_i32_i8_e32 v170, v165, v15
	s_waitcnt lgkmcnt(2)
	v_dot4c_i32_i8_e32 v170, v166, v16
	v_dot4c_i32_i8_e32 v170, v167, v17
	s_waitcnt lgkmcnt(0)
	v_and_b32_e32 v136, 0xff, v138
	v_add_u32_e32 v164, 0x41b0, v131
	v_add_u32_e32 v166, 0x41b8, v131
	v_mul_lo_u32 v136, v170, v136
	v_cvt_f32_i32_e32 v181, v136
	v_add_u32_e32 v136, 0x41a8, v131
	ds_read2_b32 v[136:137], v136 offset1:1
	v_mov_b32_e32 v170, 0
	v_dot4c_i32_i8_e32 v170, v168, v10
	v_add_u32_e32 v168, 0x6200, v131
	v_dot4c_i32_i8_e32 v170, v169, v11
	ds_read2_b32 v[164:165], v164 offset1:1
	ds_read2_b32 v[166:167], v166 offset1:1
	;; [unrolled: 1-line block ×3, first 2 shown]
	s_waitcnt lgkmcnt(3)
	v_dot4c_i32_i8_e32 v170, v136, v12
	v_dot4c_i32_i8_e32 v170, v137, v13
	s_waitcnt lgkmcnt(2)
	v_dot4c_i32_i8_e32 v170, v164, v6
	v_dot4c_i32_i8_e32 v170, v165, v7
	;; [unrolled: 3-line block ×3, first 2 shown]
	v_bfe_u32 v136, v138, 8, 8
	v_add_u32_e32 v137, 0x6218, v131
	v_mov_b32_e32 v190, 0
	v_mul_lo_u32 v136, v170, v136
	v_mov_b32_e32 v170, 0
	s_waitcnt lgkmcnt(0)
	v_dot4c_i32_i8_e32 v170, v168, v18
	v_add_u32_e32 v18, 0x6208, v131
	v_dot4c_i32_i8_e32 v170, v169, v19
	ds_read2_b32 v[18:19], v18 offset1:1
	v_cvt_f32_i32_e32 v183, v136
	v_add_u32_e32 v136, 0x6210, v131
	v_add_u32_e32 v168, 0x6220, v131
	ds_read2_b32 v[164:165], v136 offset1:1
	ds_read2_b32 v[166:167], v137 offset1:1
	;; [unrolled: 1-line block ×3, first 2 shown]
	s_waitcnt lgkmcnt(3)
	v_dot4c_i32_i8_e32 v170, v18, v20
	ds_read2_b32 v[136:137], v149 offset0:1 offset1:3
	v_dot4c_i32_i8_e32 v170, v19, v21
	s_waitcnt lgkmcnt(3)
	v_dot4c_i32_i8_e32 v170, v164, v14
	v_mov_b32_e32 v18, 0
	v_dot4c_i32_i8_e32 v170, v165, v15
	s_waitcnt lgkmcnt(1)
	v_dot4c_i32_i8_e32 v18, v168, v10
	v_add_u32_e32 v10, 0x6228, v131
	v_dot4c_i32_i8_e32 v170, v166, v16
	v_dot4c_i32_i8_e32 v18, v169, v11
	ds_read2_b32 v[10:11], v10 offset1:1
	v_dot4c_i32_i8_e32 v170, v167, v17
	s_waitcnt lgkmcnt(1)
	v_and_b32_e32 v14, 0xff, v136
	v_add_u32_e32 v16, 0x6238, v131
	v_add_u32_e32 v19, 0x2140, v131
	v_mul_lo_u32 v14, v170, v14
	v_cvt_f32_i32_e32 v186, v14
	v_add_u32_e32 v14, 0x6230, v131
	ds_read2_b32 v[14:15], v14 offset1:1
	ds_read2_b32 v[16:17], v16 offset1:1
	;; [unrolled: 1-line block ×3, first 2 shown]
	s_waitcnt lgkmcnt(3)
	v_dot4c_i32_i8_e32 v18, v10, v12
	v_dot4c_i32_i8_e32 v18, v11, v13
	s_waitcnt lgkmcnt(2)
	v_dot4c_i32_i8_e32 v18, v14, v6
	v_dot4c_i32_i8_e32 v18, v15, v7
	;; [unrolled: 3-line block ×3, first 2 shown]
	v_bfe_u32 v6, v136, 8, 8
	v_lshrrev_b32_e32 v163, 24, v134
	v_cvt_f32_ubyte0_e32 v177, v141
	v_mul_lo_u32 v6, v18, v6
	v_cvt_f32_i32_e32 v188, v6
	ds_read_b128 v[18:21], v121 offset:64
	ds_read_b128 v[14:17], v121 offset:80
	;; [unrolled: 1-line block ×4, first 2 shown]
	ds_read2_b32 v[166:167], v131 offset0:50 offset1:51
	s_waitcnt lgkmcnt(4)
	v_dot4c_i32_i8_e32 v190, v142, v18
	v_dot4c_i32_i8_e32 v190, v143, v19
	ds_read2_b32 v[142:143], v131 offset0:52 offset1:53
	ds_read2_b32 v[168:169], v131 offset0:54 offset1:55
	ds_read2_b32 v[170:171], v131 offset0:56 offset1:57
	v_cvt_f32_ubyte0_e32 v182, v139
	s_waitcnt lgkmcnt(3)
	v_dot4c_i32_i8_e32 v190, v166, v20
	v_mov_b32_e32 v166, 0
	v_dot4c_i32_i8_e32 v190, v167, v21
	s_waitcnt lgkmcnt(0)
	v_dot4c_i32_i8_e32 v166, v170, v10
	v_dot4c_i32_i8_e32 v166, v171, v11
	;; [unrolled: 1-line block ×10, first 2 shown]
	v_cvt_f32_f16_e32 v155, v4
	v_cvt_f32_f16_sdwa v143, v4 dst_sel:DWORD dst_unused:UNUSED_PAD src0_sel:WORD_1
	v_and_b32_e32 v4, 0xff, v134
	v_bfe_u32 v156, v134, 16, 8
	v_dot4c_i32_i8_e32 v166, v158, v8
	v_mul_lo_u32 v4, v161, v4
	v_mul_lo_u32 v156, v190, v156
	v_dot4c_i32_i8_e32 v166, v159, v9
	v_cvt_f32_f16_e32 v154, v2
	v_cvt_f32_i32_e32 v159, v156
	v_cvt_f32_i32_e32 v158, v4
	v_bfe_u32 v134, v134, 8, 8
	v_mul_lo_u32 v134, v172, v134
	v_cvt_f32_f16_sdwa v142, v2 dst_sel:DWORD dst_unused:UNUSED_PAD src0_sel:WORD_1
	v_pk_fma_f32 v[158:159], v[154:155], v[158:159], 0 op_sel_hi:[1,1,0]
	v_mul_lo_u32 v154, v166, v163
	v_cvt_f32_f16_e32 v157, v5
	v_cvt_f32_f16_e32 v156, v3
	v_cvt_f32_i32_e32 v167, v154
	v_cvt_f32_i32_e32 v166, v134
	v_cvt_f32_f16_sdwa v5, v5 dst_sel:DWORD dst_unused:UNUSED_PAD src0_sel:WORD_1
	v_cvt_f32_f16_sdwa v4, v3 dst_sel:DWORD dst_unused:UNUSED_PAD src0_sel:WORD_1
	v_cvt_f32_ubyte2_e32 v169, v135
	v_cvt_f32_ubyte0_e32 v168, v135
	v_cvt_f32_ubyte0_e32 v187, v137
	v_pk_fma_f32 v[168:169], v[142:143], v[168:169], 0 op_sel_hi:[1,1,0]
	v_pk_fma_f32 v[158:159], v[156:157], v[166:167], v[158:159]
	v_cvt_f32_ubyte3_e32 v167, v135
	v_cvt_f32_ubyte1_e32 v166, v135
	v_fma_mix_f32 v154, v2, v181, 0 op_sel_hi:[1,0,0]
	v_cvt_f32_ubyte1_e32 v189, v137
	v_pk_fma_f32 v[134:135], v[4:5], v[166:167], v[168:169]
	v_fma_mix_f32 v4, v2, v176, 0 op_sel_hi:[1,0,0]
	v_fma_mix_f32 v142, v2, v177, 0 op_sel:[1,0,0] op_sel_hi:[1,0,0]
	v_fma_mix_f32 v156, v2, v182, 0 op_sel:[1,0,0] op_sel_hi:[1,0,0]
	v_fma_mix_f32 v166, v3, v183, v154 op_sel_hi:[1,0,0]
	v_fma_mix_f32 v154, v2, v186, 0 op_sel_hi:[1,0,0]
	v_fma_mix_f32 v2, v2, v187, 0 op_sel:[1,0,0] op_sel_hi:[1,0,0]
	v_cvt_f32_ubyte1_e32 v179, v141
	v_cvt_f32_ubyte1_e32 v184, v139
	v_fma_mix_f32 v169, v3, v189, v2 op_sel:[1,0,0] op_sel_hi:[1,0,0]
	v_add_u32_e32 v2, 0x2148, v131
	v_fma_mix_f32 v4, v3, v178, v4 op_sel_hi:[1,0,0]
	v_fma_mix_f32 v142, v3, v179, v142 op_sel:[1,0,0] op_sel_hi:[1,0,0]
	v_fma_mix_f32 v167, v3, v184, v156 op_sel:[1,0,0] op_sel_hi:[1,0,0]
	v_fma_mix_f32 v168, v3, v188, v154 op_sel_hi:[1,0,0]
	ds_read2_b32 v[2:3], v2 offset1:1
	v_pk_mul_f32 v[134:135], v[134:135], v[162:163] op_sel_hi:[1,0]
	v_mov_b32_e32 v154, 0
	v_pk_fma_f32 v[134:135], v[158:159], v[160:161], v[134:135] op_sel_hi:[1,0,1] neg_lo:[0,0,1] neg_hi:[0,0,1]
	v_dot4c_i32_i8_e32 v154, v164, v18
	v_add_u32_e32 v156, 0x2150, v131
	v_add_u32_e32 v160, 0x2158, v131
	;; [unrolled: 1-line block ×3, first 2 shown]
	v_dot4c_i32_i8_e32 v154, v165, v19
	ds_read2_b32 v[158:159], v156 offset1:1
	ds_read2_b32 v[160:161], v160 offset1:1
	ds_read2_b32 v[162:163], v162 offset1:1
	s_waitcnt lgkmcnt(3)
	v_dot4c_i32_i8_e32 v154, v2, v20
	v_dot4c_i32_i8_e32 v154, v3, v21
	s_waitcnt lgkmcnt(2)
	v_dot4c_i32_i8_e32 v154, v158, v14
	v_dot4c_i32_i8_e32 v154, v159, v15
	;; [unrolled: 3-line block ×3, first 2 shown]
	v_bfe_u32 v2, v140, 16, 8
	v_lshrrev_b32_e32 v175, 24, v140
	v_mov_b32_e32 v140, 0
	v_mul_lo_u32 v2, v154, v2
	v_add_u32_e32 v154, 0x2168, v131
	ds_read2_b32 v[158:159], v154 offset1:1
	s_waitcnt lgkmcnt(1)
	v_dot4c_i32_i8_e32 v140, v162, v10
	v_add_u32_e32 v156, 0x2170, v131
	v_add_u32_e32 v162, 0x2178, v131
	v_dot4c_i32_i8_e32 v140, v163, v11
	v_add_u32_e32 v154, 0x41c0, v131
	ds_read2_b32 v[160:161], v156 offset1:1
	ds_read2_b32 v[162:163], v162 offset1:1
	;; [unrolled: 1-line block ×3, first 2 shown]
	s_waitcnt lgkmcnt(3)
	v_dot4c_i32_i8_e32 v140, v158, v12
	v_dot4c_i32_i8_e32 v140, v159, v13
	s_waitcnt lgkmcnt(2)
	v_dot4c_i32_i8_e32 v140, v160, v6
	v_dot4c_i32_i8_e32 v140, v161, v7
	s_waitcnt lgkmcnt(1)
	v_dot4c_i32_i8_e32 v140, v162, v8
	v_cvt_f32_f16_sdwa v159, v173 dst_sel:DWORD dst_unused:UNUSED_PAD src0_sel:WORD_1
	v_dot4c_i32_i8_e32 v140, v163, v9
	v_cvt_f32_i32_e32 v2, v2
	v_cvt_f32_f16_e32 v158, v173
	v_mul_f32_e32 v142, v142, v159
	v_mul_lo_u32 v140, v140, v175
	v_cvt_f32_i32_e32 v140, v140
	v_cvt_f32_ubyte2_e32 v3, v141
	v_fma_mix_f32 v161, v4, v173, -v142 op_sel_hi:[0,1,0]
	v_mov_b32_e32 v142, v155
	v_cvt_f32_ubyte3_e32 v141, v141
	v_pk_fma_f32 v[2:3], v[142:143], v[2:3], 0 op_sel_hi:[1,1,0]
	v_mov_b32_e32 v4, v157
	v_pk_fma_f32 v[2:3], v[4:5], v[140:141], v[2:3]
	v_pk_mul_f32 v[140:141], v[2:3], v[158:159]
	v_mov_b32_e32 v141, v140
	v_mov_b32_e32 v160, v134
	v_pk_fma_f32 v[2:3], v[2:3], v[158:159], v[140:141] neg_lo:[1,0,0] neg_hi:[1,0,0]
	v_pk_add_f32 v[122:123], v[122:123], v[160:161]
	v_mov_b32_e32 v2, v135
	v_pk_add_f32 v[122:123], v[122:123], v[2:3]
	v_add_u32_e32 v2, 0x41c8, v131
	ds_read2_b32 v[2:3], v2 offset1:1
	v_mov_b32_e32 v156, 0
	s_waitcnt lgkmcnt(1)
	v_dot4c_i32_i8_e32 v156, v164, v18
	v_add_u32_e32 v134, 0x41d0, v131
	v_add_u32_e32 v140, 0x41d8, v131
	;; [unrolled: 1-line block ×3, first 2 shown]
	v_dot4c_i32_i8_e32 v156, v165, v19
	ds_read2_b32 v[134:135], v134 offset1:1
	ds_read2_b32 v[140:141], v140 offset1:1
	;; [unrolled: 1-line block ×3, first 2 shown]
	s_waitcnt lgkmcnt(3)
	v_dot4c_i32_i8_e32 v156, v2, v20
	v_dot4c_i32_i8_e32 v156, v3, v21
	s_waitcnt lgkmcnt(2)
	v_dot4c_i32_i8_e32 v156, v134, v14
	v_add_u32_e32 v134, 0x41e8, v131
	v_dot4c_i32_i8_e32 v156, v135, v15
	ds_read2_b32 v[134:135], v134 offset1:1
	s_waitcnt lgkmcnt(2)
	v_dot4c_i32_i8_e32 v156, v140, v16
	v_lshrrev_b32_e32 v180, 24, v138
	v_dot4c_i32_i8_e32 v156, v141, v17
	v_bfe_u32 v2, v138, 16, 8
	v_mov_b32_e32 v138, 0
	s_waitcnt lgkmcnt(1)
	v_dot4c_i32_i8_e32 v138, v154, v10
	v_mul_lo_u32 v2, v156, v2
	v_add_u32_e32 v140, 0x41f0, v131
	v_add_u32_e32 v154, 0x41f8, v131
	;; [unrolled: 1-line block ×3, first 2 shown]
	v_dot4c_i32_i8_e32 v138, v155, v11
	ds_read2_b32 v[140:141], v140 offset1:1
	ds_read2_b32 v[154:155], v154 offset1:1
	;; [unrolled: 1-line block ×3, first 2 shown]
	s_waitcnt lgkmcnt(3)
	v_dot4c_i32_i8_e32 v138, v134, v12
	v_dot4c_i32_i8_e32 v138, v135, v13
	s_waitcnt lgkmcnt(2)
	v_dot4c_i32_i8_e32 v138, v140, v6
	v_dot4c_i32_i8_e32 v138, v141, v7
	;; [unrolled: 3-line block ×3, first 2 shown]
	v_cvt_f32_i32_e32 v2, v2
	v_cvt_f32_f16_sdwa v135, v174 dst_sel:DWORD dst_unused:UNUSED_PAD src0_sel:WORD_1
	v_cvt_f32_ubyte2_e32 v3, v139
	v_mul_lo_u32 v134, v138, v180
	v_cvt_f32_i32_e32 v138, v134
	v_cvt_f32_f16_e32 v134, v174
	v_cvt_f32_ubyte3_e32 v139, v139
	v_pk_fma_f32 v[2:3], v[142:143], v[2:3], 0 op_sel_hi:[1,1,0]
	v_mul_f32_e32 v140, v167, v135
	v_pk_fma_f32 v[2:3], v[4:5], v[138:139], v[2:3]
	v_fma_mix_f32 v140, v166, v174, -v140 op_sel_hi:[0,1,0]
	v_pk_mul_f32 v[2:3], v[2:3], v[134:135]
	v_add_f32_e32 v99, v99, v140
	v_sub_f32_e32 v2, v2, v3
	v_add_f32_e32 v99, v99, v2
	v_add_u32_e32 v2, 0x6248, v131
	ds_read2_b32 v[2:3], v2 offset1:1
	v_mov_b32_e32 v140, 0
	s_waitcnt lgkmcnt(1)
	v_dot4c_i32_i8_e32 v140, v156, v18
	v_add_u32_e32 v18, 0x6250, v131
	v_add_u32_e32 v134, 0x6258, v131
	;; [unrolled: 1-line block ×3, first 2 shown]
	v_dot4c_i32_i8_e32 v140, v157, v19
	ds_read2_b32 v[18:19], v18 offset1:1
	ds_read2_b32 v[134:135], v134 offset1:1
	;; [unrolled: 1-line block ×3, first 2 shown]
	s_waitcnt lgkmcnt(3)
	v_dot4c_i32_i8_e32 v140, v2, v20
	v_dot4c_i32_i8_e32 v140, v3, v21
	s_waitcnt lgkmcnt(2)
	v_dot4c_i32_i8_e32 v140, v18, v14
	v_mov_b32_e32 v18, 0
	s_waitcnt lgkmcnt(0)
	v_dot4c_i32_i8_e32 v18, v138, v10
	v_add_u32_e32 v10, 0x6268, v131
	v_dot4c_i32_i8_e32 v18, v139, v11
	ds_read2_b32 v[10:11], v10 offset1:1
	v_add_u32_e32 v14, 0x6270, v131
	v_dot4c_i32_i8_e32 v140, v19, v15
	ds_read2_b32 v[14:15], v14 offset1:1
	v_dot4c_i32_i8_e32 v140, v134, v16
	v_add_u32_e32 v16, 0x6278, v131
	v_dot4c_i32_i8_e32 v140, v135, v17
	ds_read2_b32 v[16:17], v16 offset1:1
	s_waitcnt lgkmcnt(2)
	v_dot4c_i32_i8_e32 v18, v10, v12
	v_dot4c_i32_i8_e32 v18, v11, v13
	s_waitcnt lgkmcnt(1)
	v_dot4c_i32_i8_e32 v18, v14, v6
	v_dot4c_i32_i8_e32 v18, v15, v7
	v_bfe_u32 v2, v136, 16, 8
	s_waitcnt lgkmcnt(0)
	v_dot4c_i32_i8_e32 v18, v16, v8
	v_lshrrev_b32_e32 v185, 24, v136
	v_mul_lo_u32 v2, v140, v2
	v_dot4c_i32_i8_e32 v18, v17, v9
	v_cvt_f32_i32_e32 v2, v2
	v_cvt_f32_f16_sdwa v7, v153 dst_sel:DWORD dst_unused:UNUSED_PAD src0_sel:WORD_1
	v_cvt_f32_ubyte2_e32 v3, v137
	v_mul_lo_u32 v6, v18, v185
	v_cvt_f32_i32_e32 v8, v6
	v_cvt_f32_f16_e32 v6, v153
	v_cvt_f32_ubyte3_e32 v9, v137
	v_pk_fma_f32 v[2:3], v[142:143], v[2:3], 0 op_sel_hi:[1,1,0]
	v_mul_f32_e32 v10, v169, v7
	v_pk_fma_f32 v[2:3], v[4:5], v[8:9], v[2:3]
	v_fma_mix_f32 v10, v168, v153, -v10 op_sel_hi:[0,1,0]
	v_pk_mul_f32 v[2:3], v[2:3], v[6:7]
	v_add_f32_e32 v10, v79, v10
	v_sub_f32_e32 v2, v2, v3
	v_add_f32_e32 v79, v10, v2
	s_barrier
.LBB234_5:                              ;   in Loop: Header=BB234_6 Depth=1
	v_add_co_u32_e32 v58, vcc, 0xb0, v58
	v_addc_co_u32_e32 v23, vcc, 0, v23, vcc
	v_add_co_u32_e32 v60, vcc, 0xb0, v60
	v_addc_co_u32_e32 v25, vcc, 0, v25, vcc
	v_add_co_u32_e32 v62, vcc, 0xb0, v62
	v_addc_co_u32_e32 v27, vcc, 0, v27, vcc
	v_add_co_u32_e32 v64, vcc, 0xb0, v64
	v_addc_co_u32_e32 v29, vcc, 0, v29, vcc
	v_add_co_u32_e32 v66, vcc, 0xb0, v66
	v_addc_co_u32_e32 v31, vcc, 0, v31, vcc
	v_add_co_u32_e32 v68, vcc, 0xb0, v68
	v_addc_co_u32_e32 v33, vcc, 0, v33, vcc
	v_add_co_u32_e32 v70, vcc, 0xb0, v70
	v_addc_co_u32_e32 v35, vcc, 0, v35, vcc
	v_add_co_u32_e32 v72, vcc, 0xb0, v72
	v_addc_co_u32_e32 v37, vcc, 0, v37, vcc
	v_add_co_u32_e32 v74, vcc, 0xb0, v74
	v_addc_co_u32_e32 v39, vcc, 0, v39, vcc
	v_add_co_u32_e32 v76, vcc, 0xb0, v76
	v_addc_co_u32_e32 v41, vcc, 0, v41, vcc
	v_add_co_u32_e32 v78, vcc, 0xb0, v78
	v_addc_co_u32_e32 v43, vcc, 0, v43, vcc
	v_add_co_u32_e32 v80, vcc, 0xb0, v80
	v_addc_co_u32_e32 v45, vcc, 0, v45, vcc
	v_add_co_u32_e32 v82, vcc, 0xb0, v82
	v_addc_co_u32_e32 v47, vcc, 0, v47, vcc
	v_add_co_u32_e32 v84, vcc, 0xb0, v84
	v_addc_co_u32_e32 v49, vcc, 0, v49, vcc
	v_add_co_u32_e32 v86, vcc, 0xb0, v86
	v_addc_co_u32_e32 v51, vcc, 0, v51, vcc
	v_add_co_u32_e32 v88, vcc, 0xb0, v88
	v_addc_co_u32_e32 v53, vcc, 0, v53, vcc
	v_add_co_u32_e32 v90, vcc, 0xb0, v90
	v_addc_co_u32_e32 v57, vcc, 0, v57, vcc
	v_add_co_u32_e32 v92, vcc, 0xb0, v92
	v_addc_co_u32_e32 v59, vcc, 0, v59, vcc
	v_add_co_u32_e32 v94, vcc, 0xb0, v94
	v_addc_co_u32_e32 v61, vcc, 0, v61, vcc
	v_add_co_u32_e32 v96, vcc, 0xb0, v96
	v_addc_co_u32_e32 v63, vcc, 0, v63, vcc
	v_add_co_u32_e32 v98, vcc, 0xb0, v98
	v_addc_co_u32_e32 v65, vcc, 0, v65, vcc
	v_add_co_u32_e32 v100, vcc, 0xb0, v100
	v_addc_co_u32_e32 v67, vcc, 0, v67, vcc
	v_add_co_u32_e32 v102, vcc, 0xb0, v102
	v_addc_co_u32_e32 v69, vcc, 0, v69, vcc
	v_add_co_u32_e32 v104, vcc, 0xb0, v104
	v_addc_co_u32_e32 v71, vcc, 0, v71, vcc
	v_add_co_u32_e32 v106, vcc, 0xb0, v106
	v_addc_co_u32_e32 v73, vcc, 0, v73, vcc
	v_add_co_u32_e32 v108, vcc, 0xb0, v108
	v_addc_co_u32_e32 v75, vcc, 0, v75, vcc
	v_add_co_u32_e32 v110, vcc, 0xb0, v110
	v_addc_co_u32_e32 v77, vcc, 0, v77, vcc
	v_add_co_u32_e32 v112, vcc, 0xb0, v112
	v_addc_co_u32_e32 v81, vcc, 0, v81, vcc
	v_add_co_u32_e32 v114, vcc, 0xb0, v114
	v_addc_co_u32_e32 v83, vcc, 0, v83, vcc
	v_add_co_u32_e32 v116, vcc, 0xb0, v116
	v_addc_co_u32_e32 v85, vcc, 0, v85, vcc
	v_add_co_u32_e32 v118, vcc, 0xb0, v118
	v_addc_co_u32_e32 v87, vcc, 0, v87, vcc
	v_add_co_u32_e32 v120, vcc, 0xb0, v120
	v_addc_co_u32_e32 v89, vcc, 0, v89, vcc
	v_add_co_u32_e32 v124, vcc, 0xb0, v124
	v_addc_co_u32_e32 v125, vcc, 0, v125, vcc
	v_add_co_u32_e32 v126, vcc, 0xb0, v126
	v_addc_co_u32_e32 v91, vcc, 0, v91, vcc
	v_add_co_u32_e32 v128, vcc, 0xb0, v128
	v_addc_co_u32_e32 v93, vcc, 0, v93, vcc
	v_add_co_u32_e32 v130, vcc, 0xb0, v130
	v_addc_co_u32_e32 v95, vcc, 0, v95, vcc
	s_add_i32 s26, s26, -1
	s_addk_i32 s10, 0x100
	v_add_co_u32_e32 v132, vcc, 0xb0, v132
	v_add_u32_e32 v103, 8, v103
	v_add_u32_e32 v144, 8, v144
	;; [unrolled: 1-line block ×3, first 2 shown]
	s_cmp_eq_u32 s26, 0
	v_addc_co_u32_e32 v97, vcc, 0, v97, vcc
	s_cbranch_scc1 .LBB234_19
.LBB234_6:                              ; =>This Inner Loop Header: Depth=1
	v_mov_b32_e32 v6, s27
	v_add_co_u32_e32 v2, vcc, s8, v60
	v_addc_co_u32_e32 v3, vcc, v25, v6, vcc
	global_load_dword v7, v[2:3], off
	v_add_co_u32_e32 v2, vcc, s8, v58
	v_addc_co_u32_e32 v3, vcc, v23, v6, vcc
	global_load_dword v8, v[2:3], off
	v_add_co_u32_e32 v2, vcc, s8, v64
	v_addc_co_u32_e32 v3, vcc, v29, v6, vcc
	v_add_co_u32_e32 v4, vcc, s8, v62
	v_addc_co_u32_e32 v5, vcc, v27, v6, vcc
	global_load_dword v9, v[2:3], off
	v_add_co_u32_e32 v2, vcc, s8, v68
	v_addc_co_u32_e32 v3, vcc, v33, v6, vcc
	global_load_dword v10, v[4:5], off
	;; [unrolled: 3-line block ×13, first 2 shown]
	s_add_i32 s4, s10, 0xffffff80
	global_load_dword v4, v[4:5], off
	s_cmp_lt_i32 s4, s9
	s_waitcnt vmcnt(15)
	v_lshrrev_b32_e32 v2, 4, v7
	v_and_b32_e32 v135, 0xf0f0f0f, v2
	v_add_co_u32_e32 v2, vcc, s8, v92
	v_addc_co_u32_e32 v3, vcc, v59, v6, vcc
	global_load_dword v5, v[2:3], off
	v_add_co_u32_e32 v2, vcc, s8, v90
	v_addc_co_u32_e32 v3, vcc, v57, v6, vcc
	global_load_dword v2, v[2:3], off
	v_and_b32_e32 v134, 0xf0f0f0f, v7
	s_waitcnt vmcnt(16)
	v_ashrrev_i32_e32 v7, v105, v8
	v_lshlrev_b32_e32 v3, 4, v7
	v_ashrrev_i32_e32 v7, v107, v8
	v_lshlrev_b32_e32 v7, 4, v7
	v_and_or_b32 v3, v3, s16, v134
	v_and_or_b32 v7, v7, s16, v135
	ds_write2_b32 v22, v3, v7 offset1:8
	s_waitcnt vmcnt(15)
	v_and_b32_e32 v3, 0xf0f0f0f, v9
	v_lshrrev_b32_e32 v7, 4, v9
	s_waitcnt vmcnt(14)
	v_ashrrev_i32_e32 v8, v105, v10
	v_ashrrev_i32_e32 v9, v107, v10
	v_and_b32_e32 v7, 0xf0f0f0f, v7
	v_lshlrev_b32_e32 v8, 4, v8
	v_lshlrev_b32_e32 v9, 4, v9
	v_and_or_b32 v3, v8, s16, v3
	v_and_or_b32 v7, v9, s16, v7
	ds_write2_b32 v24, v3, v7 offset1:8
	s_waitcnt vmcnt(13)
	v_lshrrev_b32_e32 v7, 4, v11
	s_waitcnt vmcnt(12)
	v_ashrrev_i32_e32 v8, v105, v12
	v_ashrrev_i32_e32 v9, v107, v12
	v_and_b32_e32 v3, 0xf0f0f0f, v11
	v_and_b32_e32 v7, 0xf0f0f0f, v7
	v_lshlrev_b32_e32 v8, 4, v8
	v_lshlrev_b32_e32 v9, 4, v9
	v_and_or_b32 v3, v8, s16, v3
	v_and_or_b32 v7, v9, s16, v7
	ds_write2_b32 v26, v3, v7 offset1:8
	s_waitcnt vmcnt(11)
	v_lshrrev_b32_e32 v7, 4, v13
	s_waitcnt vmcnt(10)
	v_ashrrev_i32_e32 v8, v105, v14
	v_ashrrev_i32_e32 v9, v107, v14
	v_and_b32_e32 v3, 0xf0f0f0f, v13
	;; [unrolled: 12-line block ×6, first 2 shown]
	v_and_b32_e32 v7, 0xf0f0f0f, v7
	v_lshlrev_b32_e32 v8, 4, v8
	v_lshlrev_b32_e32 v4, 4, v4
	v_and_or_b32 v3, v8, s16, v3
	v_and_or_b32 v4, v4, s16, v7
	ds_write2_b32 v36, v3, v4 offset1:8
	s_waitcnt vmcnt(1)
	v_and_b32_e32 v3, 0xf0f0f0f, v5
	v_lshrrev_b32_e32 v4, 4, v5
	s_waitcnt vmcnt(0)
	v_ashrrev_i32_e32 v5, v105, v2
	v_ashrrev_i32_e32 v2, v107, v2
	v_and_b32_e32 v4, 0xf0f0f0f, v4
	v_lshlrev_b32_e32 v2, 4, v2
	v_lshlrev_b32_e32 v5, 4, v5
	v_and_or_b32 v4, v2, s16, v4
	v_add_co_u32_e32 v2, vcc, s8, v96
	v_and_or_b32 v5, v5, s16, v3
	v_addc_co_u32_e32 v3, vcc, v63, v6, vcc
	global_load_dword v7, v[2:3], off
	v_add_co_u32_e32 v2, vcc, s8, v94
	v_addc_co_u32_e32 v3, vcc, v61, v6, vcc
	global_load_dword v8, v[2:3], off
	v_add_co_u32_e32 v2, vcc, s8, v100
	;; [unrolled: 3-line block ×18, first 2 shown]
	v_addc_co_u32_e32 v3, vcc, v97, v6, vcc
	global_load_dword v2, v[2:3], off
	ds_write2_b32 v38, v5, v4 offset1:8
	s_waitcnt vmcnt(18)
	v_lshrrev_b32_e32 v4, 4, v7
	s_waitcnt vmcnt(17)
	v_ashrrev_i32_e32 v5, v105, v8
	v_ashrrev_i32_e32 v6, v107, v8
	v_and_b32_e32 v3, 0xf0f0f0f, v7
	v_and_b32_e32 v4, 0xf0f0f0f, v4
	v_lshlrev_b32_e32 v5, 4, v5
	v_lshlrev_b32_e32 v6, 4, v6
	v_and_or_b32 v3, v5, s16, v3
	v_and_or_b32 v4, v6, s16, v4
	ds_write2_b32 v40, v3, v4 offset1:8
	s_waitcnt vmcnt(16)
	v_lshrrev_b32_e32 v4, 4, v9
	s_waitcnt vmcnt(15)
	v_ashrrev_i32_e32 v5, v105, v10
	v_ashrrev_i32_e32 v6, v107, v10
	v_and_b32_e32 v3, 0xf0f0f0f, v9
	v_and_b32_e32 v4, 0xf0f0f0f, v4
	v_lshlrev_b32_e32 v5, 4, v5
	v_lshlrev_b32_e32 v6, 4, v6
	v_and_or_b32 v3, v5, s16, v3
	v_and_or_b32 v4, v6, s16, v4
	;; [unrolled: 12-line block ×7, first 2 shown]
	ds_write2_b32 v52, v3, v4 offset1:8
	s_waitcnt vmcnt(4)
	ds_write_b32 v109, v21
	s_waitcnt vmcnt(3)
	v_ashrrev_i32_e32 v3, v111, v134
	v_and_b32_e32 v3, 0xf0f0f0f, v3
	s_waitcnt vmcnt(2)
	v_ashrrev_i32_e32 v4, v113, v135
	v_and_or_b32 v3, v4, s17, v3
	ds_write_b32 v151, v3
	s_waitcnt vmcnt(1)
	v_ashrrev_i32_e32 v3, v111, v136
	v_and_b32_e32 v3, 0xf0f0f0f, v3
	s_waitcnt vmcnt(0)
	v_ashrrev_i32_e32 v2, v113, v2
	v_and_or_b32 v2, v2, s17, v3
	ds_write_b32 v152, v2
	s_cbranch_scc0 .LBB234_5
; %bb.7:                                ;   in Loop: Header=BB234_6 Depth=1
	v_cmp_gt_i32_e32 vcc, s12, v119
	s_and_b64 s[22:23], s[2:3], vcc
	s_and_saveexec_b64 s[4:5], s[22:23]
	s_cbranch_execz .LBB234_9
; %bb.8:                                ;   in Loop: Header=BB234_6 Depth=1
	v_add_u32_e32 v2, v56, v119
	v_mad_i64_i32 v[2:3], s[22:23], v2, 36, v[54:55]
	global_load_dword v2, v[2:3], off offset:4
	s_waitcnt vmcnt(0)
	ds_write_b32 v115, v2
.LBB234_9:                              ;   in Loop: Header=BB234_6 Depth=1
	s_or_b64 exec, exec, s[4:5]
	s_and_saveexec_b64 s[4:5], s[0:1]
	s_cbranch_execz .LBB234_12
; %bb.10:                               ;   in Loop: Header=BB234_6 Depth=1
	v_cmp_gt_i32_e32 vcc, s12, v103
	s_and_b64 s[22:23], s[2:3], vcc
	s_and_b64 exec, exec, s[22:23]
	s_cbranch_execz .LBB234_12
; %bb.11:                               ;   in Loop: Header=BB234_6 Depth=1
	v_add_u32_e32 v2, v56, v103
	v_mad_i64_i32 v[2:3], s[22:23], v2, 36, s[18:19]
	global_load_dword v2, v[2:3], off
	s_waitcnt vmcnt(0)
	ds_write_b32 v117, v2
.LBB234_12:                             ;   in Loop: Header=BB234_6 Depth=1
	s_or_b64 exec, exec, s[4:5]
	s_waitcnt lgkmcnt(0)
	s_barrier
	ds_read_b128 v[18:21], v121
	ds_read_b128 v[14:17], v121 offset:16
	ds_read_b128 v[2:5], v127 offset:36944
	ds_read2_b32 v[134:135], v131 offset1:1
	ds_read_b128 v[10:13], v121 offset:32
	ds_read_b128 v[6:9], v121 offset:48
	ds_read_b32 v153, v133
	ds_read2_b32 v[136:137], v131 offset0:2 offset1:3
	v_mov_b32_e32 v161, 0
	s_waitcnt lgkmcnt(4)
	v_dot4c_i32_i8_e32 v161, v134, v18
	v_dot4c_i32_i8_e32 v161, v135, v19
	ds_read2_b32 v[138:139], v131 offset0:4 offset1:5
	ds_read2_b32 v[140:141], v131 offset0:6 offset1:7
	;; [unrolled: 1-line block ×3, first 2 shown]
	s_waitcnt lgkmcnt(3)
	v_dot4c_i32_i8_e32 v161, v136, v20
	v_dot4c_i32_i8_e32 v161, v137, v21
	ds_read2_b32 v[136:137], v131 offset0:10 offset1:11
	v_mov_b32_e32 v172, 0
	s_waitcnt lgkmcnt(3)
	v_dot4c_i32_i8_e32 v161, v138, v14
	s_waitcnt lgkmcnt(1)
	v_dot4c_i32_i8_e32 v172, v142, v10
	v_dot4c_i32_i8_e32 v161, v139, v15
	;; [unrolled: 1-line block ×4, first 2 shown]
	s_waitcnt lgkmcnt(0)
	v_dot4c_i32_i8_e32 v172, v136, v12
	v_add_u32_e32 v136, 0x2080, v131
	ds_read2_b32 v[134:135], v129 offset1:2
	v_dot4c_i32_i8_e32 v161, v141, v17
	ds_read2_b32 v[138:139], v131 offset0:12 offset1:13
	ds_read2_b32 v[140:141], v131 offset0:14 offset1:15
	;; [unrolled: 1-line block ×3, first 2 shown]
	v_dot4c_i32_i8_e32 v172, v137, v13
	ds_read2_b32 v[154:155], v131 offset0:26 offset1:27
	ds_read2_b32 v[156:157], v131 offset0:28 offset1:29
	;; [unrolled: 1-line block ×3, first 2 shown]
	ds_read2_b32 v[136:137], v136 offset1:1
	v_mov_b32_e32 v168, 0
	v_cvt_f32_f16_e32 v160, v153
	v_cvt_f32_f16_sdwa v162, v153 dst_sel:DWORD dst_unused:UNUSED_PAD src0_sel:WORD_1
	ds_read_b32 v173, v146 offset:128
	ds_read_b32 v174, v148 offset:256
	;; [unrolled: 1-line block ×3, first 2 shown]
	s_waitcnt lgkmcnt(3)
	v_dot4c_i32_i8_e32 v168, v136, v18
	v_add_u32_e32 v136, 0x2088, v131
	v_dot4c_i32_i8_e32 v168, v137, v19
	ds_read2_b32 v[136:137], v136 offset1:1
	v_dot4c_i32_i8_e32 v172, v138, v6
	v_dot4c_i32_i8_e32 v172, v139, v7
	;; [unrolled: 1-line block ×3, first 2 shown]
	v_add_u32_e32 v138, 0x2090, v131
	v_dot4c_i32_i8_e32 v172, v141, v9
	v_add_u32_e32 v140, 0x2098, v131
	v_add_u32_e32 v141, 0x20a0, v131
	ds_read2_b32 v[138:139], v138 offset1:1
	ds_read2_b32 v[164:165], v140 offset1:1
	;; [unrolled: 1-line block ×3, first 2 shown]
	s_waitcnt lgkmcnt(3)
	v_dot4c_i32_i8_e32 v168, v136, v20
	ds_read2_b32 v[140:141], v145 offset1:2
	v_dot4c_i32_i8_e32 v168, v137, v21
	s_waitcnt lgkmcnt(3)
	v_dot4c_i32_i8_e32 v168, v138, v14
	v_dot4c_i32_i8_e32 v168, v139, v15
	s_waitcnt lgkmcnt(2)
	v_dot4c_i32_i8_e32 v168, v164, v16
	v_dot4c_i32_i8_e32 v168, v165, v17
	s_waitcnt lgkmcnt(0)
	v_and_b32_e32 v136, 0xff, v140
	v_add_u32_e32 v138, 0x20b0, v131
	v_add_u32_e32 v164, 0x20b8, v131
	v_mul_lo_u32 v136, v168, v136
	v_cvt_f32_i32_e32 v176, v136
	v_add_u32_e32 v136, 0x20a8, v131
	ds_read2_b32 v[136:137], v136 offset1:1
	v_mov_b32_e32 v168, 0
	v_dot4c_i32_i8_e32 v168, v166, v10
	v_add_u32_e32 v166, 0x4100, v131
	v_dot4c_i32_i8_e32 v168, v167, v11
	ds_read2_b32 v[138:139], v138 offset1:1
	ds_read2_b32 v[164:165], v164 offset1:1
	;; [unrolled: 1-line block ×3, first 2 shown]
	s_waitcnt lgkmcnt(3)
	v_dot4c_i32_i8_e32 v168, v136, v12
	v_dot4c_i32_i8_e32 v168, v137, v13
	s_waitcnt lgkmcnt(2)
	v_dot4c_i32_i8_e32 v168, v138, v6
	v_dot4c_i32_i8_e32 v168, v139, v7
	;; [unrolled: 3-line block ×3, first 2 shown]
	v_bfe_u32 v136, v140, 8, 8
	v_mov_b32_e32 v170, 0
	s_waitcnt lgkmcnt(0)
	v_dot4c_i32_i8_e32 v170, v166, v18
	v_mul_lo_u32 v136, v168, v136
	v_cvt_f32_i32_e32 v178, v136
	v_add_u32_e32 v136, 0x4108, v131
	ds_read2_b32 v[136:137], v136 offset1:1
	v_add_u32_e32 v138, 0x4110, v131
	v_add_u32_e32 v168, 0x4120, v131
	v_dot4c_i32_i8_e32 v170, v167, v19
	v_add_u32_e32 v139, 0x4118, v131
	ds_read2_b32 v[164:165], v138 offset1:1
	ds_read2_b32 v[166:167], v139 offset1:1
	;; [unrolled: 1-line block ×3, first 2 shown]
	s_waitcnt lgkmcnt(3)
	v_dot4c_i32_i8_e32 v170, v136, v20
	ds_read2_b32 v[138:139], v147 offset1:2
	v_dot4c_i32_i8_e32 v170, v137, v21
	s_waitcnt lgkmcnt(3)
	v_dot4c_i32_i8_e32 v170, v164, v14
	v_dot4c_i32_i8_e32 v170, v165, v15
	s_waitcnt lgkmcnt(2)
	v_dot4c_i32_i8_e32 v170, v166, v16
	v_dot4c_i32_i8_e32 v170, v167, v17
	s_waitcnt lgkmcnt(0)
	v_and_b32_e32 v136, 0xff, v138
	v_add_u32_e32 v164, 0x4130, v131
	v_add_u32_e32 v166, 0x4138, v131
	v_mul_lo_u32 v136, v170, v136
	v_cvt_f32_i32_e32 v181, v136
	v_add_u32_e32 v136, 0x4128, v131
	ds_read2_b32 v[136:137], v136 offset1:1
	v_mov_b32_e32 v170, 0
	v_dot4c_i32_i8_e32 v170, v168, v10
	v_add_u32_e32 v168, 0x6180, v131
	v_dot4c_i32_i8_e32 v170, v169, v11
	ds_read2_b32 v[164:165], v164 offset1:1
	ds_read2_b32 v[166:167], v166 offset1:1
	;; [unrolled: 1-line block ×3, first 2 shown]
	s_waitcnt lgkmcnt(3)
	v_dot4c_i32_i8_e32 v170, v136, v12
	v_dot4c_i32_i8_e32 v170, v137, v13
	s_waitcnt lgkmcnt(2)
	v_dot4c_i32_i8_e32 v170, v164, v6
	v_dot4c_i32_i8_e32 v170, v165, v7
	;; [unrolled: 3-line block ×3, first 2 shown]
	v_bfe_u32 v136, v138, 8, 8
	v_add_u32_e32 v137, 0x6198, v131
	v_mov_b32_e32 v190, 0
	v_mul_lo_u32 v136, v170, v136
	v_mov_b32_e32 v170, 0
	s_waitcnt lgkmcnt(0)
	v_dot4c_i32_i8_e32 v170, v168, v18
	v_add_u32_e32 v18, 0x6188, v131
	v_dot4c_i32_i8_e32 v170, v169, v19
	ds_read2_b32 v[18:19], v18 offset1:1
	v_cvt_f32_i32_e32 v183, v136
	v_add_u32_e32 v136, 0x6190, v131
	v_add_u32_e32 v168, 0x61a0, v131
	ds_read2_b32 v[164:165], v136 offset1:1
	ds_read2_b32 v[166:167], v137 offset1:1
	;; [unrolled: 1-line block ×3, first 2 shown]
	s_waitcnt lgkmcnt(3)
	v_dot4c_i32_i8_e32 v170, v18, v20
	ds_read2_b32 v[136:137], v149 offset1:2
	v_dot4c_i32_i8_e32 v170, v19, v21
	s_waitcnt lgkmcnt(3)
	v_dot4c_i32_i8_e32 v170, v164, v14
	v_mov_b32_e32 v18, 0
	v_dot4c_i32_i8_e32 v170, v165, v15
	s_waitcnt lgkmcnt(1)
	v_dot4c_i32_i8_e32 v18, v168, v10
	v_add_u32_e32 v10, 0x61a8, v131
	v_dot4c_i32_i8_e32 v170, v166, v16
	v_dot4c_i32_i8_e32 v18, v169, v11
	ds_read2_b32 v[10:11], v10 offset1:1
	v_dot4c_i32_i8_e32 v170, v167, v17
	s_waitcnt lgkmcnt(1)
	v_and_b32_e32 v14, 0xff, v136
	v_add_u32_e32 v16, 0x61b8, v131
	v_add_u32_e32 v19, 0x20c0, v131
	v_mul_lo_u32 v14, v170, v14
	v_cvt_f32_i32_e32 v186, v14
	v_add_u32_e32 v14, 0x61b0, v131
	ds_read2_b32 v[14:15], v14 offset1:1
	ds_read2_b32 v[16:17], v16 offset1:1
	;; [unrolled: 1-line block ×3, first 2 shown]
	s_waitcnt lgkmcnt(3)
	v_dot4c_i32_i8_e32 v18, v10, v12
	v_dot4c_i32_i8_e32 v18, v11, v13
	s_waitcnt lgkmcnt(2)
	v_dot4c_i32_i8_e32 v18, v14, v6
	v_dot4c_i32_i8_e32 v18, v15, v7
	;; [unrolled: 3-line block ×3, first 2 shown]
	v_bfe_u32 v6, v136, 8, 8
	v_lshrrev_b32_e32 v163, 24, v134
	v_cvt_f32_ubyte0_e32 v177, v141
	v_mul_lo_u32 v6, v18, v6
	v_cvt_f32_i32_e32 v188, v6
	ds_read_b128 v[18:21], v121 offset:64
	ds_read_b128 v[14:17], v121 offset:80
	;; [unrolled: 1-line block ×4, first 2 shown]
	ds_read2_b32 v[166:167], v131 offset0:18 offset1:19
	s_waitcnt lgkmcnt(4)
	v_dot4c_i32_i8_e32 v190, v142, v18
	v_dot4c_i32_i8_e32 v190, v143, v19
	ds_read2_b32 v[142:143], v131 offset0:20 offset1:21
	ds_read2_b32 v[168:169], v131 offset0:22 offset1:23
	;; [unrolled: 1-line block ×3, first 2 shown]
	v_cvt_f32_ubyte0_e32 v182, v139
	s_waitcnt lgkmcnt(3)
	v_dot4c_i32_i8_e32 v190, v166, v20
	v_mov_b32_e32 v166, 0
	v_dot4c_i32_i8_e32 v190, v167, v21
	s_waitcnt lgkmcnt(0)
	v_dot4c_i32_i8_e32 v166, v170, v10
	v_dot4c_i32_i8_e32 v166, v171, v11
	;; [unrolled: 1-line block ×10, first 2 shown]
	v_cvt_f32_f16_e32 v155, v4
	v_cvt_f32_f16_sdwa v143, v4 dst_sel:DWORD dst_unused:UNUSED_PAD src0_sel:WORD_1
	v_and_b32_e32 v4, 0xff, v134
	v_bfe_u32 v156, v134, 16, 8
	v_dot4c_i32_i8_e32 v166, v158, v8
	v_mul_lo_u32 v4, v161, v4
	v_mul_lo_u32 v156, v190, v156
	v_dot4c_i32_i8_e32 v166, v159, v9
	v_cvt_f32_f16_e32 v154, v2
	v_cvt_f32_i32_e32 v159, v156
	v_cvt_f32_i32_e32 v158, v4
	v_bfe_u32 v134, v134, 8, 8
	v_mul_lo_u32 v134, v172, v134
	v_cvt_f32_f16_sdwa v142, v2 dst_sel:DWORD dst_unused:UNUSED_PAD src0_sel:WORD_1
	v_pk_fma_f32 v[158:159], v[154:155], v[158:159], 0 op_sel_hi:[1,1,0]
	v_mul_lo_u32 v154, v166, v163
	v_cvt_f32_f16_e32 v157, v5
	v_cvt_f32_f16_e32 v156, v3
	v_cvt_f32_i32_e32 v167, v154
	v_cvt_f32_i32_e32 v166, v134
	v_cvt_f32_f16_sdwa v5, v5 dst_sel:DWORD dst_unused:UNUSED_PAD src0_sel:WORD_1
	v_cvt_f32_f16_sdwa v4, v3 dst_sel:DWORD dst_unused:UNUSED_PAD src0_sel:WORD_1
	v_cvt_f32_ubyte2_e32 v169, v135
	v_cvt_f32_ubyte0_e32 v168, v135
	v_cvt_f32_ubyte0_e32 v187, v137
	v_pk_fma_f32 v[168:169], v[142:143], v[168:169], 0 op_sel_hi:[1,1,0]
	v_pk_fma_f32 v[158:159], v[156:157], v[166:167], v[158:159]
	v_cvt_f32_ubyte3_e32 v167, v135
	v_cvt_f32_ubyte1_e32 v166, v135
	v_fma_mix_f32 v154, v2, v181, 0 op_sel_hi:[1,0,0]
	v_cvt_f32_ubyte1_e32 v189, v137
	v_pk_fma_f32 v[134:135], v[4:5], v[166:167], v[168:169]
	v_fma_mix_f32 v4, v2, v176, 0 op_sel_hi:[1,0,0]
	v_fma_mix_f32 v142, v2, v177, 0 op_sel:[1,0,0] op_sel_hi:[1,0,0]
	v_fma_mix_f32 v156, v2, v182, 0 op_sel:[1,0,0] op_sel_hi:[1,0,0]
	v_fma_mix_f32 v166, v3, v183, v154 op_sel_hi:[1,0,0]
	v_fma_mix_f32 v154, v2, v186, 0 op_sel_hi:[1,0,0]
	v_fma_mix_f32 v2, v2, v187, 0 op_sel:[1,0,0] op_sel_hi:[1,0,0]
	v_cvt_f32_ubyte1_e32 v179, v141
	v_cvt_f32_ubyte1_e32 v184, v139
	v_fma_mix_f32 v169, v3, v189, v2 op_sel:[1,0,0] op_sel_hi:[1,0,0]
	v_add_u32_e32 v2, 0x20c8, v131
	v_fma_mix_f32 v4, v3, v178, v4 op_sel_hi:[1,0,0]
	v_fma_mix_f32 v142, v3, v179, v142 op_sel:[1,0,0] op_sel_hi:[1,0,0]
	v_fma_mix_f32 v167, v3, v184, v156 op_sel:[1,0,0] op_sel_hi:[1,0,0]
	v_fma_mix_f32 v168, v3, v188, v154 op_sel_hi:[1,0,0]
	ds_read2_b32 v[2:3], v2 offset1:1
	v_pk_mul_f32 v[134:135], v[134:135], v[162:163] op_sel_hi:[1,0]
	v_mov_b32_e32 v154, 0
	v_pk_fma_f32 v[134:135], v[158:159], v[160:161], v[134:135] op_sel_hi:[1,0,1] neg_lo:[0,0,1] neg_hi:[0,0,1]
	v_dot4c_i32_i8_e32 v154, v164, v18
	v_add_u32_e32 v156, 0x20d0, v131
	v_add_u32_e32 v160, 0x20d8, v131
	;; [unrolled: 1-line block ×3, first 2 shown]
	v_dot4c_i32_i8_e32 v154, v165, v19
	ds_read2_b32 v[158:159], v156 offset1:1
	ds_read2_b32 v[160:161], v160 offset1:1
	;; [unrolled: 1-line block ×3, first 2 shown]
	s_waitcnt lgkmcnt(3)
	v_dot4c_i32_i8_e32 v154, v2, v20
	v_dot4c_i32_i8_e32 v154, v3, v21
	s_waitcnt lgkmcnt(2)
	v_dot4c_i32_i8_e32 v154, v158, v14
	v_dot4c_i32_i8_e32 v154, v159, v15
	;; [unrolled: 3-line block ×3, first 2 shown]
	v_bfe_u32 v2, v140, 16, 8
	v_lshrrev_b32_e32 v175, 24, v140
	v_mov_b32_e32 v140, 0
	v_mul_lo_u32 v2, v154, v2
	v_add_u32_e32 v154, 0x20e8, v131
	ds_read2_b32 v[158:159], v154 offset1:1
	s_waitcnt lgkmcnt(1)
	v_dot4c_i32_i8_e32 v140, v162, v10
	v_add_u32_e32 v156, 0x20f0, v131
	v_add_u32_e32 v162, 0x20f8, v131
	v_dot4c_i32_i8_e32 v140, v163, v11
	v_add_u32_e32 v154, 0x4140, v131
	ds_read2_b32 v[160:161], v156 offset1:1
	ds_read2_b32 v[162:163], v162 offset1:1
	;; [unrolled: 1-line block ×3, first 2 shown]
	s_waitcnt lgkmcnt(3)
	v_dot4c_i32_i8_e32 v140, v158, v12
	v_dot4c_i32_i8_e32 v140, v159, v13
	s_waitcnt lgkmcnt(2)
	v_dot4c_i32_i8_e32 v140, v160, v6
	v_dot4c_i32_i8_e32 v140, v161, v7
	s_waitcnt lgkmcnt(1)
	v_dot4c_i32_i8_e32 v140, v162, v8
	v_cvt_f32_f16_sdwa v159, v173 dst_sel:DWORD dst_unused:UNUSED_PAD src0_sel:WORD_1
	v_dot4c_i32_i8_e32 v140, v163, v9
	v_cvt_f32_i32_e32 v2, v2
	v_cvt_f32_f16_e32 v158, v173
	v_mul_f32_e32 v142, v142, v159
	v_mul_lo_u32 v140, v140, v175
	v_cvt_f32_i32_e32 v140, v140
	v_cvt_f32_ubyte2_e32 v3, v141
	v_fma_mix_f32 v161, v4, v173, -v142 op_sel_hi:[0,1,0]
	v_mov_b32_e32 v142, v155
	v_cvt_f32_ubyte3_e32 v141, v141
	v_pk_fma_f32 v[2:3], v[142:143], v[2:3], 0 op_sel_hi:[1,1,0]
	v_mov_b32_e32 v4, v157
	v_pk_fma_f32 v[2:3], v[4:5], v[140:141], v[2:3]
	v_pk_mul_f32 v[140:141], v[2:3], v[158:159]
	v_mov_b32_e32 v141, v140
	v_mov_b32_e32 v160, v134
	v_pk_fma_f32 v[2:3], v[2:3], v[158:159], v[140:141] neg_lo:[1,0,0] neg_hi:[1,0,0]
	v_pk_add_f32 v[122:123], v[122:123], v[160:161]
	v_mov_b32_e32 v2, v135
	v_pk_add_f32 v[122:123], v[122:123], v[2:3]
	v_add_u32_e32 v2, 0x4148, v131
	ds_read2_b32 v[2:3], v2 offset1:1
	v_mov_b32_e32 v156, 0
	s_waitcnt lgkmcnt(1)
	v_dot4c_i32_i8_e32 v156, v164, v18
	v_add_u32_e32 v134, 0x4150, v131
	v_add_u32_e32 v140, 0x4158, v131
	v_add_u32_e32 v154, 0x4160, v131
	v_dot4c_i32_i8_e32 v156, v165, v19
	ds_read2_b32 v[134:135], v134 offset1:1
	ds_read2_b32 v[140:141], v140 offset1:1
	ds_read2_b32 v[154:155], v154 offset1:1
	s_waitcnt lgkmcnt(3)
	v_dot4c_i32_i8_e32 v156, v2, v20
	v_dot4c_i32_i8_e32 v156, v3, v21
	s_waitcnt lgkmcnt(2)
	v_dot4c_i32_i8_e32 v156, v134, v14
	v_add_u32_e32 v134, 0x4168, v131
	v_dot4c_i32_i8_e32 v156, v135, v15
	ds_read2_b32 v[134:135], v134 offset1:1
	s_waitcnt lgkmcnt(2)
	v_dot4c_i32_i8_e32 v156, v140, v16
	v_lshrrev_b32_e32 v180, 24, v138
	v_dot4c_i32_i8_e32 v156, v141, v17
	v_bfe_u32 v2, v138, 16, 8
	v_mov_b32_e32 v138, 0
	s_waitcnt lgkmcnt(1)
	v_dot4c_i32_i8_e32 v138, v154, v10
	v_mul_lo_u32 v2, v156, v2
	v_add_u32_e32 v140, 0x4170, v131
	v_add_u32_e32 v154, 0x4178, v131
	v_add_u32_e32 v156, 0x61c0, v131
	v_dot4c_i32_i8_e32 v138, v155, v11
	ds_read2_b32 v[140:141], v140 offset1:1
	ds_read2_b32 v[154:155], v154 offset1:1
	;; [unrolled: 1-line block ×3, first 2 shown]
	s_waitcnt lgkmcnt(3)
	v_dot4c_i32_i8_e32 v138, v134, v12
	v_dot4c_i32_i8_e32 v138, v135, v13
	s_waitcnt lgkmcnt(2)
	v_dot4c_i32_i8_e32 v138, v140, v6
	v_dot4c_i32_i8_e32 v138, v141, v7
	s_waitcnt lgkmcnt(1)
	v_dot4c_i32_i8_e32 v138, v154, v8
	v_dot4c_i32_i8_e32 v138, v155, v9
	v_cvt_f32_i32_e32 v2, v2
	v_cvt_f32_f16_sdwa v135, v174 dst_sel:DWORD dst_unused:UNUSED_PAD src0_sel:WORD_1
	v_cvt_f32_ubyte2_e32 v3, v139
	v_mul_lo_u32 v134, v138, v180
	v_cvt_f32_i32_e32 v138, v134
	v_cvt_f32_f16_e32 v134, v174
	v_cvt_f32_ubyte3_e32 v139, v139
	v_pk_fma_f32 v[2:3], v[142:143], v[2:3], 0 op_sel_hi:[1,1,0]
	v_mul_f32_e32 v140, v167, v135
	v_pk_fma_f32 v[2:3], v[4:5], v[138:139], v[2:3]
	v_fma_mix_f32 v140, v166, v174, -v140 op_sel_hi:[0,1,0]
	v_pk_mul_f32 v[2:3], v[2:3], v[134:135]
	v_add_f32_e32 v99, v99, v140
	v_sub_f32_e32 v2, v2, v3
	v_add_f32_e32 v99, v99, v2
	v_add_u32_e32 v2, 0x61c8, v131
	ds_read2_b32 v[2:3], v2 offset1:1
	v_mov_b32_e32 v140, 0
	s_waitcnt lgkmcnt(1)
	v_dot4c_i32_i8_e32 v140, v156, v18
	v_add_u32_e32 v18, 0x61d0, v131
	v_add_u32_e32 v134, 0x61d8, v131
	;; [unrolled: 1-line block ×3, first 2 shown]
	v_dot4c_i32_i8_e32 v140, v157, v19
	ds_read2_b32 v[18:19], v18 offset1:1
	ds_read2_b32 v[134:135], v134 offset1:1
	;; [unrolled: 1-line block ×3, first 2 shown]
	s_waitcnt lgkmcnt(3)
	v_dot4c_i32_i8_e32 v140, v2, v20
	v_dot4c_i32_i8_e32 v140, v3, v21
	s_waitcnt lgkmcnt(2)
	v_dot4c_i32_i8_e32 v140, v18, v14
	v_mov_b32_e32 v18, 0
	s_waitcnt lgkmcnt(0)
	v_dot4c_i32_i8_e32 v18, v138, v10
	v_add_u32_e32 v10, 0x61e8, v131
	v_dot4c_i32_i8_e32 v18, v139, v11
	ds_read2_b32 v[10:11], v10 offset1:1
	v_add_u32_e32 v14, 0x61f0, v131
	v_dot4c_i32_i8_e32 v140, v19, v15
	ds_read2_b32 v[14:15], v14 offset1:1
	v_dot4c_i32_i8_e32 v140, v134, v16
	v_add_u32_e32 v16, 0x61f8, v131
	v_dot4c_i32_i8_e32 v140, v135, v17
	ds_read2_b32 v[16:17], v16 offset1:1
	s_waitcnt lgkmcnt(2)
	v_dot4c_i32_i8_e32 v18, v10, v12
	v_dot4c_i32_i8_e32 v18, v11, v13
	s_waitcnt lgkmcnt(1)
	v_dot4c_i32_i8_e32 v18, v14, v6
	v_dot4c_i32_i8_e32 v18, v15, v7
	v_bfe_u32 v2, v136, 16, 8
	s_waitcnt lgkmcnt(0)
	v_dot4c_i32_i8_e32 v18, v16, v8
	v_lshrrev_b32_e32 v185, 24, v136
	v_mul_lo_u32 v2, v140, v2
	v_dot4c_i32_i8_e32 v18, v17, v9
	v_cvt_f32_i32_e32 v2, v2
	v_cvt_f32_f16_sdwa v7, v153 dst_sel:DWORD dst_unused:UNUSED_PAD src0_sel:WORD_1
	v_cvt_f32_ubyte2_e32 v3, v137
	v_mul_lo_u32 v6, v18, v185
	v_cvt_f32_i32_e32 v8, v6
	v_cvt_f32_f16_e32 v6, v153
	v_cvt_f32_ubyte3_e32 v9, v137
	v_pk_fma_f32 v[2:3], v[142:143], v[2:3], 0 op_sel_hi:[1,1,0]
	v_mul_f32_e32 v10, v169, v7
	v_pk_fma_f32 v[2:3], v[4:5], v[8:9], v[2:3]
	v_fma_mix_f32 v10, v168, v153, -v10 op_sel_hi:[0,1,0]
	v_pk_mul_f32 v[2:3], v[2:3], v[6:7]
	v_add_f32_e32 v10, v79, v10
	v_sub_f32_e32 v2, v2, v3
	v_add_f32_e32 v79, v10, v2
	s_cmp_ge_i32 s10, s9
	s_barrier
	s_cbranch_scc1 .LBB234_5
; %bb.13:                               ;   in Loop: Header=BB234_6 Depth=1
	v_cmp_gt_i32_e32 vcc, s12, v144
	s_and_b64 s[22:23], s[2:3], vcc
	s_and_saveexec_b64 s[4:5], s[22:23]
	s_cbranch_execz .LBB234_15
; %bb.14:                               ;   in Loop: Header=BB234_6 Depth=1
	v_add_u32_e32 v2, v56, v144
	v_mad_i64_i32 v[2:3], s[22:23], v2, 36, v[54:55]
	global_load_dword v2, v[2:3], off offset:4
	s_waitcnt vmcnt(0)
	ds_write_b32 v115, v2
.LBB234_15:                             ;   in Loop: Header=BB234_6 Depth=1
	s_or_b64 exec, exec, s[4:5]
	s_and_saveexec_b64 s[4:5], s[0:1]
	s_cbranch_execz .LBB234_4
; %bb.16:                               ;   in Loop: Header=BB234_6 Depth=1
	v_add_u32_e32 v2, 4, v103
	v_cmp_gt_i32_e32 vcc, s12, v2
	s_and_b64 s[22:23], s[2:3], vcc
	s_and_b64 exec, exec, s[22:23]
	s_cbranch_execz .LBB234_4
; %bb.17:                               ;   in Loop: Header=BB234_6 Depth=1
	v_ashrrev_i32_e32 v2, 31, v103
	v_add_co_u32_e32 v3, vcc, v56, v103
	v_addc_co_u32_e32 v4, vcc, v1, v2, vcc
	v_mad_u64_u32 v[2:3], s[22:23], v3, 36, s[6:7]
	v_mad_i32_i24 v3, v4, 36, v3
	global_load_dword v2, v[2:3], off
	s_waitcnt vmcnt(0)
	ds_write_b32 v117, v2
	s_branch .LBB234_4
.LBB234_18:
	v_mov_b32_e32 v99, 0
	v_mov_b32_e32 v123, 0
	;; [unrolled: 1-line block ×3, first 2 shown]
.LBB234_19:
	s_mul_i32 s0, s14, s11
	s_waitcnt vmcnt(0)
	v_cmp_gt_i32_e32 vcc, s0, v101
	s_and_saveexec_b64 s[0:1], vcc
	s_cbranch_execz .LBB234_28
; %bb.20:
	v_and_b32_e32 v0, 0x3ff, v0
	v_add_u32_e32 v1, s15, v0
	v_mul_lo_u32 v0, v101, s13
	v_cmp_gt_u32_e32 vcc, s13, v1
	s_and_saveexec_b64 s[0:1], vcc
	s_cbranch_execz .LBB234_22
; %bb.21:
	v_bfe_u32 v2, v122, 16, 1
	s_movk_i32 s2, 0x7fff
	v_add3_u32 v2, v122, v2, s2
	v_lshrrev_b32_e32 v2, 16, v2
	v_mov_b32_e32 v3, 0x7fc0
	v_cmp_o_f32_e32 vcc, v122, v122
	v_cndmask_b32_e32 v4, v3, v2, vcc
	v_add_u32_e32 v2, v0, v1
	v_mov_b32_e32 v3, 0
	v_lshlrev_b64 v[2:3], 1, v[2:3]
	v_mov_b32_e32 v5, s21
	v_add_co_u32_e32 v2, vcc, s20, v2
	v_addc_co_u32_e32 v3, vcc, v5, v3, vcc
	global_store_short v[2:3], v4, off
.LBB234_22:
	s_or_b64 exec, exec, s[0:1]
	v_add_u32_e32 v2, 32, v1
	v_cmp_gt_u32_e32 vcc, s13, v2
	s_and_saveexec_b64 s[0:1], vcc
	s_cbranch_execz .LBB234_24
; %bb.23:
	v_bfe_u32 v3, v123, 16, 1
	s_movk_i32 s2, 0x7fff
	v_add3_u32 v3, v123, v3, s2
	v_lshrrev_b32_e32 v3, 16, v3
	v_mov_b32_e32 v4, 0x7fc0
	v_cmp_o_f32_e32 vcc, v123, v123
	v_cndmask_b32_e32 v4, v4, v3, vcc
	v_add_u32_e32 v2, v0, v2
	v_mov_b32_e32 v3, 0
	v_lshlrev_b64 v[2:3], 1, v[2:3]
	v_mov_b32_e32 v5, s21
	v_add_co_u32_e32 v2, vcc, s20, v2
	v_addc_co_u32_e32 v3, vcc, v5, v3, vcc
	global_store_short v[2:3], v4, off
.LBB234_24:
	s_or_b64 exec, exec, s[0:1]
	v_add_u32_e32 v2, 64, v1
	;; [unrolled: 21-line block ×3, first 2 shown]
	v_cmp_gt_u32_e32 vcc, s13, v1
	s_and_b64 exec, exec, vcc
	s_cbranch_execz .LBB234_28
; %bb.27:
	v_bfe_u32 v2, v79, 16, 1
	s_movk_i32 s0, 0x7fff
	v_add3_u32 v2, v79, v2, s0
	v_add_u32_e32 v0, v0, v1
	v_mov_b32_e32 v1, 0
	v_lshrrev_b32_e32 v2, 16, v2
	v_mov_b32_e32 v3, 0x7fc0
	v_cmp_o_f32_e32 vcc, v79, v79
	v_lshlrev_b64 v[0:1], 1, v[0:1]
	v_cndmask_b32_e32 v2, v3, v2, vcc
	v_mov_b32_e32 v3, s21
	v_add_co_u32_e32 v0, vcc, s20, v0
	v_addc_co_u32_e32 v1, vcc, v3, v1, vcc
	global_store_short v[0:1], v2, off
.LBB234_28:
	s_endpgm
	.section	.rodata,"a",@progbits
	.p2align	6, 0x0
	.amdhsa_kernel _ZL8moe_q5_KIN3c108BFloat16ELb1EEvPKvS3_PT_PKiS7_S7_iiiiiii
		.amdhsa_group_segment_fixed_size 37072
		.amdhsa_private_segment_fixed_size 0
		.amdhsa_kernarg_size 76
		.amdhsa_user_sgpr_count 6
		.amdhsa_user_sgpr_private_segment_buffer 1
		.amdhsa_user_sgpr_dispatch_ptr 0
		.amdhsa_user_sgpr_queue_ptr 0
		.amdhsa_user_sgpr_kernarg_segment_ptr 1
		.amdhsa_user_sgpr_dispatch_id 0
		.amdhsa_user_sgpr_flat_scratch_init 0
		.amdhsa_user_sgpr_kernarg_preload_length 0
		.amdhsa_user_sgpr_kernarg_preload_offset 0
		.amdhsa_user_sgpr_private_segment_size 0
		.amdhsa_uses_dynamic_stack 0
		.amdhsa_system_sgpr_private_segment_wavefront_offset 0
		.amdhsa_system_sgpr_workgroup_id_x 1
		.amdhsa_system_sgpr_workgroup_id_y 1
		.amdhsa_system_sgpr_workgroup_id_z 0
		.amdhsa_system_sgpr_workgroup_info 0
		.amdhsa_system_vgpr_workitem_id 1
		.amdhsa_next_free_vgpr 191
		.amdhsa_next_free_sgpr 28
		.amdhsa_accum_offset 192
		.amdhsa_reserve_vcc 1
		.amdhsa_reserve_flat_scratch 0
		.amdhsa_float_round_mode_32 0
		.amdhsa_float_round_mode_16_64 0
		.amdhsa_float_denorm_mode_32 3
		.amdhsa_float_denorm_mode_16_64 3
		.amdhsa_dx10_clamp 1
		.amdhsa_ieee_mode 1
		.amdhsa_fp16_overflow 0
		.amdhsa_tg_split 0
		.amdhsa_exception_fp_ieee_invalid_op 0
		.amdhsa_exception_fp_denorm_src 0
		.amdhsa_exception_fp_ieee_div_zero 0
		.amdhsa_exception_fp_ieee_overflow 0
		.amdhsa_exception_fp_ieee_underflow 0
		.amdhsa_exception_fp_ieee_inexact 0
		.amdhsa_exception_int_div_zero 0
	.end_amdhsa_kernel
	.section	.text._ZL8moe_q5_KIN3c108BFloat16ELb1EEvPKvS3_PT_PKiS7_S7_iiiiiii,"axG",@progbits,_ZL8moe_q5_KIN3c108BFloat16ELb1EEvPKvS3_PT_PKiS7_S7_iiiiiii,comdat
.Lfunc_end234:
	.size	_ZL8moe_q5_KIN3c108BFloat16ELb1EEvPKvS3_PT_PKiS7_S7_iiiiiii, .Lfunc_end234-_ZL8moe_q5_KIN3c108BFloat16ELb1EEvPKvS3_PT_PKiS7_S7_iiiiiii
                                        ; -- End function
	.section	.AMDGPU.csdata,"",@progbits
; Kernel info:
; codeLenInByte = 11516
; NumSgprs: 32
; NumVgprs: 191
; NumAgprs: 0
; TotalNumVgprs: 191
; ScratchSize: 0
; MemoryBound: 0
; FloatMode: 240
; IeeeMode: 1
; LDSByteSize: 37072 bytes/workgroup (compile time only)
; SGPRBlocks: 3
; VGPRBlocks: 23
; NumSGPRsForWavesPerEU: 32
; NumVGPRsForWavesPerEU: 191
; AccumOffset: 192
; Occupancy: 1
; WaveLimiterHint : 1
; COMPUTE_PGM_RSRC2:SCRATCH_EN: 0
; COMPUTE_PGM_RSRC2:USER_SGPR: 6
; COMPUTE_PGM_RSRC2:TRAP_HANDLER: 0
; COMPUTE_PGM_RSRC2:TGID_X_EN: 1
; COMPUTE_PGM_RSRC2:TGID_Y_EN: 1
; COMPUTE_PGM_RSRC2:TGID_Z_EN: 0
; COMPUTE_PGM_RSRC2:TIDIG_COMP_CNT: 1
; COMPUTE_PGM_RSRC3_GFX90A:ACCUM_OFFSET: 47
; COMPUTE_PGM_RSRC3_GFX90A:TG_SPLIT: 0
	.section	.text._ZL8moe_q6_KIN3c108BFloat16ELb0EEvPKvS3_PT_PKiS7_S7_iiiiiii,"axG",@progbits,_ZL8moe_q6_KIN3c108BFloat16ELb0EEvPKvS3_PT_PKiS7_S7_iiiiiii,comdat
	.globl	_ZL8moe_q6_KIN3c108BFloat16ELb0EEvPKvS3_PT_PKiS7_S7_iiiiiii ; -- Begin function _ZL8moe_q6_KIN3c108BFloat16ELb0EEvPKvS3_PT_PKiS7_S7_iiiiiii
	.p2align	8
	.type	_ZL8moe_q6_KIN3c108BFloat16ELb0EEvPKvS3_PT_PKiS7_S7_iiiiiii,@function
_ZL8moe_q6_KIN3c108BFloat16ELb0EEvPKvS3_PT_PKiS7_S7_iiiiiii: ; @_ZL8moe_q6_KIN3c108BFloat16ELb0EEvPKvS3_PT_PKiS7_S7_iiiiiii
; %bb.0:
	s_load_dwordx4 s[0:3], s[4:5], 0x18
	s_mov_b32 s8, s7
	s_mov_b32 s9, 0
	s_lshl_b64 s[10:11], s[8:9], 2
	s_waitcnt lgkmcnt(0)
	s_add_u32 s2, s2, s10
	s_addc_u32 s3, s3, s11
	s_load_dword s2, s[2:3], 0x0
	s_waitcnt lgkmcnt(0)
	s_cmpk_gt_u32 s2, 0xff
	s_cbranch_scc1 .LBB235_28
; %bb.1:
	s_load_dwordx2 s[10:11], s[4:5], 0x28
	s_lshl_b32 s3, s8, 3
	s_waitcnt lgkmcnt(0)
	s_load_dword s7, s[10:11], 0x0
	s_waitcnt lgkmcnt(0)
	s_cmp_gt_u32 s3, s7
	s_cbranch_scc1 .LBB235_28
; %bb.2:
	v_bfe_u32 v4, v0, 10, 10
	v_add_u32_e32 v70, s3, v4
	v_mov_b32_e32 v71, 0
	v_lshlrev_b64 v[2:3], 2, v[70:71]
	v_mov_b32_e32 v1, s1
	v_add_co_u32_e32 v2, vcc, s0, v2
	v_addc_co_u32_e32 v3, vcc, v1, v3, vcc
	global_load_dword v104, v[2:3], off
	s_load_dwordx2 s[14:15], s[4:5], 0x30
	s_load_dwordx2 s[12:13], s[4:5], 0x10
	s_load_dwordx4 s[8:11], s[4:5], 0x3c
	s_lshl_b32 s18, s6, 7
	s_waitcnt lgkmcnt(0)
	s_cmpk_lt_i32 s15, 0x100
	s_cbranch_scc1 .LBB235_18
; %bb.3:
	v_and_b32_e32 v105, 0x3ff, v0
	v_and_b32_e32 v1, 31, v105
	s_ashr_i32 s0, s15, 31
	v_add_u16_e32 v2, -16, v1
	v_cmp_gt_u32_e32 vcc, 16, v1
	s_lshr_b32 s0, s0, 24
	v_cndmask_b32_e32 v2, v2, v1, vcc
	s_add_i32 s0, s15, s0
	v_cmp_lt_u16_e32 vcc, 7, v2
	s_ashr_i32 s19, s0, 8
	s_ashr_i32 s0, s9, 31
	v_cndmask_b32_e64 v2, 0, 1, vcc
	v_cmp_lt_u32_e32 vcc, 15, v1
	s_lshr_b32 s0, s0, 27
	v_lshlrev_b32_e32 v106, 1, v2
	v_cndmask_b32_e64 v2, 0, 1, vcc
	s_add_i32 s0, s9, s0
	v_lshlrev_b32_e32 v9, 5, v2
	s_ashr_i32 s9, s0, 5
	v_and_or_b32 v2, v105, 15, v9
	v_mul_u32_u24_e32 v3, 0x41, v4
	s_lshl_b32 s0, s19, 3
	v_add_lshl_u32 v107, v2, v3, 2
	v_mov_b32_e32 v2, s0
	v_mad_i32_i24 v11, s19, v4, v2
	v_lshlrev_b32_e32 v2, 5, v4
	v_add_u32_e32 v3, v2, v105
	v_and_b32_e32 v7, 0x7f, v3
	v_lshrrev_b32_e32 v22, 3, v3
	s_mul_i32 s14, s2, s14
	v_mul_i32_i24_e32 v39, s19, v7
	v_and_b32_e32 v22, 12, v22
	v_lshlrev_b32_e32 v7, 2, v7
	s_mov_b32 s2, 0x8e40
	v_add3_u32 v123, v7, v22, s2
	v_lshlrev_b32_e32 v7, 3, v4
	v_lshrrev_b32_e32 v22, 2, v105
	v_add_u32_e32 v23, v22, v7
	v_and_b32_e32 v24, 3, v105
	v_add_u16_e32 v7, v22, v7
	v_lshlrev_b32_e32 v33, 2, v24
	v_and_b32_e32 v23, 0x7f, v23
	v_lshrrev_b16_e32 v7, 1, v7
	s_load_dwordx4 s[4:7], s[4:5], 0x0
	v_lshl_or_b32 v24, v23, 4, v33
	v_and_b32_e32 v7, 60, v7
	s_mov_b32 s3, 0x8200
	v_add3_u32 v124, v24, v7, s3
	v_xor_b32_e32 v7, 64, v23
	v_mul_i32_i24_e32 v27, s19, v7
	v_lshl_or_b32 v22, v7, 4, v33
	v_lshrrev_b32_e32 v7, 1, v7
	v_lshlrev_b32_e32 v10, 2, v1
	v_and_b32_e32 v7, 60, v7
	v_or_b32_e32 v1, v2, v1
	v_lshlrev_b32_e32 v2, 2, v105
	v_add3_u32 v125, v22, v7, s3
	v_and_b32_e32 v7, 28, v2
	s_waitcnt lgkmcnt(0)
	v_add_co_u32_e32 v22, vcc, s6, v7
	v_mov_b32_e32 v7, 0x8a40
	s_movk_i32 s16, 0xffe4
	v_lshl_add_u32 v126, v1, 2, v7
	v_mad_i32_i24 v1, v4, s16, v3
	v_mov_b32_e32 v3, 0x9050
	v_lshrrev_b32_e32 v128, 3, v105
	v_lshrrev_b32_e32 v5, 5, v105
	v_lshl_add_u32 v127, v1, 2, v3
	v_lshlrev_b32_e32 v1, 2, v128
	v_lshlrev_b32_e32 v3, 4, v105
	v_add3_u32 v131, v3, v1, s3
	v_lshlrev_b32_e32 v1, 2, v5
	v_add3_u32 v133, v1, v2, s2
	v_add_u32_e32 v1, 32, v105
	v_lshrrev_b32_e32 v134, 3, v1
	v_lshlrev_b32_e32 v3, 2, v134
	v_lshlrev_b32_e32 v1, 4, v1
	v_add3_u32 v135, v3, v1, s3
	v_and_b32_e32 v1, 60, v134
	v_add3_u32 v136, v2, v1, s2
	v_add_u32_e32 v1, 64, v105
	v_lshrrev_b32_e32 v3, 3, v1
	v_lshl_add_u32 v129, v4, 7, v7
	v_lshlrev_b32_e32 v7, 2, v3
	v_lshlrev_b32_e32 v1, 4, v1
	s_abs_i32 s16, s11
	v_add3_u32 v137, v7, v1, s3
	v_and_b32_e32 v1, 60, v3
	v_cvt_f32_u32_e32 v24, s16
	v_add3_u32 v138, v2, v1, s2
	v_add_u32_e32 v1, 0x60, v105
	v_lshrrev_b32_e32 v3, 3, v1
	v_lshlrev_b32_e32 v7, 2, v3
	v_lshlrev_b32_e32 v1, 4, v1
	v_add3_u32 v139, v7, v1, s3
	v_and_b32_e32 v1, 60, v3
	v_rcp_iflag_f32_e32 v3, v24
	v_add3_u32 v140, v2, v1, s2
	s_sub_i32 s2, 0, s16
	v_mul_i32_i24_e32 v34, s19, v23
	v_mul_f32_e32 v2, 0x4f7ffffe, v3
	v_cvt_u32_f32_e32 v2, v2
	s_waitcnt vmcnt(0)
	v_sub_u32_e32 v3, 0, v104
	v_max_i32_e32 v3, v104, v3
	v_mov_b32_e32 v23, s7
	v_mul_lo_u32 v7, s2, v2
	v_mul_hi_u32 v7, v2, v7
	v_add_u32_e32 v2, v2, v7
	v_mul_hi_u32 v2, v3, v2
	v_mul_lo_u32 v7, v2, s16
	v_addc_co_u32_e32 v23, vcc, 0, v23, vcc
	v_sub_u32_e32 v3, v3, v7
	v_add_u32_e32 v7, 1, v2
	v_cmp_le_u32_e32 vcc, s16, v3
	v_cndmask_b32_e32 v2, v2, v7, vcc
	v_subrev_u32_e32 v7, s16, v3
	v_cndmask_b32_e32 v3, v3, v7, vcc
	v_xor_b32_e32 v1, s11, v104
	v_add_u32_e32 v7, 1, v2
	v_cmp_le_u32_e32 vcc, s16, v3
	s_mul_i32 s22, s19, s18
	v_ashrrev_i32_e32 v1, 31, v1
	v_cndmask_b32_e32 v2, v2, v7, vcc
	v_xor_b32_e32 v2, v2, v1
	s_mul_hi_i32 s27, s22, 0xd2
	s_mul_i32 s26, s22, 0xd2
	v_sub_u32_e32 v1, v2, v1
	s_movk_i32 s21, 0xd2
	v_pk_mov_b32 v[2:3], s[26:27], s[26:27] op_sel:[0,1]
	v_and_b32_e32 v8, 7, v105
	v_mul_i32_i24_e32 v6, s19, v4
	v_mad_u64_u32 v[2:3], s[28:29], v5, s21, v[2:3]
	v_mad_u64_u32 v[6:7], s[28:29], v6, s21, v[2:3]
	v_lshl_or_b32 v92, v8, 2, v9
	v_add_co_u32_e32 v5, vcc, v6, v92
	v_addc_co_u32_e32 v8, vcc, 0, v7, vcc
	v_mov_b32_e32 v94, s5
	v_add_co_u32_e32 v5, vcc, s4, v5
	v_addc_co_u32_e32 v8, vcc, v8, v94, vcc
	s_movk_i32 s20, 0x80
	v_add_co_u32_e32 v26, vcc, s20, v5
	v_addc_co_u32_e32 v25, vcc, 0, v8, vcc
	v_mad_u64_u32 v[8:9], s[28:29], v27, s21, 0
	v_mov_b32_e32 v5, 0xd2
	v_mad_i64_i32 v[8:9], s[28:29], s22, v5, v[8:9]
	v_add_co_u32_e32 v8, vcc, v8, v33
	v_addc_co_u32_e32 v9, vcc, 0, v9, vcc
	v_add_co_u32_e32 v8, vcc, s4, v8
	v_addc_co_u32_e32 v9, vcc, v9, v94, vcc
	s_movk_i32 s24, 0xc0
	v_add_co_u32_e32 v28, vcc, s24, v8
	v_addc_co_u32_e32 v27, vcc, 0, v9, vcc
	v_add_co_u32_e32 v6, vcc, v6, v10
	v_addc_co_u32_e32 v7, vcc, 0, v7, vcc
	;; [unrolled: 2-line block ×4, first 2 shown]
	v_mad_u64_u32 v[6:7], s[28:29], v11, s21, v[2:3]
	v_add_co_u32_e32 v8, vcc, v6, v92
	v_addc_co_u32_e32 v9, vcc, 0, v7, vcc
	v_add_co_u32_e32 v8, vcc, s4, v8
	v_addc_co_u32_e32 v9, vcc, v9, v94, vcc
	v_add_co_u32_e32 v32, vcc, s20, v8
	v_addc_co_u32_e32 v31, vcc, 0, v9, vcc
	v_mad_u64_u32 v[8:9], s[28:29], v34, s21, 0
	v_mad_i64_i32 v[8:9], s[22:23], s22, v5, v[8:9]
	v_add_co_u32_e32 v5, vcc, v8, v33
	v_addc_co_u32_e32 v8, vcc, 0, v9, vcc
	v_add_co_u32_e32 v5, vcc, s4, v5
	v_addc_co_u32_e32 v8, vcc, v8, v94, vcc
	;; [unrolled: 2-line block ×5, first 2 shown]
	v_add_u32_e32 v12, s0, v11
	v_add_co_u32_e32 v36, vcc, 2, v5
	v_addc_co_u32_e32 v35, vcc, 0, v6, vcc
	v_mad_u64_u32 v[6:7], s[22:23], v12, s21, v[2:3]
	s_ashr_i32 s25, s14, 31
	v_add_co_u32_e32 v5, vcc, v6, v92
	s_add_u32 s16, s6, 0x90
	v_addc_co_u32_e32 v8, vcc, 0, v7, vcc
	s_addc_u32 s17, s7, 0
	v_add_co_u32_e32 v5, vcc, s4, v5
	v_addc_co_u32_e32 v8, vcc, v8, v94, vcc
	s_add_u32 s22, s4, s26
	v_add_co_u32_e32 v38, vcc, s20, v5
	s_addc_u32 s23, s5, s27
	v_addc_co_u32_e32 v37, vcc, 0, v8, vcc
	v_pk_mov_b32 v[8:9], s[22:23], s[22:23] op_sel:[0,1]
	v_mad_u64_u32 v[8:9], s[22:23], v39, s21, v[8:9]
	s_movk_i32 s22, 0xd0
	v_add_co_u32_e32 v40, vcc, s22, v8
	v_addc_co_u32_e32 v39, vcc, 0, v9, vcc
	v_add_co_u32_e32 v5, vcc, v6, v10
	v_addc_co_u32_e32 v6, vcc, 0, v7, vcc
	v_add_co_u32_e32 v5, vcc, s4, v5
	v_addc_co_u32_e32 v6, vcc, v6, v94, vcc
	v_add_u32_e32 v13, s0, v12
	v_add_co_u32_e32 v42, vcc, 2, v5
	v_addc_co_u32_e32 v41, vcc, 0, v6, vcc
	v_mad_u64_u32 v[6:7], s[22:23], v13, s21, v[2:3]
	v_add_co_u32_e32 v5, vcc, v6, v92
	v_addc_co_u32_e32 v8, vcc, 0, v7, vcc
	v_add_co_u32_e32 v5, vcc, s4, v5
	v_addc_co_u32_e32 v8, vcc, v8, v94, vcc
	s_mul_i32 s22, s19, 0x78
	v_add_co_u32_e32 v44, vcc, s20, v5
	v_mov_b32_e32 v5, s22
	v_lshlrev_b32_e32 v130, 4, v4
	v_mad_i32_i24 v4, s19, v4, v5
	v_addc_co_u32_e32 v43, vcc, 0, v8, vcc
	v_mad_u64_u32 v[4:5], s[22:23], v4, s21, v[2:3]
	v_add_co_u32_e32 v8, vcc, v4, v10
	v_addc_co_u32_e32 v9, vcc, 0, v5, vcc
	v_mov_b32_e32 v11, s5
	v_add_co_u32_e32 v46, vcc, s4, v8
	v_addc_co_u32_e32 v45, vcc, v11, v9, vcc
	v_add_co_u32_e32 v6, vcc, v6, v10
	v_addc_co_u32_e32 v7, vcc, 0, v7, vcc
	;; [unrolled: 2-line block ×3, first 2 shown]
	v_add_u32_e32 v14, s0, v13
	v_add_co_u32_e32 v48, vcc, 2, v6
	v_addc_co_u32_e32 v47, vcc, 0, v7, vcc
	v_mad_u64_u32 v[6:7], s[22:23], v14, s21, v[2:3]
	v_add_co_u32_e32 v8, vcc, v6, v92
	v_addc_co_u32_e32 v9, vcc, 0, v7, vcc
	v_add_co_u32_e32 v8, vcc, s4, v8
	v_addc_co_u32_e32 v9, vcc, v9, v94, vcc
	;; [unrolled: 2-line block ×6, first 2 shown]
	v_add_co_u32_e32 v4, vcc, v6, v10
	v_add_u32_e32 v15, s0, v14
	v_addc_co_u32_e32 v5, vcc, 0, v7, vcc
	v_add_u32_e32 v16, s0, v15
	v_add_co_u32_e32 v4, vcc, s4, v4
	v_add_u32_e32 v17, s0, v16
	v_addc_co_u32_e32 v5, vcc, v5, v94, vcc
	v_add_u32_e32 v18, s0, v17
	v_add_co_u32_e32 v54, vcc, 2, v4
	v_add_u32_e32 v19, s0, v18
	v_addc_co_u32_e32 v53, vcc, 0, v5, vcc
	v_mad_u64_u32 v[4:5], s[22:23], v15, s21, v[2:3]
	v_add_u32_e32 v20, s0, v19
	v_add_co_u32_e32 v6, vcc, v4, v92
	v_add_u32_e32 v21, s0, v20
	v_addc_co_u32_e32 v7, vcc, 0, v5, vcc
	v_add_u32_e32 v71, s0, v21
	v_add_co_u32_e32 v6, vcc, s4, v6
	v_add_u32_e32 v69, s0, v71
	v_addc_co_u32_e32 v7, vcc, v7, v94, vcc
	v_add_u32_e32 v57, s0, v69
	v_add_co_u32_e32 v56, vcc, s20, v6
	v_addc_co_u32_e32 v55, vcc, 0, v7, vcc
	v_mad_u64_u32 v[6:7], s[22:23], v57, s21, v[2:3]
	v_add_co_u32_e32 v8, vcc, v6, v10
	v_addc_co_u32_e32 v9, vcc, 0, v7, vcc
	v_add_co_u32_e32 v58, vcc, s4, v8
	v_addc_co_u32_e32 v57, vcc, v11, v9, vcc
	v_add_co_u32_e32 v4, vcc, v4, v10
	v_addc_co_u32_e32 v5, vcc, 0, v5, vcc
	v_add_co_u32_e32 v4, vcc, s4, v4
	v_addc_co_u32_e32 v5, vcc, v5, v94, vcc
	v_add_co_u32_e32 v60, vcc, 2, v4
	v_addc_co_u32_e32 v59, vcc, 0, v5, vcc
	v_mad_u64_u32 v[4:5], s[22:23], v16, s21, v[2:3]
	v_add_co_u32_e32 v8, vcc, v4, v92
	v_addc_co_u32_e32 v9, vcc, 0, v5, vcc
	v_add_co_u32_e32 v8, vcc, s4, v8
	v_addc_co_u32_e32 v9, vcc, v9, v94, vcc
	v_add_co_u32_e32 v62, vcc, s20, v8
	v_addc_co_u32_e32 v61, vcc, 0, v9, vcc
	v_add_co_u32_e32 v6, vcc, v6, v92
	v_addc_co_u32_e32 v7, vcc, 0, v7, vcc
	v_add_co_u32_e32 v6, vcc, s4, v6
	v_addc_co_u32_e32 v7, vcc, v7, v94, vcc
	v_add_co_u32_e32 v64, vcc, s20, v6
	v_addc_co_u32_e32 v63, vcc, 0, v7, vcc
	v_add_co_u32_e32 v4, vcc, v4, v10
	v_addc_co_u32_e32 v5, vcc, 0, v5, vcc
	v_add_co_u32_e32 v4, vcc, s4, v4
	v_addc_co_u32_e32 v5, vcc, v5, v94, vcc
	v_add_co_u32_e32 v66, vcc, 2, v4
	v_addc_co_u32_e32 v65, vcc, 0, v5, vcc
	v_mad_u64_u32 v[4:5], s[22:23], v17, s21, v[2:3]
	v_add_co_u32_e32 v6, vcc, v4, v92
	v_addc_co_u32_e32 v7, vcc, 0, v5, vcc
	v_add_co_u32_e32 v6, vcc, s4, v6
	v_addc_co_u32_e32 v7, vcc, v7, v94, vcc
	v_add_co_u32_e32 v68, vcc, s20, v6
	v_addc_co_u32_e32 v67, vcc, 0, v7, vcc
	v_mad_u64_u32 v[6:7], s[22:23], v69, s21, v[2:3]
	v_add_co_u32_e32 v8, vcc, v6, v10
	v_addc_co_u32_e32 v9, vcc, 0, v7, vcc
	v_add_co_u32_e32 v70, vcc, s4, v8
	v_addc_co_u32_e32 v69, vcc, v11, v9, vcc
	v_add_co_u32_e32 v4, vcc, v4, v10
	v_addc_co_u32_e32 v5, vcc, 0, v5, vcc
	v_add_co_u32_e32 v4, vcc, s4, v4
	v_addc_co_u32_e32 v5, vcc, v5, v94, vcc
	v_add_co_u32_e32 v72, vcc, 2, v4
	v_addc_co_u32_e32 v73, vcc, 0, v5, vcc
	v_mad_u64_u32 v[4:5], s[22:23], v18, s21, v[2:3]
	v_add_co_u32_e32 v8, vcc, v4, v92
	v_addc_co_u32_e32 v9, vcc, 0, v5, vcc
	v_add_co_u32_e32 v8, vcc, s4, v8
	v_addc_co_u32_e32 v9, vcc, v9, v94, vcc
	v_add_co_u32_e32 v74, vcc, s20, v8
	v_addc_co_u32_e32 v75, vcc, 0, v9, vcc
	v_add_co_u32_e32 v6, vcc, v6, v92
	v_addc_co_u32_e32 v7, vcc, 0, v7, vcc
	v_add_co_u32_e32 v6, vcc, s4, v6
	v_addc_co_u32_e32 v7, vcc, v7, v94, vcc
	v_add_co_u32_e32 v76, vcc, s20, v6
	v_addc_co_u32_e32 v77, vcc, 0, v7, vcc
	v_add_co_u32_e32 v4, vcc, v4, v10
	v_addc_co_u32_e32 v5, vcc, 0, v5, vcc
	v_add_co_u32_e32 v4, vcc, s4, v4
	v_addc_co_u32_e32 v5, vcc, v5, v94, vcc
	v_add_co_u32_e32 v78, vcc, 2, v4
	v_addc_co_u32_e32 v79, vcc, 0, v5, vcc
	v_mad_u64_u32 v[4:5], s[22:23], v19, s21, v[2:3]
	v_add_co_u32_e32 v6, vcc, v4, v92
	v_addc_co_u32_e32 v7, vcc, 0, v5, vcc
	v_add_co_u32_e32 v6, vcc, s4, v6
	v_addc_co_u32_e32 v7, vcc, v7, v94, vcc
	;; [unrolled: 37-line block ×3, first 2 shown]
	v_add_co_u32_e32 v92, vcc, s20, v4
	v_addc_co_u32_e32 v93, vcc, 0, v5, vcc
	v_add_co_u32_e32 v2, vcc, v2, v10
	v_addc_co_u32_e32 v3, vcc, 0, v3, vcc
	;; [unrolled: 2-line block ×3, first 2 shown]
	v_mul_lo_u32 v24, v1, s9
	v_add_co_u32_e32 v94, vcc, 2, v2
	v_add_u32_e32 v108, 0x820, v107
	v_add_u32_e32 v109, 0x1040, v107
	;; [unrolled: 1-line block ×15, first 2 shown]
	v_cmp_gt_u32_e64 s[0:1], 4, v105
	v_mul_u32_u24_e32 v132, 0x104, v105
	v_cmp_gt_i32_e64 s[2:3], s8, v1
	v_ashrrev_i32_e32 v1, 31, v24
	v_addc_co_u32_e32 v95, vcc, 0, v3, vcc
	v_mov_b32_e32 v142, 0
	s_mov_b32 s21, 0xf0f0f0f
	s_mov_b32 s22, 0x30303030
	s_movk_i32 s23, 0x3f00
	s_movk_i32 s24, 0xe000
	v_mov_b32_e32 v144, s25
	v_mov_b32_e32 v145, 8
	;; [unrolled: 1-line block ×5, first 2 shown]
	s_branch .LBB235_6
.LBB235_4:                              ;   in Loop: Header=BB235_6 Depth=1
	s_or_b64 exec, exec, s[4:5]
	s_waitcnt lgkmcnt(0)
	s_barrier
	ds_read_b128 v[6:9], v129
	ds_read_b128 v[10:13], v129 offset:16
	ds_read_b128 v[14:17], v129 offset:32
	;; [unrolled: 1-line block ×3, first 2 shown]
	ds_read_b32 v146, v133
	ds_read2_b32 v[96:97], v132 offset0:38 offset1:39
	ds_read2_b32 v[100:101], v132 offset0:36 offset1:37
	;; [unrolled: 1-line block ×6, first 2 shown]
	ds_read_b128 v[2:5], v130 offset:36944
	ds_read2_b32 v[98:99], v131 offset0:2 offset1:3
	v_mov_b32_e32 v147, 0
	ds_read2_b32 v[154:155], v132 offset0:42 offset1:43
	ds_read2_b32 v[156:157], v132 offset0:40 offset1:41
	s_waitcnt lgkmcnt(4)
	v_dot4c_i32_i8_e32 v147, v152, v18
	v_dot4c_i32_i8_e32 v147, v153, v19
	;; [unrolled: 1-line block ×4, first 2 shown]
	v_mov_b32_e32 v151, 0
	v_dot4c_i32_i8_e32 v151, v100, v10
	v_dot4c_i32_i8_e32 v151, v101, v11
	;; [unrolled: 1-line block ×4, first 2 shown]
	v_mov_b32_e32 v97, 0
	v_dot4c_i32_i8_e32 v97, v148, v6
	v_dot4c_i32_i8_e32 v97, v149, v7
	s_waitcnt lgkmcnt(2)
	v_bfe_i32 v96, v98, 8, 8
	v_dot4c_i32_i8_e32 v97, v102, v8
	v_mul_lo_u32 v96, v151, v96
	v_dot4c_i32_i8_e32 v97, v103, v9
	v_bfe_i32 v100, v98, 0, 8
	v_mov_b32_e32 v150, 0
	s_waitcnt lgkmcnt(0)
	v_dot4c_i32_i8_e32 v150, v156, v14
	v_mad_u64_u32 v[96:97], s[4:5], v97, v100, v[96:97]
	v_cvt_f32_i32_e32 v96, v96
	v_dot4c_i32_i8_e32 v150, v157, v15
	v_dot4c_i32_i8_e32 v150, v154, v16
	;; [unrolled: 1-line block ×3, first 2 shown]
	v_fma_f32 v162, v2, v96, 0
	v_ashrrev_i32_e32 v96, 24, v98
	v_bfe_i32 v97, v98, 16, 8
	v_mul_lo_u32 v96, v147, v96
	v_mad_u64_u32 v[96:97], s[4:5], v150, v97, v[96:97]
	v_add_u32_e32 v100, 0x2110, v132
	v_add_u32_e32 v148, 0x2108, v132
	;; [unrolled: 1-line block ×5, first 2 shown]
	v_cvt_f32_i32_e32 v147, v96
	ds_read2_b32 v[96:97], v137 offset0:2 offset1:3
	ds_read_b32 v166, v136 offset:128
	ds_read2_b32 v[102:103], v135 offset0:2 offset1:3
	ds_read2_b32 v[100:101], v100 offset1:1
	ds_read2_b32 v[148:149], v148 offset1:1
	;; [unrolled: 1-line block ×5, first 2 shown]
	v_mov_b32_e32 v163, 0
	v_add_u32_e32 v98, 0x2118, v132
	v_add_u32_e32 v156, 0x2128, v132
	v_add_u32_e32 v158, 0x2120, v132
	s_waitcnt lgkmcnt(0)
	v_dot4c_i32_i8_e32 v163, v154, v18
	v_dot4c_i32_i8_e32 v163, v155, v19
	v_add_u32_e32 v160, 0x4198, v132
	v_dot4c_i32_i8_e32 v163, v152, v20
	ds_read2_b32 v[156:157], v156 offset1:1
	ds_read2_b32 v[158:159], v158 offset1:1
	;; [unrolled: 1-line block ×3, first 2 shown]
	v_dot4c_i32_i8_e32 v163, v153, v21
	ds_read2_b32 v[152:153], v98 offset1:1
	v_mov_b32_e32 v155, 0
	v_dot4c_i32_i8_e32 v155, v100, v10
	v_dot4c_i32_i8_e32 v155, v101, v11
	v_mov_b32_e32 v101, 0
	v_dot4c_i32_i8_e32 v101, v150, v6
	s_waitcnt lgkmcnt(0)
	v_dot4c_i32_i8_e32 v155, v152, v12
	v_dot4c_i32_i8_e32 v101, v151, v7
	v_mov_b32_e32 v154, 0
	v_dot4c_i32_i8_e32 v155, v153, v13
	v_bfe_i32 v100, v102, 8, 8
	v_dot4c_i32_i8_e32 v101, v148, v8
	v_dot4c_i32_i8_e32 v154, v158, v14
	v_mul_lo_u32 v100, v155, v100
	v_dot4c_i32_i8_e32 v101, v149, v9
	v_bfe_i32 v148, v102, 0, 8
	v_dot4c_i32_i8_e32 v154, v159, v15
	v_dot4c_i32_i8_e32 v154, v156, v16
	v_mad_u64_u32 v[100:101], s[4:5], v101, v148, v[100:101]
	v_cvt_f32_i32_e32 v148, v100
	v_ashrrev_i32_e32 v100, 24, v102
	v_dot4c_i32_i8_e32 v154, v157, v17
	v_bfe_i32 v101, v102, 16, 8
	v_mul_lo_u32 v100, v163, v100
	v_fmac_f32_e32 v162, v3, v147
	v_mad_u64_u32 v[100:101], s[4:5], v154, v101, v[100:101]
	v_cvt_f32_i32_e32 v100, v100
	v_fma_f32 v101, v2, v148, 0
	v_add_u32_e32 v147, 0x4188, v132
	v_add_u32_e32 v150, 0x4180, v132
	v_fmac_f32_e32 v101, v3, v100
	v_add_u32_e32 v100, 0x4190, v132
	v_add_u32_e32 v152, 0x41b8, v132
	ds_read_b32 v98, v140 offset:384
	ds_read_b32 v102, v138 offset:256
	v_fmac_f32_e32 v143, v166, v101
	ds_read2_b32 v[100:101], v100 offset1:1
	ds_read2_b32 v[148:149], v147 offset1:1
	;; [unrolled: 1-line block ×4, first 2 shown]
	v_add_u32_e32 v147, 0x41b0, v132
	ds_read2_b32 v[154:155], v147 offset1:1
	v_mov_b32_e32 v164, 0
	v_add_u32_e32 v156, 0x41a8, v132
	v_add_u32_e32 v158, 0x41a0, v132
	v_fmac_f32_e32 v142, v146, v162
	s_waitcnt lgkmcnt(0)
	v_dot4c_i32_i8_e32 v164, v154, v18
	v_dot4c_i32_i8_e32 v164, v155, v19
	;; [unrolled: 1-line block ×3, first 2 shown]
	v_mov_b32_e32 v152, 0
	v_dot4c_i32_i8_e32 v152, v100, v10
	v_dot4c_i32_i8_e32 v152, v101, v11
	v_mov_b32_e32 v101, 0
	v_dot4c_i32_i8_e32 v101, v150, v6
	v_dot4c_i32_i8_e32 v152, v160, v12
	;; [unrolled: 1-line block ×4, first 2 shown]
	v_bfe_i32 v100, v96, 8, 8
	v_dot4c_i32_i8_e32 v101, v148, v8
	v_add_u32_e32 v147, 0x6218, v132
	ds_read2_b32 v[156:157], v156 offset1:1
	ds_read2_b32 v[158:159], v158 offset1:1
	;; [unrolled: 1-line block ×3, first 2 shown]
	v_mul_lo_u32 v100, v152, v100
	v_dot4c_i32_i8_e32 v101, v149, v9
	v_bfe_i32 v148, v96, 0, 8
	v_mov_b32_e32 v147, 0
	s_waitcnt lgkmcnt(1)
	v_dot4c_i32_i8_e32 v147, v158, v14
	v_mad_u64_u32 v[100:101], s[4:5], v101, v148, v[100:101]
	v_cvt_f32_i32_e32 v100, v100
	v_dot4c_i32_i8_e32 v147, v159, v15
	v_dot4c_i32_i8_e32 v164, v153, v21
	;; [unrolled: 1-line block ×3, first 2 shown]
	v_fma_f32 v167, v2, v100, 0
	v_bfe_i32 v100, v96, 16, 8
	v_ashrrev_i32_e32 v96, 24, v96
	v_dot4c_i32_i8_e32 v147, v157, v17
	v_mul_lo_u32 v96, v164, v96
	v_add_u32_e32 v150, 0x6208, v132
	v_add_u32_e32 v152, 0x6200, v132
	v_mad_u64_u32 v[100:101], s[4:5], v147, v100, v[96:97]
	v_add_u32_e32 v147, 0x6210, v132
	v_add_u32_e32 v154, 0x6238, v132
	v_cvt_f32_i32_e32 v96, v100
	ds_read2_b32 v[100:101], v139 offset0:2 offset1:3
	ds_read2_b32 v[148:149], v147 offset1:1
	ds_read2_b32 v[150:151], v150 offset1:1
	;; [unrolled: 1-line block ×4, first 2 shown]
	v_add_u32_e32 v147, 0x6230, v132
	ds_read2_b32 v[156:157], v147 offset1:1
	v_add_u32_e32 v158, 0x6228, v132
	v_add_u32_e32 v160, 0x6220, v132
	;; [unrolled: 1-line block ×3, first 2 shown]
	ds_read2_b32 v[158:159], v158 offset1:1
	ds_read2_b32 v[160:161], v160 offset1:1
	ds_read2_b32 v[164:165], v147 offset1:1
	v_mov_b32_e32 v168, 0
	s_waitcnt lgkmcnt(3)
	v_dot4c_i32_i8_e32 v168, v156, v18
	v_mov_b32_e32 v18, 0
	s_waitcnt lgkmcnt(1)
	v_dot4c_i32_i8_e32 v18, v160, v14
	v_mov_b32_e32 v14, 0
	v_dot4c_i32_i8_e32 v14, v148, v10
	v_dot4c_i32_i8_e32 v14, v149, v11
	v_mov_b32_e32 v11, 0
	v_dot4c_i32_i8_e32 v11, v152, v6
	v_dot4c_i32_i8_e32 v14, v162, v12
	;; [unrolled: 1-line block ×4, first 2 shown]
	v_bfe_i32 v10, v100, 8, 8
	v_dot4c_i32_i8_e32 v11, v150, v8
	v_dot4c_i32_i8_e32 v168, v157, v19
	v_mul_lo_u32 v10, v14, v10
	v_dot4c_i32_i8_e32 v11, v151, v9
	v_bfe_i32 v6, v100, 0, 8
	v_dot4c_i32_i8_e32 v168, v154, v20
	v_dot4c_i32_i8_e32 v18, v161, v15
	v_mad_u64_u32 v[6:7], s[4:5], v11, v6, v[10:11]
	v_dot4c_i32_i8_e32 v168, v155, v21
	v_dot4c_i32_i8_e32 v18, v158, v16
	v_cvt_f32_i32_e32 v8, v6
	v_ashrrev_i32_e32 v6, 24, v100
	v_dot4c_i32_i8_e32 v18, v159, v17
	v_bfe_i32 v7, v100, 16, 8
	v_mul_lo_u32 v6, v168, v6
	v_fma_f32 v2, v2, v8, 0
	v_mad_u64_u32 v[6:7], s[4:5], v18, v7, v[6:7]
	v_cvt_f32_i32_e32 v6, v6
	v_fmac_f32_e32 v167, v3, v96
	v_mov_b32_e32 v96, 0
	v_bfe_i32 v147, v99, 0, 8
	v_fmac_f32_e32 v2, v3, v6
	v_fmac_f32_e32 v71, v98, v2
	ds_read_b128 v[10:13], v129 offset:80
	ds_read_b128 v[6:9], v129 offset:64
	;; [unrolled: 1-line block ×4, first 2 shown]
	ds_read2_b32 v[2:3], v132 offset0:62 offset1:63
	ds_read2_b32 v[148:149], v132 offset0:60 offset1:61
	;; [unrolled: 1-line block ×6, first 2 shown]
	s_waitcnt lgkmcnt(4)
	v_dot4c_i32_i8_e32 v96, v148, v18
	v_dot4c_i32_i8_e32 v96, v149, v19
	;; [unrolled: 1-line block ×3, first 2 shown]
	v_mov_b32_e32 v2, 0
	s_waitcnt lgkmcnt(2)
	v_dot4c_i32_i8_e32 v2, v152, v10
	v_dot4c_i32_i8_e32 v2, v153, v11
	;; [unrolled: 1-line block ×5, first 2 shown]
	v_bfe_i32 v3, v99, 8, 8
	ds_read2_b32 v[158:159], v132 offset0:58 offset1:59
	ds_read2_b32 v[160:161], v132 offset0:56 offset1:57
	v_mul_lo_u32 v2, v2, v3
	v_mov_b32_e32 v3, 0
	s_waitcnt lgkmcnt(2)
	v_dot4c_i32_i8_e32 v3, v156, v6
	v_dot4c_i32_i8_e32 v3, v157, v7
	;; [unrolled: 1-line block ×4, first 2 shown]
	v_mov_b32_e32 v100, 0
	s_waitcnt lgkmcnt(0)
	v_dot4c_i32_i8_e32 v100, v160, v14
	v_dot4c_i32_i8_e32 v100, v161, v15
	v_mad_u64_u32 v[2:3], s[4:5], v3, v147, v[2:3]
	v_cvt_f32_i32_e32 v2, v2
	v_dot4c_i32_i8_e32 v100, v158, v16
	v_dot4c_i32_i8_e32 v100, v159, v17
	v_bfe_i32 v3, v99, 16, 8
	v_fma_f32 v147, v4, v2, 0
	v_ashrrev_i32_e32 v2, 24, v99
	v_mul_lo_u32 v2, v96, v2
	v_mad_u64_u32 v[2:3], s[4:5], v100, v3, v[2:3]
	v_cvt_f32_i32_e32 v96, v2
	v_add_u32_e32 v2, 0x2150, v132
	v_add_u32_e32 v99, 0x2148, v132
	;; [unrolled: 1-line block ×4, first 2 shown]
	ds_read2_b32 v[2:3], v2 offset1:1
	ds_read2_b32 v[148:149], v99 offset1:1
	;; [unrolled: 1-line block ×4, first 2 shown]
	v_add_u32_e32 v99, 0x2170, v132
	ds_read2_b32 v[154:155], v99 offset1:1
	v_mov_b32_e32 v100, 0
	v_add_u32_e32 v156, 0x2168, v132
	v_add_u32_e32 v158, 0x2160, v132
	;; [unrolled: 1-line block ×3, first 2 shown]
	s_waitcnt lgkmcnt(0)
	v_dot4c_i32_i8_e32 v100, v154, v18
	v_dot4c_i32_i8_e32 v100, v155, v19
	;; [unrolled: 1-line block ×3, first 2 shown]
	v_mov_b32_e32 v152, 0
	v_dot4c_i32_i8_e32 v152, v2, v10
	ds_read2_b32 v[156:157], v156 offset1:1
	ds_read2_b32 v[158:159], v158 offset1:1
	;; [unrolled: 1-line block ×3, first 2 shown]
	v_dot4c_i32_i8_e32 v152, v3, v11
	v_mov_b32_e32 v3, 0
	v_dot4c_i32_i8_e32 v3, v150, v6
	v_dot4c_i32_i8_e32 v152, v164, v12
	;; [unrolled: 1-line block ×3, first 2 shown]
	v_mov_b32_e32 v99, 0
	v_dot4c_i32_i8_e32 v152, v165, v13
	v_bfe_i32 v2, v103, 8, 8
	v_dot4c_i32_i8_e32 v3, v148, v8
	s_waitcnt lgkmcnt(1)
	v_dot4c_i32_i8_e32 v99, v158, v14
	v_mul_lo_u32 v2, v152, v2
	v_dot4c_i32_i8_e32 v3, v149, v9
	v_bfe_i32 v148, v103, 0, 8
	v_dot4c_i32_i8_e32 v99, v159, v15
	v_dot4c_i32_i8_e32 v100, v153, v21
	v_mad_u64_u32 v[2:3], s[4:5], v3, v148, v[2:3]
	v_dot4c_i32_i8_e32 v99, v156, v16
	v_cvt_f32_i32_e32 v148, v2
	v_ashrrev_i32_e32 v2, 24, v103
	v_dot4c_i32_i8_e32 v99, v157, v17
	v_bfe_i32 v3, v103, 16, 8
	v_mul_lo_u32 v2, v100, v2
	v_fmac_f32_e32 v147, v5, v96
	v_mad_u64_u32 v[2:3], s[4:5], v99, v3, v[2:3]
	v_cvt_f32_i32_e32 v2, v2
	v_fma_f32 v3, v4, v148, 0
	v_add_u32_e32 v96, 0x41c8, v132
	v_add_u32_e32 v100, 0x41f8, v132
	v_fmac_f32_e32 v3, v5, v2
	v_add_u32_e32 v2, 0x41d0, v132
	v_fmac_f32_e32 v142, v146, v147
	v_fmac_f32_e32 v143, v166, v3
	v_add_u32_e32 v99, 0x41c0, v132
	ds_read2_b32 v[2:3], v2 offset1:1
	ds_read2_b32 v[146:147], v96 offset1:1
	;; [unrolled: 1-line block ×4, first 2 shown]
	v_add_u32_e32 v96, 0x41f0, v132
	v_add_u32_e32 v100, 0x41e8, v132
	;; [unrolled: 1-line block ×3, first 2 shown]
	ds_read2_b32 v[152:153], v96 offset1:1
	v_add_u32_e32 v96, 0x6258, v132
	ds_read2_b32 v[154:155], v100 offset1:1
	ds_read2_b32 v[156:157], v103 offset1:1
	;; [unrolled: 1-line block ×3, first 2 shown]
	v_mov_b32_e32 v100, 0
	s_waitcnt lgkmcnt(7)
	v_dot4c_i32_i8_e32 v100, v2, v10
	v_dot4c_i32_i8_e32 v100, v3, v11
	v_mov_b32_e32 v3, 0
	s_waitcnt lgkmcnt(5)
	v_dot4c_i32_i8_e32 v3, v148, v6
	v_dot4c_i32_i8_e32 v100, v160, v12
	;; [unrolled: 1-line block ×4, first 2 shown]
	v_bfe_i32 v2, v97, 8, 8
	v_dot4c_i32_i8_e32 v3, v146, v8
	v_dot4c_i32_i8_e32 v3, v147, v9
	v_mul_lo_u32 v2, v100, v2
	v_bfe_i32 v100, v97, 0, 8
	v_mov_b32_e32 v99, 0
	v_mad_u64_u32 v[2:3], s[4:5], v3, v100, v[2:3]
	v_cvt_f32_i32_e32 v2, v2
	s_waitcnt lgkmcnt(3)
	v_dot4c_i32_i8_e32 v99, v152, v18
	v_mov_b32_e32 v96, 0
	v_dot4c_i32_i8_e32 v99, v153, v19
	s_waitcnt lgkmcnt(1)
	v_dot4c_i32_i8_e32 v96, v156, v14
	v_dot4c_i32_i8_e32 v99, v150, v20
	;; [unrolled: 1-line block ×5, first 2 shown]
	v_fma_f32 v100, v4, v2, 0
	v_ashrrev_i32_e32 v2, 24, v97
	v_dot4c_i32_i8_e32 v96, v155, v17
	v_bfe_i32 v3, v97, 16, 8
	v_mul_lo_u32 v2, v99, v2
	v_add_u32_e32 v103, 0x6240, v132
	v_mad_u64_u32 v[2:3], s[4:5], v96, v3, v[2:3]
	v_cvt_f32_i32_e32 v99, v2
	v_add_u32_e32 v2, 0x6250, v132
	v_add_u32_e32 v96, 0x6248, v132
	;; [unrolled: 1-line block ×3, first 2 shown]
	ds_read2_b32 v[2:3], v2 offset1:1
	ds_read2_b32 v[96:97], v96 offset1:1
	;; [unrolled: 1-line block ×4, first 2 shown]
	v_add_u32_e32 v103, 0x6270, v132
	ds_read2_b32 v[150:151], v103 offset1:1
	v_add_u32_e32 v103, 0x6268, v132
	v_add_u32_e32 v154, 0x6260, v132
	ds_read2_b32 v[152:153], v103 offset1:1
	ds_read2_b32 v[154:155], v154 offset1:1
	v_mov_b32_e32 v156, 0
	s_waitcnt lgkmcnt(2)
	v_dot4c_i32_i8_e32 v156, v150, v18
	v_mov_b32_e32 v18, 0
	v_dot4c_i32_i8_e32 v156, v151, v19
	s_waitcnt lgkmcnt(0)
	v_dot4c_i32_i8_e32 v18, v154, v14
	v_mov_b32_e32 v14, 0
	v_dot4c_i32_i8_e32 v14, v2, v10
	v_dot4c_i32_i8_e32 v14, v3, v11
	v_mov_b32_e32 v3, 0
	v_dot4c_i32_i8_e32 v3, v146, v6
	v_dot4c_i32_i8_e32 v14, v158, v12
	;; [unrolled: 1-line block ×4, first 2 shown]
	v_bfe_i32 v2, v101, 8, 8
	v_dot4c_i32_i8_e32 v3, v96, v8
	v_dot4c_i32_i8_e32 v3, v97, v9
	v_mul_lo_u32 v2, v14, v2
	v_bfe_i32 v6, v101, 0, 8
	v_dot4c_i32_i8_e32 v156, v148, v20
	v_dot4c_i32_i8_e32 v18, v155, v15
	v_mad_u64_u32 v[2:3], s[4:5], v3, v6, v[2:3]
	v_dot4c_i32_i8_e32 v156, v149, v21
	v_dot4c_i32_i8_e32 v18, v152, v16
	v_cvt_f32_i32_e32 v6, v2
	v_ashrrev_i32_e32 v2, 24, v101
	v_dot4c_i32_i8_e32 v18, v153, v17
	v_bfe_i32 v3, v101, 16, 8
	v_mul_lo_u32 v2, v156, v2
	v_fmac_f32_e32 v141, v102, v167
	v_mad_u64_u32 v[2:3], s[4:5], v18, v3, v[2:3]
	v_cvt_f32_i32_e32 v2, v2
	v_fma_f32 v3, v4, v6, 0
	v_fmac_f32_e32 v100, v5, v99
	v_fmac_f32_e32 v141, v102, v100
	v_fmac_f32_e32 v3, v5, v2
	v_fmac_f32_e32 v71, v98, v3
	s_barrier
.LBB235_5:                              ;   in Loop: Header=BB235_6 Depth=1
	v_add_co_u32_e32 v26, vcc, 0xd2, v26
	v_addc_co_u32_e32 v25, vcc, 0, v25, vcc
	v_add_co_u32_e32 v28, vcc, 0xd2, v28
	v_addc_co_u32_e32 v27, vcc, 0, v27, vcc
	;; [unrolled: 2-line block ×34, first 2 shown]
	s_add_i32 s19, s19, -1
	s_addk_i32 s20, 0x100
	v_add_co_u32_e32 v94, vcc, 0xd2, v94
	v_add_u32_e32 v105, 8, v105
	v_add_u32_e32 v134, 8, v134
	;; [unrolled: 1-line block ×3, first 2 shown]
	s_cmp_eq_u32 s19, 0
	v_addc_co_u32_e32 v95, vcc, 0, v95, vcc
	s_cbranch_scc1 .LBB235_19
.LBB235_6:                              ; =>This Inner Loop Header: Depth=1
	v_add_co_u32_e32 v2, vcc, s14, v30
	v_addc_co_u32_e32 v3, vcc, v29, v144, vcc
	global_load_dword v6, v[2:3], off offset:-2
	v_add_co_u32_e32 v2, vcc, s14, v26
	v_addc_co_u32_e32 v3, vcc, v25, v144, vcc
	global_load_dword v7, v[2:3], off
	v_add_co_u32_e32 v2, vcc, s14, v36
	v_addc_co_u32_e32 v3, vcc, v35, v144, vcc
	global_load_dword v8, v[2:3], off offset:-2
	v_add_co_u32_e32 v2, vcc, s14, v32
	v_addc_co_u32_e32 v3, vcc, v31, v144, vcc
	global_load_dword v9, v[2:3], off
	v_add_co_u32_e32 v2, vcc, s14, v42
	v_addc_co_u32_e32 v3, vcc, v41, v144, vcc
	v_add_co_u32_e32 v4, vcc, s14, v38
	v_addc_co_u32_e32 v5, vcc, v37, v144, vcc
	global_load_dword v10, v[2:3], off offset:-2
	global_load_dword v11, v[4:5], off
	v_add_co_u32_e32 v2, vcc, s14, v48
	v_addc_co_u32_e32 v3, vcc, v47, v144, vcc
	v_add_co_u32_e32 v4, vcc, s14, v44
	v_addc_co_u32_e32 v5, vcc, v43, v144, vcc
	global_load_dword v12, v[2:3], off offset:-2
	s_nop 0
	global_load_dword v4, v[4:5], off
	s_add_i32 s4, s20, 0xffffff80
	s_cmp_lt_i32 s4, s15
	s_waitcnt vmcnt(7)
	v_and_b32_e32 v2, 0xf0f0f0f, v6
	v_lshrrev_b32_e32 v3, 4, v6
	s_waitcnt vmcnt(6)
	v_ashrrev_i32_e32 v5, v106, v7
	s_waitcnt vmcnt(5)
	v_and_b32_e32 v6, 0xf0f0f0f, v8
	v_lshrrev_b32_e32 v7, 4, v8
	s_waitcnt vmcnt(4)
	v_ashrrev_i32_e32 v8, v106, v9
	v_lshlrev_b32_e32 v9, 4, v5
	v_and_b32_e32 v5, 0x30303030, v5
	v_lshlrev_b32_e32 v13, 4, v8
	v_and_b32_e32 v8, 0x30303030, v8
	v_and_or_b32 v2, v9, s22, v2
	v_and_or_b32 v3, v3, s21, v5
	;; [unrolled: 1-line block ×4, first 2 shown]
	v_and_b32_e32 v7, 0x3f00, v2
	v_lshlrev_b16_e32 v8, 8, v2
	v_and_b32_sdwa v9, v2, s23 dst_sel:DWORD dst_unused:UNUSED_PAD src0_sel:WORD_1 src1_sel:DWORD
	v_lshlrev_b16_sdwa v2, v145, v2 dst_sel:DWORD dst_unused:UNUSED_PAD src0_sel:DWORD src1_sel:WORD_1
	v_and_b32_e32 v13, 0x3f00, v3
	v_lshlrev_b16_e32 v14, 8, v3
	v_and_b32_sdwa v15, v3, s23 dst_sel:DWORD dst_unused:UNUSED_PAD src0_sel:WORD_1 src1_sel:DWORD
	v_lshlrev_b16_sdwa v3, v145, v3 dst_sel:DWORD dst_unused:UNUSED_PAD src0_sel:DWORD src1_sel:WORD_1
	v_add_u16_e32 v8, 0xe000, v8
	v_add_u16_e32 v2, 0xe000, v2
	;; [unrolled: 1-line block ×4, first 2 shown]
	v_or_b32_sdwa v7, v7, v8 dst_sel:DWORD dst_unused:UNUSED_PAD src0_sel:DWORD src1_sel:BYTE_1
	v_or_b32_sdwa v2, v9, v2 dst_sel:DWORD dst_unused:UNUSED_PAD src0_sel:DWORD src1_sel:BYTE_1
	;; [unrolled: 1-line block ×4, first 2 shown]
	v_add_u16_e32 v7, 0xe000, v7
	v_add_u16_sdwa v2, v2, s24 dst_sel:WORD_1 dst_unused:UNUSED_PAD src0_sel:DWORD src1_sel:DWORD
	v_add_u16_e32 v8, 0xe000, v8
	v_add_u16_sdwa v3, v3, s24 dst_sel:WORD_1 dst_unused:UNUSED_PAD src0_sel:DWORD src1_sel:DWORD
	v_lshlrev_b16_e32 v20, 8, v6
	v_or_b32_e32 v2, v7, v2
	v_or_b32_e32 v3, v8, v3
	v_and_b32_e32 v19, 0x3f00, v6
	ds_write2_b32 v107, v2, v3 offset1:16
	v_add_u16_e32 v2, 0xe000, v20
	v_or_b32_sdwa v2, v19, v2 dst_sel:DWORD dst_unused:UNUSED_PAD src0_sel:DWORD src1_sel:BYTE_1
	v_and_b32_e32 v16, 0x3f00, v5
	v_lshlrev_b16_e32 v17, 8, v5
	v_and_b32_sdwa v18, v5, s23 dst_sel:DWORD dst_unused:UNUSED_PAD src0_sel:WORD_1 src1_sel:DWORD
	v_lshlrev_b16_sdwa v5, v145, v5 dst_sel:DWORD dst_unused:UNUSED_PAD src0_sel:DWORD src1_sel:WORD_1
	v_add_u16_e32 v7, 0xe000, v2
	v_add_co_u32_e32 v2, vcc, s14, v54
	v_add_u16_e32 v17, 0xe000, v17
	v_add_u16_e32 v5, 0xe000, v5
	v_addc_co_u32_e32 v3, vcc, v53, v144, vcc
	v_or_b32_sdwa v9, v16, v17 dst_sel:DWORD dst_unused:UNUSED_PAD src0_sel:DWORD src1_sel:BYTE_1
	v_or_b32_sdwa v5, v18, v5 dst_sel:DWORD dst_unused:UNUSED_PAD src0_sel:DWORD src1_sel:BYTE_1
	global_load_dword v8, v[2:3], off offset:-2
	v_add_co_u32_e32 v2, vcc, s14, v50
	v_add_u16_e32 v9, 0xe000, v9
	v_add_u16_sdwa v5, v5, s24 dst_sel:WORD_1 dst_unused:UNUSED_PAD src0_sel:DWORD src1_sel:DWORD
	v_addc_co_u32_e32 v3, vcc, v49, v144, vcc
	v_or_b32_e32 v5, v9, v5
	global_load_dword v9, v[2:3], off
	v_lshlrev_b16_sdwa v3, v145, v6 dst_sel:DWORD dst_unused:UNUSED_PAD src0_sel:DWORD src1_sel:WORD_1
	v_and_b32_sdwa v2, v6, s23 dst_sel:DWORD dst_unused:UNUSED_PAD src0_sel:WORD_1 src1_sel:DWORD
	v_add_u16_e32 v3, 0xe000, v3
	v_or_b32_sdwa v2, v2, v3 dst_sel:DWORD dst_unused:UNUSED_PAD src0_sel:DWORD src1_sel:BYTE_1
	v_add_u16_sdwa v2, v2, s24 dst_sel:WORD_1 dst_unused:UNUSED_PAD src0_sel:DWORD src1_sel:DWORD
	v_or_b32_e32 v2, v7, v2
	ds_write2_b32 v108, v5, v2 offset1:16
	s_waitcnt vmcnt(4)
	v_ashrrev_i32_e32 v5, v106, v11
	v_and_b32_e32 v2, 0xf0f0f0f, v10
	v_lshlrev_b32_e32 v6, 4, v5
	v_and_or_b32 v2, v6, s22, v2
	v_lshlrev_b16_e32 v7, 8, v2
	v_and_b32_e32 v6, 0x3f00, v2
	v_add_u16_e32 v7, 0xe000, v7
	v_or_b32_sdwa v6, v6, v7 dst_sel:DWORD dst_unused:UNUSED_PAD src0_sel:DWORD src1_sel:BYTE_1
	v_and_b32_sdwa v7, v2, s23 dst_sel:DWORD dst_unused:UNUSED_PAD src0_sel:WORD_1 src1_sel:DWORD
	v_lshlrev_b16_sdwa v2, v145, v2 dst_sel:DWORD dst_unused:UNUSED_PAD src0_sel:DWORD src1_sel:WORD_1
	v_add_u16_e32 v2, 0xe000, v2
	v_lshrrev_b32_e32 v3, 4, v10
	v_and_b32_e32 v5, 0x30303030, v5
	v_or_b32_sdwa v2, v7, v2 dst_sel:DWORD dst_unused:UNUSED_PAD src0_sel:DWORD src1_sel:BYTE_1
	v_add_u16_e32 v6, 0xe000, v6
	v_add_u16_sdwa v2, v2, s24 dst_sel:WORD_1 dst_unused:UNUSED_PAD src0_sel:DWORD src1_sel:DWORD
	v_and_or_b32 v3, v3, s21, v5
	v_or_b32_e32 v2, v6, v2
	v_lshlrev_b16_e32 v6, 8, v3
	v_and_b32_e32 v5, 0x3f00, v3
	v_add_u16_e32 v6, 0xe000, v6
	v_or_b32_sdwa v5, v5, v6 dst_sel:DWORD dst_unused:UNUSED_PAD src0_sel:DWORD src1_sel:BYTE_1
	v_and_b32_sdwa v6, v3, s23 dst_sel:DWORD dst_unused:UNUSED_PAD src0_sel:WORD_1 src1_sel:DWORD
	v_lshlrev_b16_sdwa v3, v145, v3 dst_sel:DWORD dst_unused:UNUSED_PAD src0_sel:DWORD src1_sel:WORD_1
	v_add_u16_e32 v3, 0xe000, v3
	v_or_b32_sdwa v3, v6, v3 dst_sel:DWORD dst_unused:UNUSED_PAD src0_sel:DWORD src1_sel:BYTE_1
	v_add_u16_e32 v5, 0xe000, v5
	v_add_u16_sdwa v3, v3, s24 dst_sel:WORD_1 dst_unused:UNUSED_PAD src0_sel:DWORD src1_sel:DWORD
	v_or_b32_e32 v3, v5, v3
	ds_write2_b32 v109, v2, v3 offset1:16
	v_add_co_u32_e32 v2, vcc, s14, v60
	v_addc_co_u32_e32 v3, vcc, v59, v144, vcc
	global_load_dword v7, v[2:3], off offset:-2
	v_add_co_u32_e32 v2, vcc, s14, v56
	v_addc_co_u32_e32 v3, vcc, v55, v144, vcc
	global_load_dword v10, v[2:3], off
	s_waitcnt vmcnt(4)
	v_ashrrev_i32_e32 v4, v106, v4
	v_and_b32_e32 v5, 0xf0f0f0f, v12
	v_lshlrev_b32_e32 v2, 4, v4
	v_and_or_b32 v2, v2, s22, v5
	v_lshlrev_b16_e32 v5, 8, v2
	v_and_b32_e32 v3, 0x30303030, v4
	v_and_b32_e32 v4, 0x3f00, v2
	v_add_u16_e32 v5, 0xe000, v5
	v_or_b32_sdwa v4, v4, v5 dst_sel:DWORD dst_unused:UNUSED_PAD src0_sel:DWORD src1_sel:BYTE_1
	v_and_b32_sdwa v5, v2, s23 dst_sel:DWORD dst_unused:UNUSED_PAD src0_sel:WORD_1 src1_sel:DWORD
	v_lshlrev_b16_sdwa v2, v145, v2 dst_sel:DWORD dst_unused:UNUSED_PAD src0_sel:DWORD src1_sel:WORD_1
	v_lshrrev_b32_e32 v6, 4, v12
	v_add_u16_e32 v2, 0xe000, v2
	v_or_b32_sdwa v2, v5, v2 dst_sel:DWORD dst_unused:UNUSED_PAD src0_sel:DWORD src1_sel:BYTE_1
	v_and_or_b32 v3, v6, s21, v3
	v_add_u16_e32 v4, 0xe000, v4
	v_add_u16_sdwa v2, v2, s24 dst_sel:WORD_1 dst_unused:UNUSED_PAD src0_sel:DWORD src1_sel:DWORD
	v_lshlrev_b16_e32 v5, 8, v3
	v_or_b32_e32 v2, v4, v2
	v_and_b32_e32 v4, 0x3f00, v3
	v_add_u16_e32 v5, 0xe000, v5
	v_or_b32_sdwa v4, v4, v5 dst_sel:DWORD dst_unused:UNUSED_PAD src0_sel:DWORD src1_sel:BYTE_1
	v_and_b32_sdwa v5, v3, s23 dst_sel:DWORD dst_unused:UNUSED_PAD src0_sel:WORD_1 src1_sel:DWORD
	v_lshlrev_b16_sdwa v3, v145, v3 dst_sel:DWORD dst_unused:UNUSED_PAD src0_sel:DWORD src1_sel:WORD_1
	v_add_u16_e32 v3, 0xe000, v3
	v_or_b32_sdwa v3, v5, v3 dst_sel:DWORD dst_unused:UNUSED_PAD src0_sel:DWORD src1_sel:BYTE_1
	v_add_u16_e32 v4, 0xe000, v4
	v_add_u16_sdwa v3, v3, s24 dst_sel:WORD_1 dst_unused:UNUSED_PAD src0_sel:DWORD src1_sel:DWORD
	v_or_b32_e32 v3, v4, v3
	ds_write2_b32 v110, v2, v3 offset1:16
	v_add_co_u32_e32 v2, vcc, s14, v66
	v_addc_co_u32_e32 v3, vcc, v65, v144, vcc
	s_waitcnt vmcnt(3)
	v_and_b32_e32 v4, 0xf0f0f0f, v8
	v_lshrrev_b32_e32 v5, 4, v8
	global_load_dword v8, v[2:3], off offset:-2
	v_add_co_u32_e32 v2, vcc, s14, v62
	v_addc_co_u32_e32 v3, vcc, v61, v144, vcc
	s_waitcnt vmcnt(3)
	v_ashrrev_i32_e32 v6, v106, v9
	global_load_dword v9, v[2:3], off
	v_lshlrev_b32_e32 v2, 4, v6
	v_and_or_b32 v2, v2, s22, v4
	v_and_b32_e32 v3, 0x30303030, v6
	v_lshlrev_b16_e32 v6, 8, v2
	v_and_b32_e32 v4, 0x3f00, v2
	v_add_u16_e32 v6, 0xe000, v6
	v_or_b32_sdwa v4, v4, v6 dst_sel:DWORD dst_unused:UNUSED_PAD src0_sel:DWORD src1_sel:BYTE_1
	v_and_b32_sdwa v6, v2, s23 dst_sel:DWORD dst_unused:UNUSED_PAD src0_sel:WORD_1 src1_sel:DWORD
	v_lshlrev_b16_sdwa v2, v145, v2 dst_sel:DWORD dst_unused:UNUSED_PAD src0_sel:DWORD src1_sel:WORD_1
	v_add_u16_e32 v2, 0xe000, v2
	v_or_b32_sdwa v2, v6, v2 dst_sel:DWORD dst_unused:UNUSED_PAD src0_sel:DWORD src1_sel:BYTE_1
	v_and_or_b32 v5, v5, s21, v3
	v_add_u16_e32 v4, 0xe000, v4
	v_add_u16_sdwa v2, v2, s24 dst_sel:WORD_1 dst_unused:UNUSED_PAD src0_sel:DWORD src1_sel:DWORD
	v_lshlrev_b16_e32 v3, 8, v5
	v_or_b32_e32 v4, v4, v2
	v_and_b32_e32 v2, 0x3f00, v5
	v_add_u16_e32 v3, 0xe000, v3
	v_or_b32_sdwa v2, v2, v3 dst_sel:DWORD dst_unused:UNUSED_PAD src0_sel:DWORD src1_sel:BYTE_1
	v_add_u16_e32 v6, 0xe000, v2
	v_add_co_u32_e32 v2, vcc, s14, v72
	v_addc_co_u32_e32 v3, vcc, v73, v144, vcc
	global_load_dword v11, v[2:3], off offset:-2
	v_add_co_u32_e32 v2, vcc, s14, v68
	v_addc_co_u32_e32 v3, vcc, v67, v144, vcc
	global_load_dword v12, v[2:3], off
	v_lshlrev_b16_sdwa v3, v145, v5 dst_sel:DWORD dst_unused:UNUSED_PAD src0_sel:DWORD src1_sel:WORD_1
	v_and_b32_sdwa v2, v5, s23 dst_sel:DWORD dst_unused:UNUSED_PAD src0_sel:WORD_1 src1_sel:DWORD
	v_add_u16_e32 v3, 0xe000, v3
	v_or_b32_sdwa v2, v2, v3 dst_sel:DWORD dst_unused:UNUSED_PAD src0_sel:DWORD src1_sel:BYTE_1
	v_add_u16_sdwa v2, v2, s24 dst_sel:WORD_1 dst_unused:UNUSED_PAD src0_sel:DWORD src1_sel:DWORD
	v_or_b32_e32 v2, v6, v2
	ds_write2_b32 v111, v4, v2 offset1:16
	s_waitcnt vmcnt(4)
	v_ashrrev_i32_e32 v4, v106, v10
	v_and_b32_e32 v2, 0xf0f0f0f, v7
	v_lshlrev_b32_e32 v5, 4, v4
	v_and_or_b32 v2, v5, s22, v2
	v_lshlrev_b16_e32 v6, 8, v2
	v_and_b32_e32 v5, 0x3f00, v2
	v_add_u16_e32 v6, 0xe000, v6
	v_or_b32_sdwa v5, v5, v6 dst_sel:DWORD dst_unused:UNUSED_PAD src0_sel:DWORD src1_sel:BYTE_1
	v_and_b32_sdwa v6, v2, s23 dst_sel:DWORD dst_unused:UNUSED_PAD src0_sel:WORD_1 src1_sel:DWORD
	v_lshlrev_b16_sdwa v2, v145, v2 dst_sel:DWORD dst_unused:UNUSED_PAD src0_sel:DWORD src1_sel:WORD_1
	v_lshrrev_b32_e32 v3, 4, v7
	v_and_b32_e32 v4, 0x30303030, v4
	v_add_u16_e32 v2, 0xe000, v2
	v_or_b32_sdwa v2, v6, v2 dst_sel:DWORD dst_unused:UNUSED_PAD src0_sel:DWORD src1_sel:BYTE_1
	v_and_or_b32 v4, v3, s21, v4
	v_add_u16_e32 v5, 0xe000, v5
	v_add_u16_sdwa v2, v2, s24 dst_sel:WORD_1 dst_unused:UNUSED_PAD src0_sel:DWORD src1_sel:DWORD
	v_lshlrev_b16_e32 v3, 8, v4
	v_or_b32_e32 v5, v5, v2
	v_and_b32_e32 v2, 0x3f00, v4
	v_add_u16_e32 v3, 0xe000, v3
	v_or_b32_sdwa v2, v2, v3 dst_sel:DWORD dst_unused:UNUSED_PAD src0_sel:DWORD src1_sel:BYTE_1
	v_add_u16_e32 v6, 0xe000, v2
	v_add_co_u32_e32 v2, vcc, s14, v78
	v_addc_co_u32_e32 v3, vcc, v79, v144, vcc
	global_load_dword v7, v[2:3], off offset:-2
	v_add_co_u32_e32 v2, vcc, s14, v74
	v_addc_co_u32_e32 v3, vcc, v75, v144, vcc
	global_load_dword v10, v[2:3], off
	v_lshlrev_b16_sdwa v3, v145, v4 dst_sel:DWORD dst_unused:UNUSED_PAD src0_sel:DWORD src1_sel:WORD_1
	v_and_b32_sdwa v2, v4, s23 dst_sel:DWORD dst_unused:UNUSED_PAD src0_sel:WORD_1 src1_sel:DWORD
	v_add_u16_e32 v3, 0xe000, v3
	v_or_b32_sdwa v2, v2, v3 dst_sel:DWORD dst_unused:UNUSED_PAD src0_sel:DWORD src1_sel:BYTE_1
	v_add_u16_sdwa v2, v2, s24 dst_sel:WORD_1 dst_unused:UNUSED_PAD src0_sel:DWORD src1_sel:DWORD
	v_or_b32_e32 v2, v6, v2
	ds_write2_b32 v112, v5, v2 offset1:16
	s_waitcnt vmcnt(5)
	v_and_b32_e32 v2, 0xf0f0f0f, v8
	v_lshrrev_b32_e32 v3, 4, v8
	s_waitcnt vmcnt(4)
	v_ashrrev_i32_e32 v4, v106, v9
	v_lshlrev_b32_e32 v5, 4, v4
	v_and_or_b32 v2, v5, s22, v2
	v_lshlrev_b16_e32 v6, 8, v2
	v_and_b32_e32 v5, 0x3f00, v2
	v_add_u16_e32 v6, 0xe000, v6
	v_or_b32_sdwa v5, v5, v6 dst_sel:DWORD dst_unused:UNUSED_PAD src0_sel:DWORD src1_sel:BYTE_1
	v_and_b32_sdwa v6, v2, s23 dst_sel:DWORD dst_unused:UNUSED_PAD src0_sel:WORD_1 src1_sel:DWORD
	v_lshlrev_b16_sdwa v2, v145, v2 dst_sel:DWORD dst_unused:UNUSED_PAD src0_sel:DWORD src1_sel:WORD_1
	v_add_u16_e32 v2, 0xe000, v2
	v_and_b32_e32 v4, 0x30303030, v4
	v_or_b32_sdwa v2, v6, v2 dst_sel:DWORD dst_unused:UNUSED_PAD src0_sel:DWORD src1_sel:BYTE_1
	v_add_u16_e32 v5, 0xe000, v5
	v_add_u16_sdwa v2, v2, s24 dst_sel:WORD_1 dst_unused:UNUSED_PAD src0_sel:DWORD src1_sel:DWORD
	v_and_or_b32 v3, v3, s21, v4
	v_or_b32_e32 v2, v5, v2
	v_lshlrev_b16_e32 v5, 8, v3
	v_and_b32_e32 v4, 0x3f00, v3
	v_add_u16_e32 v5, 0xe000, v5
	v_or_b32_sdwa v4, v4, v5 dst_sel:DWORD dst_unused:UNUSED_PAD src0_sel:DWORD src1_sel:BYTE_1
	v_and_b32_sdwa v5, v3, s23 dst_sel:DWORD dst_unused:UNUSED_PAD src0_sel:WORD_1 src1_sel:DWORD
	v_lshlrev_b16_sdwa v3, v145, v3 dst_sel:DWORD dst_unused:UNUSED_PAD src0_sel:DWORD src1_sel:WORD_1
	v_add_u16_e32 v3, 0xe000, v3
	v_or_b32_sdwa v3, v5, v3 dst_sel:DWORD dst_unused:UNUSED_PAD src0_sel:DWORD src1_sel:BYTE_1
	v_add_u16_e32 v4, 0xe000, v4
	v_add_u16_sdwa v3, v3, s24 dst_sel:WORD_1 dst_unused:UNUSED_PAD src0_sel:DWORD src1_sel:DWORD
	v_or_b32_e32 v3, v4, v3
	ds_write2_b32 v113, v2, v3 offset1:16
	v_add_co_u32_e32 v2, vcc, s14, v84
	v_addc_co_u32_e32 v3, vcc, v85, v144, vcc
	global_load_dword v8, v[2:3], off offset:-2
	v_add_co_u32_e32 v2, vcc, s14, v80
	v_addc_co_u32_e32 v3, vcc, v81, v144, vcc
	s_waitcnt vmcnt(3)
	v_ashrrev_i32_e32 v6, v106, v12
	global_load_dword v9, v[2:3], off
	v_and_b32_e32 v4, 0xf0f0f0f, v11
	v_lshlrev_b32_e32 v2, 4, v6
	v_and_or_b32 v2, v2, s22, v4
	v_and_b32_e32 v3, 0x30303030, v6
	v_lshlrev_b16_e32 v6, 8, v2
	v_and_b32_e32 v4, 0x3f00, v2
	v_add_u16_e32 v6, 0xe000, v6
	v_or_b32_sdwa v4, v4, v6 dst_sel:DWORD dst_unused:UNUSED_PAD src0_sel:DWORD src1_sel:BYTE_1
	v_and_b32_sdwa v6, v2, s23 dst_sel:DWORD dst_unused:UNUSED_PAD src0_sel:WORD_1 src1_sel:DWORD
	v_lshlrev_b16_sdwa v2, v145, v2 dst_sel:DWORD dst_unused:UNUSED_PAD src0_sel:DWORD src1_sel:WORD_1
	v_lshrrev_b32_e32 v5, 4, v11
	v_add_u16_e32 v2, 0xe000, v2
	v_or_b32_sdwa v2, v6, v2 dst_sel:DWORD dst_unused:UNUSED_PAD src0_sel:DWORD src1_sel:BYTE_1
	v_and_or_b32 v3, v5, s21, v3
	v_add_u16_e32 v4, 0xe000, v4
	v_add_u16_sdwa v2, v2, s24 dst_sel:WORD_1 dst_unused:UNUSED_PAD src0_sel:DWORD src1_sel:DWORD
	v_lshlrev_b16_e32 v5, 8, v3
	v_or_b32_e32 v2, v4, v2
	v_and_b32_e32 v4, 0x3f00, v3
	v_add_u16_e32 v5, 0xe000, v5
	v_or_b32_sdwa v4, v4, v5 dst_sel:DWORD dst_unused:UNUSED_PAD src0_sel:DWORD src1_sel:BYTE_1
	v_and_b32_sdwa v5, v3, s23 dst_sel:DWORD dst_unused:UNUSED_PAD src0_sel:WORD_1 src1_sel:DWORD
	v_lshlrev_b16_sdwa v3, v145, v3 dst_sel:DWORD dst_unused:UNUSED_PAD src0_sel:DWORD src1_sel:WORD_1
	v_add_u16_e32 v3, 0xe000, v3
	v_or_b32_sdwa v3, v5, v3 dst_sel:DWORD dst_unused:UNUSED_PAD src0_sel:DWORD src1_sel:BYTE_1
	v_add_u16_e32 v4, 0xe000, v4
	v_add_u16_sdwa v3, v3, s24 dst_sel:WORD_1 dst_unused:UNUSED_PAD src0_sel:DWORD src1_sel:DWORD
	v_or_b32_e32 v3, v4, v3
	ds_write2_b32 v114, v2, v3 offset1:16
	v_add_co_u32_e32 v2, vcc, s14, v90
	v_addc_co_u32_e32 v3, vcc, v91, v144, vcc
	s_waitcnt vmcnt(3)
	v_and_b32_e32 v4, 0xf0f0f0f, v7
	v_lshrrev_b32_e32 v5, 4, v7
	global_load_dword v7, v[2:3], off offset:-2
	v_add_co_u32_e32 v2, vcc, s14, v86
	v_addc_co_u32_e32 v3, vcc, v87, v144, vcc
	s_waitcnt vmcnt(3)
	v_ashrrev_i32_e32 v6, v106, v10
	global_load_dword v10, v[2:3], off
	v_lshlrev_b32_e32 v2, 4, v6
	v_and_or_b32 v2, v2, s22, v4
	v_and_b32_e32 v3, 0x30303030, v6
	v_lshlrev_b16_e32 v6, 8, v2
	v_and_b32_e32 v4, 0x3f00, v2
	v_add_u16_e32 v6, 0xe000, v6
	v_or_b32_sdwa v4, v4, v6 dst_sel:DWORD dst_unused:UNUSED_PAD src0_sel:DWORD src1_sel:BYTE_1
	v_and_b32_sdwa v6, v2, s23 dst_sel:DWORD dst_unused:UNUSED_PAD src0_sel:WORD_1 src1_sel:DWORD
	v_lshlrev_b16_sdwa v2, v145, v2 dst_sel:DWORD dst_unused:UNUSED_PAD src0_sel:DWORD src1_sel:WORD_1
	v_add_u16_e32 v2, 0xe000, v2
	v_or_b32_sdwa v2, v6, v2 dst_sel:DWORD dst_unused:UNUSED_PAD src0_sel:DWORD src1_sel:BYTE_1
	v_and_or_b32 v5, v5, s21, v3
	v_add_u16_e32 v4, 0xe000, v4
	v_add_u16_sdwa v2, v2, s24 dst_sel:WORD_1 dst_unused:UNUSED_PAD src0_sel:DWORD src1_sel:DWORD
	v_lshlrev_b16_e32 v3, 8, v5
	v_or_b32_e32 v4, v4, v2
	v_and_b32_e32 v2, 0x3f00, v5
	v_add_u16_e32 v3, 0xe000, v3
	v_or_b32_sdwa v2, v2, v3 dst_sel:DWORD dst_unused:UNUSED_PAD src0_sel:DWORD src1_sel:BYTE_1
	v_add_u16_e32 v6, 0xe000, v2
	v_add_co_u32_e32 v2, vcc, s14, v94
	v_addc_co_u32_e32 v3, vcc, v95, v144, vcc
	global_load_dword v11, v[2:3], off offset:-2
	v_add_co_u32_e32 v2, vcc, s14, v92
	v_addc_co_u32_e32 v3, vcc, v93, v144, vcc
	global_load_dword v12, v[2:3], off
	v_lshlrev_b16_sdwa v3, v145, v5 dst_sel:DWORD dst_unused:UNUSED_PAD src0_sel:DWORD src1_sel:WORD_1
	v_and_b32_sdwa v2, v5, s23 dst_sel:DWORD dst_unused:UNUSED_PAD src0_sel:WORD_1 src1_sel:DWORD
	v_add_u16_e32 v3, 0xe000, v3
	v_or_b32_sdwa v2, v2, v3 dst_sel:DWORD dst_unused:UNUSED_PAD src0_sel:DWORD src1_sel:BYTE_1
	v_add_u16_sdwa v2, v2, s24 dst_sel:WORD_1 dst_unused:UNUSED_PAD src0_sel:DWORD src1_sel:DWORD
	v_or_b32_e32 v2, v6, v2
	ds_write2_b32 v115, v4, v2 offset1:16
	s_waitcnt vmcnt(4)
	v_ashrrev_i32_e32 v4, v106, v9
	v_and_b32_e32 v2, 0xf0f0f0f, v8
	v_lshlrev_b32_e32 v5, 4, v4
	v_and_or_b32 v2, v5, s22, v2
	v_lshlrev_b16_e32 v6, 8, v2
	v_and_b32_e32 v5, 0x3f00, v2
	v_add_u16_e32 v6, 0xe000, v6
	v_or_b32_sdwa v5, v5, v6 dst_sel:DWORD dst_unused:UNUSED_PAD src0_sel:DWORD src1_sel:BYTE_1
	v_and_b32_sdwa v6, v2, s23 dst_sel:DWORD dst_unused:UNUSED_PAD src0_sel:WORD_1 src1_sel:DWORD
	v_lshlrev_b16_sdwa v2, v145, v2 dst_sel:DWORD dst_unused:UNUSED_PAD src0_sel:DWORD src1_sel:WORD_1
	v_lshrrev_b32_e32 v3, 4, v8
	v_and_b32_e32 v4, 0x30303030, v4
	v_add_u16_e32 v2, 0xe000, v2
	v_or_b32_sdwa v2, v6, v2 dst_sel:DWORD dst_unused:UNUSED_PAD src0_sel:DWORD src1_sel:BYTE_1
	v_and_or_b32 v4, v3, s21, v4
	v_add_u16_e32 v5, 0xe000, v5
	v_add_u16_sdwa v2, v2, s24 dst_sel:WORD_1 dst_unused:UNUSED_PAD src0_sel:DWORD src1_sel:DWORD
	v_lshlrev_b16_e32 v3, 8, v4
	v_or_b32_e32 v5, v5, v2
	v_and_b32_e32 v2, 0x3f00, v4
	v_add_u16_e32 v3, 0xe000, v3
	v_or_b32_sdwa v2, v2, v3 dst_sel:DWORD dst_unused:UNUSED_PAD src0_sel:DWORD src1_sel:BYTE_1
	v_add_u16_e32 v6, 0xe000, v2
	v_add_co_u32_e32 v2, vcc, s14, v82
	v_addc_co_u32_e32 v3, vcc, v83, v144, vcc
	global_load_dword v8, v[2:3], off
	v_add_co_u32_e32 v2, vcc, s14, v88
	v_addc_co_u32_e32 v3, vcc, v89, v144, vcc
	global_load_dword v9, v[2:3], off
	v_lshlrev_b16_sdwa v3, v145, v4 dst_sel:DWORD dst_unused:UNUSED_PAD src0_sel:DWORD src1_sel:WORD_1
	v_and_b32_sdwa v2, v4, s23 dst_sel:DWORD dst_unused:UNUSED_PAD src0_sel:WORD_1 src1_sel:DWORD
	v_add_u16_e32 v3, 0xe000, v3
	v_or_b32_sdwa v2, v2, v3 dst_sel:DWORD dst_unused:UNUSED_PAD src0_sel:DWORD src1_sel:BYTE_1
	v_add_u16_sdwa v2, v2, s24 dst_sel:WORD_1 dst_unused:UNUSED_PAD src0_sel:DWORD src1_sel:DWORD
	v_or_b32_e32 v2, v6, v2
	ds_write2_b32 v116, v5, v2 offset1:16
	s_waitcnt vmcnt(5)
	v_and_b32_e32 v2, 0xf0f0f0f, v7
	v_lshrrev_b32_e32 v3, 4, v7
	s_waitcnt vmcnt(4)
	v_ashrrev_i32_e32 v4, v106, v10
	v_lshlrev_b32_e32 v5, 4, v4
	v_and_or_b32 v2, v5, s22, v2
	v_lshlrev_b16_e32 v6, 8, v2
	v_and_b32_e32 v5, 0x3f00, v2
	v_add_u16_e32 v6, 0xe000, v6
	v_or_b32_sdwa v5, v5, v6 dst_sel:DWORD dst_unused:UNUSED_PAD src0_sel:DWORD src1_sel:BYTE_1
	v_and_b32_sdwa v6, v2, s23 dst_sel:DWORD dst_unused:UNUSED_PAD src0_sel:WORD_1 src1_sel:DWORD
	v_lshlrev_b16_sdwa v2, v145, v2 dst_sel:DWORD dst_unused:UNUSED_PAD src0_sel:DWORD src1_sel:WORD_1
	v_add_u16_e32 v2, 0xe000, v2
	v_and_b32_e32 v4, 0x30303030, v4
	v_or_b32_sdwa v2, v6, v2 dst_sel:DWORD dst_unused:UNUSED_PAD src0_sel:DWORD src1_sel:BYTE_1
	v_add_u16_e32 v5, 0xe000, v5
	v_add_u16_sdwa v2, v2, s24 dst_sel:WORD_1 dst_unused:UNUSED_PAD src0_sel:DWORD src1_sel:DWORD
	v_and_or_b32 v3, v3, s21, v4
	v_or_b32_e32 v2, v5, v2
	v_lshlrev_b16_e32 v5, 8, v3
	v_and_b32_e32 v4, 0x3f00, v3
	v_add_u16_e32 v5, 0xe000, v5
	v_or_b32_sdwa v4, v4, v5 dst_sel:DWORD dst_unused:UNUSED_PAD src0_sel:DWORD src1_sel:BYTE_1
	v_and_b32_sdwa v5, v3, s23 dst_sel:DWORD dst_unused:UNUSED_PAD src0_sel:WORD_1 src1_sel:DWORD
	v_lshlrev_b16_sdwa v3, v145, v3 dst_sel:DWORD dst_unused:UNUSED_PAD src0_sel:DWORD src1_sel:WORD_1
	v_add_u16_e32 v3, 0xe000, v3
	v_or_b32_sdwa v3, v5, v3 dst_sel:DWORD dst_unused:UNUSED_PAD src0_sel:DWORD src1_sel:BYTE_1
	v_add_u16_e32 v4, 0xe000, v4
	v_add_u16_sdwa v3, v3, s24 dst_sel:WORD_1 dst_unused:UNUSED_PAD src0_sel:DWORD src1_sel:DWORD
	v_or_b32_e32 v3, v4, v3
	ds_write2_b32 v117, v2, v3 offset1:16
	v_add_co_u32_e32 v2, vcc, s14, v70
	v_addc_co_u32_e32 v3, vcc, v69, v144, vcc
	global_load_dword v7, v[2:3], off
	v_add_co_u32_e32 v2, vcc, s14, v76
	v_addc_co_u32_e32 v3, vcc, v77, v144, vcc
	global_load_dword v10, v[2:3], off
	s_waitcnt vmcnt(4)
	v_ashrrev_i32_e32 v6, v106, v12
	v_and_b32_e32 v4, 0xf0f0f0f, v11
	v_lshlrev_b32_e32 v2, 4, v6
	v_and_or_b32 v2, v2, s22, v4
	v_and_b32_e32 v3, 0x30303030, v6
	v_lshlrev_b16_e32 v6, 8, v2
	v_and_b32_e32 v4, 0x3f00, v2
	v_add_u16_e32 v6, 0xe000, v6
	v_or_b32_sdwa v4, v4, v6 dst_sel:DWORD dst_unused:UNUSED_PAD src0_sel:DWORD src1_sel:BYTE_1
	v_and_b32_sdwa v6, v2, s23 dst_sel:DWORD dst_unused:UNUSED_PAD src0_sel:WORD_1 src1_sel:DWORD
	v_lshlrev_b16_sdwa v2, v145, v2 dst_sel:DWORD dst_unused:UNUSED_PAD src0_sel:DWORD src1_sel:WORD_1
	v_lshrrev_b32_e32 v5, 4, v11
	v_add_u16_e32 v2, 0xe000, v2
	v_or_b32_sdwa v2, v6, v2 dst_sel:DWORD dst_unused:UNUSED_PAD src0_sel:DWORD src1_sel:BYTE_1
	v_and_or_b32 v3, v5, s21, v3
	v_add_u16_e32 v4, 0xe000, v4
	v_add_u16_sdwa v2, v2, s24 dst_sel:WORD_1 dst_unused:UNUSED_PAD src0_sel:DWORD src1_sel:DWORD
	v_lshlrev_b16_e32 v5, 8, v3
	v_or_b32_e32 v2, v4, v2
	v_and_b32_e32 v4, 0x3f00, v3
	v_add_u16_e32 v5, 0xe000, v5
	v_or_b32_sdwa v4, v4, v5 dst_sel:DWORD dst_unused:UNUSED_PAD src0_sel:DWORD src1_sel:BYTE_1
	v_and_b32_sdwa v5, v3, s23 dst_sel:DWORD dst_unused:UNUSED_PAD src0_sel:WORD_1 src1_sel:DWORD
	v_lshlrev_b16_sdwa v3, v145, v3 dst_sel:DWORD dst_unused:UNUSED_PAD src0_sel:DWORD src1_sel:WORD_1
	v_add_u16_e32 v3, 0xe000, v3
	v_or_b32_sdwa v3, v5, v3 dst_sel:DWORD dst_unused:UNUSED_PAD src0_sel:DWORD src1_sel:BYTE_1
	v_add_u16_e32 v4, 0xe000, v4
	v_add_u16_sdwa v3, v3, s24 dst_sel:WORD_1 dst_unused:UNUSED_PAD src0_sel:DWORD src1_sel:DWORD
	v_or_b32_e32 v3, v4, v3
	ds_write2_b32 v118, v2, v3 offset1:16
	s_waitcnt vmcnt(3)
	v_and_b32_e32 v2, 0xf0f0f0f, v8
	v_lshrrev_b32_e32 v4, 4, v8
	s_waitcnt vmcnt(2)
	v_ashrrev_i32_e32 v3, v106, v9
	v_lshlrev_b32_e32 v5, 4, v3
	v_and_or_b32 v5, v5, s22, v2
	v_add_co_u32_e32 v2, vcc, s14, v58
	v_and_b32_e32 v6, 0x30303030, v3
	v_addc_co_u32_e32 v3, vcc, v57, v144, vcc
	global_load_dword v11, v[2:3], off
	v_add_co_u32_e32 v2, vcc, s14, v64
	v_addc_co_u32_e32 v3, vcc, v63, v144, vcc
	v_and_b32_e32 v8, 0x3f00, v5
	v_lshlrev_b16_e32 v9, 8, v5
	global_load_dword v12, v[2:3], off
	v_and_b32_sdwa v3, v5, s23 dst_sel:DWORD dst_unused:UNUSED_PAD src0_sel:WORD_1 src1_sel:DWORD
	v_lshlrev_b16_sdwa v5, v145, v5 dst_sel:DWORD dst_unused:UNUSED_PAD src0_sel:DWORD src1_sel:WORD_1
	v_add_u16_e32 v2, 0xe000, v9
	v_add_u16_e32 v5, 0xe000, v5
	v_or_b32_sdwa v2, v8, v2 dst_sel:DWORD dst_unused:UNUSED_PAD src0_sel:DWORD src1_sel:BYTE_1
	v_or_b32_sdwa v3, v3, v5 dst_sel:DWORD dst_unused:UNUSED_PAD src0_sel:DWORD src1_sel:BYTE_1
	v_add_u16_e32 v2, 0xe000, v2
	v_add_u16_sdwa v3, v3, s24 dst_sel:WORD_1 dst_unused:UNUSED_PAD src0_sel:DWORD src1_sel:DWORD
	v_or_b32_e32 v5, v2, v3
	v_and_or_b32 v2, v4, s21, v6
	v_lshlrev_b16_e32 v4, 8, v2
	v_and_b32_e32 v3, 0x3f00, v2
	v_add_u16_e32 v4, 0xe000, v4
	v_or_b32_sdwa v3, v3, v4 dst_sel:DWORD dst_unused:UNUSED_PAD src0_sel:DWORD src1_sel:BYTE_1
	v_add_u16_e32 v4, 0xe000, v3
	v_and_b32_sdwa v3, v2, s23 dst_sel:DWORD dst_unused:UNUSED_PAD src0_sel:WORD_1 src1_sel:DWORD
	v_lshlrev_b16_sdwa v2, v145, v2 dst_sel:DWORD dst_unused:UNUSED_PAD src0_sel:DWORD src1_sel:WORD_1
	v_add_u16_e32 v2, 0xe000, v2
	v_or_b32_sdwa v2, v3, v2 dst_sel:DWORD dst_unused:UNUSED_PAD src0_sel:DWORD src1_sel:BYTE_1
	v_add_u16_sdwa v6, v2, s24 dst_sel:WORD_1 dst_unused:UNUSED_PAD src0_sel:DWORD src1_sel:DWORD
	v_add_co_u32_e32 v2, vcc, s14, v46
	v_addc_co_u32_e32 v3, vcc, v45, v144, vcc
	global_load_dword v8, v[2:3], off
	v_add_co_u32_e32 v2, vcc, s14, v52
	v_addc_co_u32_e32 v3, vcc, v51, v144, vcc
	global_load_dword v9, v[2:3], off
	v_or_b32_e32 v2, v4, v6
	s_waitcnt vmcnt(4)
	v_ashrrev_i32_e32 v3, v106, v10
	ds_write2_b32 v119, v5, v2 offset1:16
	v_and_b32_e32 v2, 0xf0f0f0f, v7
	v_lshlrev_b32_e32 v5, 4, v3
	v_and_or_b32 v2, v5, s22, v2
	v_lshlrev_b16_e32 v5, 8, v2
	v_and_b32_e32 v6, 0x30303030, v3
	v_and_b32_e32 v3, 0x3f00, v2
	v_add_u16_e32 v5, 0xe000, v5
	v_or_b32_sdwa v3, v3, v5 dst_sel:DWORD dst_unused:UNUSED_PAD src0_sel:DWORD src1_sel:BYTE_1
	v_add_u16_e32 v5, 0xe000, v3
	v_and_b32_sdwa v3, v2, s23 dst_sel:DWORD dst_unused:UNUSED_PAD src0_sel:WORD_1 src1_sel:DWORD
	v_lshlrev_b16_sdwa v2, v145, v2 dst_sel:DWORD dst_unused:UNUSED_PAD src0_sel:DWORD src1_sel:WORD_1
	v_add_u16_e32 v2, 0xe000, v2
	v_or_b32_sdwa v2, v3, v2 dst_sel:DWORD dst_unused:UNUSED_PAD src0_sel:DWORD src1_sel:BYTE_1
	v_lshrrev_b32_e32 v4, 4, v7
	v_add_u16_sdwa v7, v2, s24 dst_sel:WORD_1 dst_unused:UNUSED_PAD src0_sel:DWORD src1_sel:DWORD
	v_add_co_u32_e32 v2, vcc, s14, v40
	v_addc_co_u32_e32 v3, vcc, v39, v144, vcc
	global_load_ushort v10, v[2:3], off
	v_add_co_u32_e32 v2, vcc, s14, v34
	v_addc_co_u32_e32 v3, vcc, v33, v144, vcc
	global_load_dword v13, v[2:3], off
	v_add_co_u32_e32 v2, vcc, s14, v28
	v_addc_co_u32_e32 v3, vcc, v27, v144, vcc
	global_load_dword v2, v[2:3], off
	v_and_or_b32 v4, v4, s21, v6
	v_lshlrev_b16_e32 v6, 8, v4
	v_or_b32_e32 v3, v5, v7
	v_and_b32_e32 v5, 0x3f00, v4
	v_add_u16_e32 v6, 0xe000, v6
	v_or_b32_sdwa v5, v5, v6 dst_sel:DWORD dst_unused:UNUSED_PAD src0_sel:DWORD src1_sel:BYTE_1
	v_and_b32_sdwa v6, v4, s23 dst_sel:DWORD dst_unused:UNUSED_PAD src0_sel:WORD_1 src1_sel:DWORD
	v_lshlrev_b16_sdwa v4, v145, v4 dst_sel:DWORD dst_unused:UNUSED_PAD src0_sel:DWORD src1_sel:WORD_1
	v_add_u16_e32 v4, 0xe000, v4
	v_or_b32_sdwa v4, v6, v4 dst_sel:DWORD dst_unused:UNUSED_PAD src0_sel:DWORD src1_sel:BYTE_1
	v_add_u16_e32 v5, 0xe000, v5
	v_add_u16_sdwa v4, v4, s24 dst_sel:WORD_1 dst_unused:UNUSED_PAD src0_sel:DWORD src1_sel:DWORD
	v_or_b32_e32 v4, v5, v4
	ds_write2_b32 v120, v3, v4 offset1:16
	s_waitcnt vmcnt(6)
	v_and_b32_e32 v3, 0xf0f0f0f, v11
	v_lshrrev_b32_e32 v4, 4, v11
	s_waitcnt vmcnt(5)
	v_ashrrev_i32_e32 v5, v106, v12
	v_lshlrev_b32_e32 v6, 4, v5
	v_and_or_b32 v3, v6, s22, v3
	v_lshlrev_b16_e32 v7, 8, v3
	v_and_b32_e32 v6, 0x3f00, v3
	v_add_u16_e32 v7, 0xe000, v7
	v_or_b32_sdwa v6, v6, v7 dst_sel:DWORD dst_unused:UNUSED_PAD src0_sel:DWORD src1_sel:BYTE_1
	v_and_b32_sdwa v7, v3, s23 dst_sel:DWORD dst_unused:UNUSED_PAD src0_sel:WORD_1 src1_sel:DWORD
	v_lshlrev_b16_sdwa v3, v145, v3 dst_sel:DWORD dst_unused:UNUSED_PAD src0_sel:DWORD src1_sel:WORD_1
	v_add_u16_e32 v3, 0xe000, v3
	v_and_b32_e32 v5, 0x30303030, v5
	v_or_b32_sdwa v3, v7, v3 dst_sel:DWORD dst_unused:UNUSED_PAD src0_sel:DWORD src1_sel:BYTE_1
	v_add_u16_e32 v6, 0xe000, v6
	v_add_u16_sdwa v3, v3, s24 dst_sel:WORD_1 dst_unused:UNUSED_PAD src0_sel:DWORD src1_sel:DWORD
	v_and_or_b32 v4, v4, s21, v5
	v_or_b32_e32 v3, v6, v3
	v_lshlrev_b16_e32 v6, 8, v4
	v_and_b32_e32 v5, 0x3f00, v4
	v_add_u16_e32 v6, 0xe000, v6
	v_or_b32_sdwa v5, v5, v6 dst_sel:DWORD dst_unused:UNUSED_PAD src0_sel:DWORD src1_sel:BYTE_1
	v_and_b32_sdwa v6, v4, s23 dst_sel:DWORD dst_unused:UNUSED_PAD src0_sel:WORD_1 src1_sel:DWORD
	v_lshlrev_b16_sdwa v4, v145, v4 dst_sel:DWORD dst_unused:UNUSED_PAD src0_sel:DWORD src1_sel:WORD_1
	v_add_u16_e32 v4, 0xe000, v4
	v_or_b32_sdwa v4, v6, v4 dst_sel:DWORD dst_unused:UNUSED_PAD src0_sel:DWORD src1_sel:BYTE_1
	v_add_u16_e32 v5, 0xe000, v5
	v_add_u16_sdwa v4, v4, s24 dst_sel:WORD_1 dst_unused:UNUSED_PAD src0_sel:DWORD src1_sel:DWORD
	v_or_b32_e32 v4, v5, v4
	ds_write2_b32 v121, v3, v4 offset1:16
	s_waitcnt vmcnt(4)
	v_and_b32_e32 v3, 0xf0f0f0f, v8
	v_lshrrev_b32_e32 v4, 4, v8
	s_waitcnt vmcnt(3)
	v_ashrrev_i32_e32 v5, v106, v9
	v_lshlrev_b32_e32 v6, 4, v5
	v_and_or_b32 v3, v6, s22, v3
	v_lshlrev_b16_e32 v7, 8, v3
	v_and_b32_e32 v6, 0x3f00, v3
	v_add_u16_e32 v7, 0xe000, v7
	v_or_b32_sdwa v6, v6, v7 dst_sel:DWORD dst_unused:UNUSED_PAD src0_sel:DWORD src1_sel:BYTE_1
	v_and_b32_sdwa v7, v3, s23 dst_sel:DWORD dst_unused:UNUSED_PAD src0_sel:WORD_1 src1_sel:DWORD
	v_lshlrev_b16_sdwa v3, v145, v3 dst_sel:DWORD dst_unused:UNUSED_PAD src0_sel:DWORD src1_sel:WORD_1
	v_add_u16_e32 v3, 0xe000, v3
	v_and_b32_e32 v5, 0x30303030, v5
	v_or_b32_sdwa v3, v7, v3 dst_sel:DWORD dst_unused:UNUSED_PAD src0_sel:DWORD src1_sel:BYTE_1
	v_add_u16_e32 v6, 0xe000, v6
	v_add_u16_sdwa v3, v3, s24 dst_sel:WORD_1 dst_unused:UNUSED_PAD src0_sel:DWORD src1_sel:DWORD
	v_and_or_b32 v4, v4, s21, v5
	v_or_b32_e32 v3, v6, v3
	v_lshlrev_b16_e32 v6, 8, v4
	v_and_b32_e32 v5, 0x3f00, v4
	v_add_u16_e32 v6, 0xe000, v6
	v_or_b32_sdwa v5, v5, v6 dst_sel:DWORD dst_unused:UNUSED_PAD src0_sel:DWORD src1_sel:BYTE_1
	v_and_b32_sdwa v6, v4, s23 dst_sel:DWORD dst_unused:UNUSED_PAD src0_sel:WORD_1 src1_sel:DWORD
	v_lshlrev_b16_sdwa v4, v145, v4 dst_sel:DWORD dst_unused:UNUSED_PAD src0_sel:DWORD src1_sel:WORD_1
	v_add_u16_e32 v4, 0xe000, v4
	v_or_b32_sdwa v4, v6, v4 dst_sel:DWORD dst_unused:UNUSED_PAD src0_sel:DWORD src1_sel:BYTE_1
	s_waitcnt vmcnt(2)
	v_cvt_f32_f16_e32 v6, v10
	v_add_u16_e32 v5, 0xe000, v5
	v_add_u16_sdwa v4, v4, s24 dst_sel:WORD_1 dst_unused:UNUSED_PAD src0_sel:DWORD src1_sel:DWORD
	v_or_b32_e32 v4, v5, v4
	ds_write2_b32 v122, v3, v4 offset1:16
	ds_write_b32 v123, v6
	s_waitcnt vmcnt(1)
	ds_write_b32 v124, v13
	s_waitcnt vmcnt(0)
	ds_write_b32 v125, v2
	s_cbranch_scc0 .LBB235_5
; %bb.7:                                ;   in Loop: Header=BB235_6 Depth=1
	v_cmp_gt_i32_e32 vcc, s9, v128
	s_and_b64 s[26:27], s[2:3], vcc
	s_and_saveexec_b64 s[4:5], s[26:27]
	s_cbranch_execz .LBB235_9
; %bb.8:                                ;   in Loop: Header=BB235_6 Depth=1
	v_add_u32_e32 v2, v24, v128
	v_mad_i64_i32 v[2:3], s[26:27], v2, 36, v[22:23]
	global_load_dword v2, v[2:3], off offset:4
	s_waitcnt vmcnt(0)
	ds_write_b32 v126, v2
.LBB235_9:                              ;   in Loop: Header=BB235_6 Depth=1
	s_or_b64 exec, exec, s[4:5]
	s_and_saveexec_b64 s[4:5], s[0:1]
	s_cbranch_execz .LBB235_12
; %bb.10:                               ;   in Loop: Header=BB235_6 Depth=1
	v_cmp_gt_i32_e32 vcc, s9, v105
	s_and_b64 s[26:27], s[2:3], vcc
	s_and_b64 exec, exec, s[26:27]
	s_cbranch_execz .LBB235_12
; %bb.11:                               ;   in Loop: Header=BB235_6 Depth=1
	v_add_u32_e32 v2, v24, v105
	v_mad_i64_i32 v[2:3], s[26:27], v2, 36, s[6:7]
	global_load_dword v2, v[2:3], off
	s_waitcnt vmcnt(0)
	v_cvt_f32_f16_e32 v2, v2
	ds_write_b32 v127, v2
.LBB235_12:                             ;   in Loop: Header=BB235_6 Depth=1
	s_or_b64 exec, exec, s[4:5]
	s_waitcnt lgkmcnt(0)
	s_barrier
	ds_read_b128 v[6:9], v129
	ds_read_b128 v[10:13], v129 offset:16
	ds_read_b128 v[14:17], v129 offset:32
	;; [unrolled: 1-line block ×3, first 2 shown]
	ds_read_b32 v146, v133
	ds_read2_b32 v[96:97], v132 offset0:6 offset1:7
	ds_read2_b32 v[100:101], v132 offset0:4 offset1:5
	;; [unrolled: 1-line block ×3, first 2 shown]
	ds_read2_b32 v[148:149], v132 offset1:1
	ds_read2_b32 v[150:151], v132 offset0:14 offset1:15
	ds_read2_b32 v[152:153], v132 offset0:12 offset1:13
	ds_read_b128 v[2:5], v130 offset:36944
	ds_read2_b32 v[98:99], v131 offset1:1
	v_mov_b32_e32 v147, 0
	ds_read2_b32 v[154:155], v132 offset0:10 offset1:11
	ds_read2_b32 v[156:157], v132 offset0:8 offset1:9
	s_waitcnt lgkmcnt(4)
	v_dot4c_i32_i8_e32 v147, v152, v18
	v_dot4c_i32_i8_e32 v147, v153, v19
	;; [unrolled: 1-line block ×4, first 2 shown]
	v_mov_b32_e32 v151, 0
	v_dot4c_i32_i8_e32 v151, v100, v10
	v_dot4c_i32_i8_e32 v151, v101, v11
	v_dot4c_i32_i8_e32 v151, v96, v12
	v_dot4c_i32_i8_e32 v151, v97, v13
	v_mov_b32_e32 v97, 0
	v_dot4c_i32_i8_e32 v97, v148, v6
	v_dot4c_i32_i8_e32 v97, v149, v7
	s_waitcnt lgkmcnt(2)
	v_bfe_i32 v96, v98, 8, 8
	v_dot4c_i32_i8_e32 v97, v102, v8
	v_mul_lo_u32 v96, v151, v96
	v_dot4c_i32_i8_e32 v97, v103, v9
	v_bfe_i32 v100, v98, 0, 8
	v_mov_b32_e32 v150, 0
	s_waitcnt lgkmcnt(0)
	v_dot4c_i32_i8_e32 v150, v156, v14
	v_mad_u64_u32 v[96:97], s[4:5], v97, v100, v[96:97]
	v_cvt_f32_i32_e32 v96, v96
	v_dot4c_i32_i8_e32 v150, v157, v15
	v_dot4c_i32_i8_e32 v150, v154, v16
	;; [unrolled: 1-line block ×3, first 2 shown]
	v_fma_f32 v162, v2, v96, 0
	v_ashrrev_i32_e32 v96, 24, v98
	v_bfe_i32 v97, v98, 16, 8
	v_mul_lo_u32 v96, v147, v96
	v_mad_u64_u32 v[96:97], s[4:5], v150, v97, v[96:97]
	v_add_u32_e32 v100, 0x2090, v132
	v_add_u32_e32 v148, 0x2088, v132
	;; [unrolled: 1-line block ×5, first 2 shown]
	v_cvt_f32_i32_e32 v147, v96
	ds_read2_b32 v[96:97], v137 offset1:1
	ds_read_b32 v166, v136 offset:128
	ds_read2_b32 v[102:103], v135 offset1:1
	ds_read2_b32 v[100:101], v100 offset1:1
	;; [unrolled: 1-line block ×6, first 2 shown]
	v_mov_b32_e32 v163, 0
	v_add_u32_e32 v98, 0x2098, v132
	v_add_u32_e32 v156, 0x20a8, v132
	;; [unrolled: 1-line block ×3, first 2 shown]
	s_waitcnt lgkmcnt(0)
	v_dot4c_i32_i8_e32 v163, v154, v18
	v_dot4c_i32_i8_e32 v163, v155, v19
	v_add_u32_e32 v160, 0x4118, v132
	v_dot4c_i32_i8_e32 v163, v152, v20
	ds_read2_b32 v[156:157], v156 offset1:1
	ds_read2_b32 v[158:159], v158 offset1:1
	ds_read2_b32 v[160:161], v160 offset1:1
	v_dot4c_i32_i8_e32 v163, v153, v21
	ds_read2_b32 v[152:153], v98 offset1:1
	v_mov_b32_e32 v155, 0
	v_dot4c_i32_i8_e32 v155, v100, v10
	v_dot4c_i32_i8_e32 v155, v101, v11
	v_mov_b32_e32 v101, 0
	v_dot4c_i32_i8_e32 v101, v150, v6
	s_waitcnt lgkmcnt(0)
	v_dot4c_i32_i8_e32 v155, v152, v12
	v_dot4c_i32_i8_e32 v101, v151, v7
	v_mov_b32_e32 v154, 0
	v_dot4c_i32_i8_e32 v155, v153, v13
	v_bfe_i32 v100, v102, 8, 8
	v_dot4c_i32_i8_e32 v101, v148, v8
	v_dot4c_i32_i8_e32 v154, v158, v14
	v_mul_lo_u32 v100, v155, v100
	v_dot4c_i32_i8_e32 v101, v149, v9
	v_bfe_i32 v148, v102, 0, 8
	v_dot4c_i32_i8_e32 v154, v159, v15
	v_dot4c_i32_i8_e32 v154, v156, v16
	v_mad_u64_u32 v[100:101], s[4:5], v101, v148, v[100:101]
	v_cvt_f32_i32_e32 v148, v100
	v_ashrrev_i32_e32 v100, 24, v102
	v_dot4c_i32_i8_e32 v154, v157, v17
	v_bfe_i32 v101, v102, 16, 8
	v_mul_lo_u32 v100, v163, v100
	v_fmac_f32_e32 v162, v3, v147
	v_mad_u64_u32 v[100:101], s[4:5], v154, v101, v[100:101]
	v_cvt_f32_i32_e32 v100, v100
	v_fma_f32 v101, v2, v148, 0
	v_add_u32_e32 v147, 0x4108, v132
	v_add_u32_e32 v150, 0x4100, v132
	v_fmac_f32_e32 v101, v3, v100
	v_add_u32_e32 v100, 0x4110, v132
	v_add_u32_e32 v152, 0x4138, v132
	ds_read_b32 v98, v140 offset:384
	ds_read_b32 v102, v138 offset:256
	v_fmac_f32_e32 v143, v166, v101
	ds_read2_b32 v[100:101], v100 offset1:1
	ds_read2_b32 v[148:149], v147 offset1:1
	;; [unrolled: 1-line block ×4, first 2 shown]
	v_add_u32_e32 v147, 0x4130, v132
	ds_read2_b32 v[154:155], v147 offset1:1
	v_mov_b32_e32 v164, 0
	v_add_u32_e32 v156, 0x4128, v132
	v_add_u32_e32 v158, 0x4120, v132
	v_fmac_f32_e32 v142, v146, v162
	s_waitcnt lgkmcnt(0)
	v_dot4c_i32_i8_e32 v164, v154, v18
	v_dot4c_i32_i8_e32 v164, v155, v19
	;; [unrolled: 1-line block ×3, first 2 shown]
	v_mov_b32_e32 v152, 0
	v_dot4c_i32_i8_e32 v152, v100, v10
	v_dot4c_i32_i8_e32 v152, v101, v11
	v_mov_b32_e32 v101, 0
	v_dot4c_i32_i8_e32 v101, v150, v6
	v_dot4c_i32_i8_e32 v152, v160, v12
	;; [unrolled: 1-line block ×4, first 2 shown]
	v_bfe_i32 v100, v96, 8, 8
	v_dot4c_i32_i8_e32 v101, v148, v8
	v_add_u32_e32 v147, 0x6198, v132
	ds_read2_b32 v[156:157], v156 offset1:1
	ds_read2_b32 v[158:159], v158 offset1:1
	;; [unrolled: 1-line block ×3, first 2 shown]
	v_mul_lo_u32 v100, v152, v100
	v_dot4c_i32_i8_e32 v101, v149, v9
	v_bfe_i32 v148, v96, 0, 8
	v_mov_b32_e32 v147, 0
	s_waitcnt lgkmcnt(1)
	v_dot4c_i32_i8_e32 v147, v158, v14
	v_mad_u64_u32 v[100:101], s[4:5], v101, v148, v[100:101]
	v_cvt_f32_i32_e32 v100, v100
	v_dot4c_i32_i8_e32 v147, v159, v15
	v_dot4c_i32_i8_e32 v164, v153, v21
	;; [unrolled: 1-line block ×3, first 2 shown]
	v_fma_f32 v167, v2, v100, 0
	v_bfe_i32 v100, v96, 16, 8
	v_ashrrev_i32_e32 v96, 24, v96
	v_dot4c_i32_i8_e32 v147, v157, v17
	v_mul_lo_u32 v96, v164, v96
	v_add_u32_e32 v150, 0x6188, v132
	v_add_u32_e32 v152, 0x6180, v132
	v_mad_u64_u32 v[100:101], s[4:5], v147, v100, v[96:97]
	v_add_u32_e32 v147, 0x6190, v132
	v_add_u32_e32 v154, 0x61b8, v132
	v_cvt_f32_i32_e32 v96, v100
	ds_read2_b32 v[100:101], v139 offset1:1
	ds_read2_b32 v[148:149], v147 offset1:1
	;; [unrolled: 1-line block ×5, first 2 shown]
	v_add_u32_e32 v147, 0x61b0, v132
	ds_read2_b32 v[156:157], v147 offset1:1
	v_add_u32_e32 v158, 0x61a8, v132
	v_add_u32_e32 v160, 0x61a0, v132
	;; [unrolled: 1-line block ×3, first 2 shown]
	ds_read2_b32 v[158:159], v158 offset1:1
	ds_read2_b32 v[160:161], v160 offset1:1
	;; [unrolled: 1-line block ×3, first 2 shown]
	v_mov_b32_e32 v168, 0
	s_waitcnt lgkmcnt(3)
	v_dot4c_i32_i8_e32 v168, v156, v18
	v_mov_b32_e32 v18, 0
	s_waitcnt lgkmcnt(1)
	v_dot4c_i32_i8_e32 v18, v160, v14
	v_mov_b32_e32 v14, 0
	v_dot4c_i32_i8_e32 v14, v148, v10
	v_dot4c_i32_i8_e32 v14, v149, v11
	v_mov_b32_e32 v11, 0
	v_dot4c_i32_i8_e32 v11, v152, v6
	v_dot4c_i32_i8_e32 v14, v162, v12
	;; [unrolled: 1-line block ×4, first 2 shown]
	v_bfe_i32 v10, v100, 8, 8
	v_dot4c_i32_i8_e32 v11, v150, v8
	v_dot4c_i32_i8_e32 v168, v157, v19
	v_mul_lo_u32 v10, v14, v10
	v_dot4c_i32_i8_e32 v11, v151, v9
	v_bfe_i32 v6, v100, 0, 8
	v_dot4c_i32_i8_e32 v168, v154, v20
	v_dot4c_i32_i8_e32 v18, v161, v15
	v_mad_u64_u32 v[6:7], s[4:5], v11, v6, v[10:11]
	v_dot4c_i32_i8_e32 v168, v155, v21
	v_dot4c_i32_i8_e32 v18, v158, v16
	v_cvt_f32_i32_e32 v8, v6
	v_ashrrev_i32_e32 v6, 24, v100
	v_dot4c_i32_i8_e32 v18, v159, v17
	v_bfe_i32 v7, v100, 16, 8
	v_mul_lo_u32 v6, v168, v6
	v_fma_f32 v2, v2, v8, 0
	v_mad_u64_u32 v[6:7], s[4:5], v18, v7, v[6:7]
	v_cvt_f32_i32_e32 v6, v6
	v_fmac_f32_e32 v167, v3, v96
	v_mov_b32_e32 v96, 0
	v_bfe_i32 v147, v99, 0, 8
	v_fmac_f32_e32 v2, v3, v6
	v_fmac_f32_e32 v71, v98, v2
	ds_read_b128 v[10:13], v129 offset:80
	ds_read_b128 v[6:9], v129 offset:64
	ds_read_b128 v[18:21], v129 offset:112
	ds_read_b128 v[14:17], v129 offset:96
	ds_read2_b32 v[2:3], v132 offset0:30 offset1:31
	ds_read2_b32 v[148:149], v132 offset0:28 offset1:29
	;; [unrolled: 1-line block ×6, first 2 shown]
	s_waitcnt lgkmcnt(4)
	v_dot4c_i32_i8_e32 v96, v148, v18
	v_dot4c_i32_i8_e32 v96, v149, v19
	;; [unrolled: 1-line block ×3, first 2 shown]
	v_mov_b32_e32 v2, 0
	s_waitcnt lgkmcnt(2)
	v_dot4c_i32_i8_e32 v2, v152, v10
	v_dot4c_i32_i8_e32 v2, v153, v11
	;; [unrolled: 1-line block ×5, first 2 shown]
	v_bfe_i32 v3, v99, 8, 8
	ds_read2_b32 v[158:159], v132 offset0:26 offset1:27
	ds_read2_b32 v[160:161], v132 offset0:24 offset1:25
	v_mul_lo_u32 v2, v2, v3
	v_mov_b32_e32 v3, 0
	s_waitcnt lgkmcnt(2)
	v_dot4c_i32_i8_e32 v3, v156, v6
	v_dot4c_i32_i8_e32 v3, v157, v7
	;; [unrolled: 1-line block ×4, first 2 shown]
	v_mov_b32_e32 v100, 0
	s_waitcnt lgkmcnt(0)
	v_dot4c_i32_i8_e32 v100, v160, v14
	v_dot4c_i32_i8_e32 v100, v161, v15
	v_mad_u64_u32 v[2:3], s[4:5], v3, v147, v[2:3]
	v_cvt_f32_i32_e32 v2, v2
	v_dot4c_i32_i8_e32 v100, v158, v16
	v_dot4c_i32_i8_e32 v100, v159, v17
	v_bfe_i32 v3, v99, 16, 8
	v_fma_f32 v147, v4, v2, 0
	v_ashrrev_i32_e32 v2, 24, v99
	v_mul_lo_u32 v2, v96, v2
	v_mad_u64_u32 v[2:3], s[4:5], v100, v3, v[2:3]
	v_cvt_f32_i32_e32 v96, v2
	v_add_u32_e32 v2, 0x20d0, v132
	v_add_u32_e32 v99, 0x20c8, v132
	;; [unrolled: 1-line block ×4, first 2 shown]
	ds_read2_b32 v[2:3], v2 offset1:1
	ds_read2_b32 v[148:149], v99 offset1:1
	;; [unrolled: 1-line block ×4, first 2 shown]
	v_add_u32_e32 v99, 0x20f0, v132
	ds_read2_b32 v[154:155], v99 offset1:1
	v_mov_b32_e32 v100, 0
	v_add_u32_e32 v156, 0x20e8, v132
	v_add_u32_e32 v158, 0x20e0, v132
	;; [unrolled: 1-line block ×3, first 2 shown]
	s_waitcnt lgkmcnt(0)
	v_dot4c_i32_i8_e32 v100, v154, v18
	v_dot4c_i32_i8_e32 v100, v155, v19
	;; [unrolled: 1-line block ×3, first 2 shown]
	v_mov_b32_e32 v152, 0
	v_dot4c_i32_i8_e32 v152, v2, v10
	ds_read2_b32 v[156:157], v156 offset1:1
	ds_read2_b32 v[158:159], v158 offset1:1
	;; [unrolled: 1-line block ×3, first 2 shown]
	v_dot4c_i32_i8_e32 v152, v3, v11
	v_mov_b32_e32 v3, 0
	v_dot4c_i32_i8_e32 v3, v150, v6
	v_dot4c_i32_i8_e32 v152, v164, v12
	;; [unrolled: 1-line block ×3, first 2 shown]
	v_mov_b32_e32 v99, 0
	v_dot4c_i32_i8_e32 v152, v165, v13
	v_bfe_i32 v2, v103, 8, 8
	v_dot4c_i32_i8_e32 v3, v148, v8
	s_waitcnt lgkmcnt(1)
	v_dot4c_i32_i8_e32 v99, v158, v14
	v_mul_lo_u32 v2, v152, v2
	v_dot4c_i32_i8_e32 v3, v149, v9
	v_bfe_i32 v148, v103, 0, 8
	v_dot4c_i32_i8_e32 v99, v159, v15
	v_dot4c_i32_i8_e32 v100, v153, v21
	v_mad_u64_u32 v[2:3], s[4:5], v3, v148, v[2:3]
	v_dot4c_i32_i8_e32 v99, v156, v16
	v_cvt_f32_i32_e32 v148, v2
	v_ashrrev_i32_e32 v2, 24, v103
	v_dot4c_i32_i8_e32 v99, v157, v17
	v_bfe_i32 v3, v103, 16, 8
	v_mul_lo_u32 v2, v100, v2
	v_fmac_f32_e32 v147, v5, v96
	v_mad_u64_u32 v[2:3], s[4:5], v99, v3, v[2:3]
	v_cvt_f32_i32_e32 v2, v2
	v_fma_f32 v3, v4, v148, 0
	v_add_u32_e32 v96, 0x4148, v132
	v_add_u32_e32 v100, 0x4178, v132
	v_fmac_f32_e32 v3, v5, v2
	v_add_u32_e32 v2, 0x4150, v132
	v_fmac_f32_e32 v142, v146, v147
	v_fmac_f32_e32 v143, v166, v3
	v_add_u32_e32 v99, 0x4140, v132
	ds_read2_b32 v[2:3], v2 offset1:1
	ds_read2_b32 v[146:147], v96 offset1:1
	;; [unrolled: 1-line block ×4, first 2 shown]
	v_add_u32_e32 v96, 0x4170, v132
	v_add_u32_e32 v100, 0x4168, v132
	;; [unrolled: 1-line block ×3, first 2 shown]
	ds_read2_b32 v[152:153], v96 offset1:1
	v_add_u32_e32 v96, 0x61d8, v132
	ds_read2_b32 v[154:155], v100 offset1:1
	ds_read2_b32 v[156:157], v103 offset1:1
	;; [unrolled: 1-line block ×3, first 2 shown]
	v_mov_b32_e32 v100, 0
	s_waitcnt lgkmcnt(7)
	v_dot4c_i32_i8_e32 v100, v2, v10
	v_dot4c_i32_i8_e32 v100, v3, v11
	v_mov_b32_e32 v3, 0
	s_waitcnt lgkmcnt(5)
	v_dot4c_i32_i8_e32 v3, v148, v6
	v_dot4c_i32_i8_e32 v100, v160, v12
	;; [unrolled: 1-line block ×4, first 2 shown]
	v_bfe_i32 v2, v97, 8, 8
	v_dot4c_i32_i8_e32 v3, v146, v8
	v_dot4c_i32_i8_e32 v3, v147, v9
	v_mul_lo_u32 v2, v100, v2
	v_bfe_i32 v100, v97, 0, 8
	v_mov_b32_e32 v99, 0
	v_mad_u64_u32 v[2:3], s[4:5], v3, v100, v[2:3]
	v_cvt_f32_i32_e32 v2, v2
	s_waitcnt lgkmcnt(3)
	v_dot4c_i32_i8_e32 v99, v152, v18
	v_mov_b32_e32 v96, 0
	v_dot4c_i32_i8_e32 v99, v153, v19
	s_waitcnt lgkmcnt(1)
	v_dot4c_i32_i8_e32 v96, v156, v14
	v_dot4c_i32_i8_e32 v99, v150, v20
	;; [unrolled: 1-line block ×5, first 2 shown]
	v_fma_f32 v100, v4, v2, 0
	v_ashrrev_i32_e32 v2, 24, v97
	v_dot4c_i32_i8_e32 v96, v155, v17
	v_bfe_i32 v3, v97, 16, 8
	v_mul_lo_u32 v2, v99, v2
	v_add_u32_e32 v103, 0x61c0, v132
	v_mad_u64_u32 v[2:3], s[4:5], v96, v3, v[2:3]
	v_cvt_f32_i32_e32 v99, v2
	v_add_u32_e32 v2, 0x61d0, v132
	v_add_u32_e32 v96, 0x61c8, v132
	;; [unrolled: 1-line block ×3, first 2 shown]
	ds_read2_b32 v[2:3], v2 offset1:1
	ds_read2_b32 v[96:97], v96 offset1:1
	;; [unrolled: 1-line block ×4, first 2 shown]
	v_add_u32_e32 v103, 0x61f0, v132
	ds_read2_b32 v[150:151], v103 offset1:1
	v_add_u32_e32 v103, 0x61e8, v132
	v_add_u32_e32 v154, 0x61e0, v132
	ds_read2_b32 v[152:153], v103 offset1:1
	ds_read2_b32 v[154:155], v154 offset1:1
	v_mov_b32_e32 v156, 0
	s_waitcnt lgkmcnt(2)
	v_dot4c_i32_i8_e32 v156, v150, v18
	v_mov_b32_e32 v18, 0
	v_dot4c_i32_i8_e32 v156, v151, v19
	s_waitcnt lgkmcnt(0)
	v_dot4c_i32_i8_e32 v18, v154, v14
	v_mov_b32_e32 v14, 0
	v_dot4c_i32_i8_e32 v14, v2, v10
	v_dot4c_i32_i8_e32 v14, v3, v11
	v_mov_b32_e32 v3, 0
	v_dot4c_i32_i8_e32 v3, v146, v6
	v_dot4c_i32_i8_e32 v14, v158, v12
	;; [unrolled: 1-line block ×4, first 2 shown]
	v_bfe_i32 v2, v101, 8, 8
	v_dot4c_i32_i8_e32 v3, v96, v8
	v_dot4c_i32_i8_e32 v3, v97, v9
	v_mul_lo_u32 v2, v14, v2
	v_bfe_i32 v6, v101, 0, 8
	v_dot4c_i32_i8_e32 v156, v148, v20
	v_dot4c_i32_i8_e32 v18, v155, v15
	v_mad_u64_u32 v[2:3], s[4:5], v3, v6, v[2:3]
	v_dot4c_i32_i8_e32 v156, v149, v21
	v_dot4c_i32_i8_e32 v18, v152, v16
	v_cvt_f32_i32_e32 v6, v2
	v_ashrrev_i32_e32 v2, 24, v101
	v_dot4c_i32_i8_e32 v18, v153, v17
	v_bfe_i32 v3, v101, 16, 8
	v_mul_lo_u32 v2, v156, v2
	v_fmac_f32_e32 v141, v102, v167
	v_mad_u64_u32 v[2:3], s[4:5], v18, v3, v[2:3]
	v_cvt_f32_i32_e32 v2, v2
	v_fma_f32 v3, v4, v6, 0
	v_fmac_f32_e32 v100, v5, v99
	v_fmac_f32_e32 v141, v102, v100
	v_fmac_f32_e32 v3, v5, v2
	v_fmac_f32_e32 v71, v98, v3
	s_cmp_ge_i32 s20, s15
	s_barrier
	s_cbranch_scc1 .LBB235_5
; %bb.13:                               ;   in Loop: Header=BB235_6 Depth=1
	v_cmp_gt_i32_e32 vcc, s9, v134
	s_and_b64 s[26:27], s[2:3], vcc
	s_and_saveexec_b64 s[4:5], s[26:27]
	s_cbranch_execz .LBB235_15
; %bb.14:                               ;   in Loop: Header=BB235_6 Depth=1
	v_add_u32_e32 v2, v24, v134
	v_mad_i64_i32 v[2:3], s[26:27], v2, 36, v[22:23]
	global_load_dword v2, v[2:3], off offset:4
	s_waitcnt vmcnt(0)
	ds_write_b32 v126, v2
.LBB235_15:                             ;   in Loop: Header=BB235_6 Depth=1
	s_or_b64 exec, exec, s[4:5]
	s_and_saveexec_b64 s[4:5], s[0:1]
	s_cbranch_execz .LBB235_4
; %bb.16:                               ;   in Loop: Header=BB235_6 Depth=1
	v_add_u32_e32 v2, 4, v105
	v_cmp_gt_i32_e32 vcc, s9, v2
	s_and_b64 s[26:27], s[2:3], vcc
	s_and_b64 exec, exec, s[26:27]
	s_cbranch_execz .LBB235_4
; %bb.17:                               ;   in Loop: Header=BB235_6 Depth=1
	v_ashrrev_i32_e32 v2, 31, v105
	v_add_co_u32_e32 v3, vcc, v24, v105
	v_addc_co_u32_e32 v4, vcc, v1, v2, vcc
	v_mad_u64_u32 v[2:3], s[26:27], v3, 36, s[16:17]
	v_mad_i32_i24 v3, v4, 36, v3
	global_load_dword v2, v[2:3], off
	s_waitcnt vmcnt(0)
	v_cvt_f32_f16_e32 v2, v2
	ds_write_b32 v127, v2
	s_branch .LBB235_4
.LBB235_18:
	v_mov_b32_e32 v141, 0
	v_mov_b32_e32 v143, 0
	;; [unrolled: 1-line block ×3, first 2 shown]
.LBB235_19:
	s_mul_i32 s0, s11, s8
	s_waitcnt vmcnt(0)
	v_cmp_gt_i32_e32 vcc, s0, v104
	s_and_saveexec_b64 s[0:1], vcc
	s_cbranch_execz .LBB235_28
; %bb.20:
	v_and_b32_e32 v0, 0x3ff, v0
	v_add_u32_e32 v1, s18, v0
	v_mul_lo_u32 v0, v104, s10
	v_cmp_gt_u32_e32 vcc, s10, v1
	s_and_saveexec_b64 s[0:1], vcc
	s_cbranch_execz .LBB235_22
; %bb.21:
	v_bfe_u32 v2, v142, 16, 1
	s_movk_i32 s2, 0x7fff
	v_add3_u32 v2, v142, v2, s2
	v_lshrrev_b32_e32 v2, 16, v2
	v_mov_b32_e32 v3, 0x7fc0
	v_cmp_o_f32_e32 vcc, v142, v142
	v_cndmask_b32_e32 v4, v3, v2, vcc
	v_add_u32_e32 v2, v0, v1
	v_mov_b32_e32 v3, 0
	v_lshlrev_b64 v[2:3], 1, v[2:3]
	v_mov_b32_e32 v5, s13
	v_add_co_u32_e32 v2, vcc, s12, v2
	v_addc_co_u32_e32 v3, vcc, v5, v3, vcc
	global_store_short v[2:3], v4, off
.LBB235_22:
	s_or_b64 exec, exec, s[0:1]
	v_add_u32_e32 v2, 32, v1
	v_cmp_gt_u32_e32 vcc, s10, v2
	s_and_saveexec_b64 s[0:1], vcc
	s_cbranch_execz .LBB235_24
; %bb.23:
	v_bfe_u32 v3, v143, 16, 1
	s_movk_i32 s2, 0x7fff
	v_add3_u32 v3, v143, v3, s2
	v_lshrrev_b32_e32 v3, 16, v3
	v_mov_b32_e32 v4, 0x7fc0
	v_cmp_o_f32_e32 vcc, v143, v143
	v_cndmask_b32_e32 v4, v4, v3, vcc
	v_add_u32_e32 v2, v0, v2
	v_mov_b32_e32 v3, 0
	v_lshlrev_b64 v[2:3], 1, v[2:3]
	v_mov_b32_e32 v5, s13
	v_add_co_u32_e32 v2, vcc, s12, v2
	v_addc_co_u32_e32 v3, vcc, v5, v3, vcc
	global_store_short v[2:3], v4, off
.LBB235_24:
	s_or_b64 exec, exec, s[0:1]
	v_add_u32_e32 v2, 64, v1
	;; [unrolled: 21-line block ×3, first 2 shown]
	v_cmp_gt_u32_e32 vcc, s10, v1
	s_and_b64 exec, exec, vcc
	s_cbranch_execz .LBB235_28
; %bb.27:
	v_bfe_u32 v2, v71, 16, 1
	s_movk_i32 s0, 0x7fff
	v_add3_u32 v2, v71, v2, s0
	v_add_u32_e32 v0, v0, v1
	v_mov_b32_e32 v1, 0
	v_lshrrev_b32_e32 v2, 16, v2
	v_mov_b32_e32 v3, 0x7fc0
	v_cmp_o_f32_e32 vcc, v71, v71
	v_lshlrev_b64 v[0:1], 1, v[0:1]
	v_cndmask_b32_e32 v2, v3, v2, vcc
	v_mov_b32_e32 v3, s13
	v_add_co_u32_e32 v0, vcc, s12, v0
	v_addc_co_u32_e32 v1, vcc, v3, v1, vcc
	global_store_short v[0:1], v2, off
.LBB235_28:
	s_endpgm
	.section	.rodata,"a",@progbits
	.p2align	6, 0x0
	.amdhsa_kernel _ZL8moe_q6_KIN3c108BFloat16ELb0EEvPKvS3_PT_PKiS7_S7_iiiiiii
		.amdhsa_group_segment_fixed_size 37072
		.amdhsa_private_segment_fixed_size 0
		.amdhsa_kernarg_size 76
		.amdhsa_user_sgpr_count 6
		.amdhsa_user_sgpr_private_segment_buffer 1
		.amdhsa_user_sgpr_dispatch_ptr 0
		.amdhsa_user_sgpr_queue_ptr 0
		.amdhsa_user_sgpr_kernarg_segment_ptr 1
		.amdhsa_user_sgpr_dispatch_id 0
		.amdhsa_user_sgpr_flat_scratch_init 0
		.amdhsa_user_sgpr_kernarg_preload_length 0
		.amdhsa_user_sgpr_kernarg_preload_offset 0
		.amdhsa_user_sgpr_private_segment_size 0
		.amdhsa_uses_dynamic_stack 0
		.amdhsa_system_sgpr_private_segment_wavefront_offset 0
		.amdhsa_system_sgpr_workgroup_id_x 1
		.amdhsa_system_sgpr_workgroup_id_y 1
		.amdhsa_system_sgpr_workgroup_id_z 0
		.amdhsa_system_sgpr_workgroup_info 0
		.amdhsa_system_vgpr_workitem_id 1
		.amdhsa_next_free_vgpr 169
		.amdhsa_next_free_sgpr 30
		.amdhsa_accum_offset 172
		.amdhsa_reserve_vcc 1
		.amdhsa_reserve_flat_scratch 0
		.amdhsa_float_round_mode_32 0
		.amdhsa_float_round_mode_16_64 0
		.amdhsa_float_denorm_mode_32 3
		.amdhsa_float_denorm_mode_16_64 3
		.amdhsa_dx10_clamp 1
		.amdhsa_ieee_mode 1
		.amdhsa_fp16_overflow 0
		.amdhsa_tg_split 0
		.amdhsa_exception_fp_ieee_invalid_op 0
		.amdhsa_exception_fp_denorm_src 0
		.amdhsa_exception_fp_ieee_div_zero 0
		.amdhsa_exception_fp_ieee_overflow 0
		.amdhsa_exception_fp_ieee_underflow 0
		.amdhsa_exception_fp_ieee_inexact 0
		.amdhsa_exception_int_div_zero 0
	.end_amdhsa_kernel
	.section	.text._ZL8moe_q6_KIN3c108BFloat16ELb0EEvPKvS3_PT_PKiS7_S7_iiiiiii,"axG",@progbits,_ZL8moe_q6_KIN3c108BFloat16ELb0EEvPKvS3_PT_PKiS7_S7_iiiiiii,comdat
.Lfunc_end235:
	.size	_ZL8moe_q6_KIN3c108BFloat16ELb0EEvPKvS3_PT_PKiS7_S7_iiiiiii, .Lfunc_end235-_ZL8moe_q6_KIN3c108BFloat16ELb0EEvPKvS3_PT_PKiS7_S7_iiiiiii
                                        ; -- End function
	.section	.AMDGPU.csdata,"",@progbits
; Kernel info:
; codeLenInByte = 12320
; NumSgprs: 34
; NumVgprs: 169
; NumAgprs: 0
; TotalNumVgprs: 169
; ScratchSize: 0
; MemoryBound: 0
; FloatMode: 240
; IeeeMode: 1
; LDSByteSize: 37072 bytes/workgroup (compile time only)
; SGPRBlocks: 4
; VGPRBlocks: 21
; NumSGPRsForWavesPerEU: 34
; NumVGPRsForWavesPerEU: 169
; AccumOffset: 172
; Occupancy: 1
; WaveLimiterHint : 1
; COMPUTE_PGM_RSRC2:SCRATCH_EN: 0
; COMPUTE_PGM_RSRC2:USER_SGPR: 6
; COMPUTE_PGM_RSRC2:TRAP_HANDLER: 0
; COMPUTE_PGM_RSRC2:TGID_X_EN: 1
; COMPUTE_PGM_RSRC2:TGID_Y_EN: 1
; COMPUTE_PGM_RSRC2:TGID_Z_EN: 0
; COMPUTE_PGM_RSRC2:TIDIG_COMP_CNT: 1
; COMPUTE_PGM_RSRC3_GFX90A:ACCUM_OFFSET: 42
; COMPUTE_PGM_RSRC3_GFX90A:TG_SPLIT: 0
	.section	.text._ZL8moe_q6_KIN3c108BFloat16ELb1EEvPKvS3_PT_PKiS7_S7_iiiiiii,"axG",@progbits,_ZL8moe_q6_KIN3c108BFloat16ELb1EEvPKvS3_PT_PKiS7_S7_iiiiiii,comdat
	.globl	_ZL8moe_q6_KIN3c108BFloat16ELb1EEvPKvS3_PT_PKiS7_S7_iiiiiii ; -- Begin function _ZL8moe_q6_KIN3c108BFloat16ELb1EEvPKvS3_PT_PKiS7_S7_iiiiiii
	.p2align	8
	.type	_ZL8moe_q6_KIN3c108BFloat16ELb1EEvPKvS3_PT_PKiS7_S7_iiiiiii,@function
_ZL8moe_q6_KIN3c108BFloat16ELb1EEvPKvS3_PT_PKiS7_S7_iiiiiii: ; @_ZL8moe_q6_KIN3c108BFloat16ELb1EEvPKvS3_PT_PKiS7_S7_iiiiiii
; %bb.0:
	s_load_dwordx4 s[0:3], s[4:5], 0x18
	s_mov_b32 s8, s7
	s_mov_b32 s9, 0
	s_lshl_b64 s[10:11], s[8:9], 2
	s_waitcnt lgkmcnt(0)
	s_add_u32 s2, s2, s10
	s_addc_u32 s3, s3, s11
	s_load_dword s2, s[2:3], 0x0
	s_waitcnt lgkmcnt(0)
	s_cmpk_gt_u32 s2, 0xff
	s_cbranch_scc1 .LBB236_28
; %bb.1:
	s_load_dwordx2 s[10:11], s[4:5], 0x28
	s_lshl_b32 s3, s8, 3
	s_waitcnt lgkmcnt(0)
	s_load_dword s7, s[10:11], 0x0
	s_waitcnt lgkmcnt(0)
	s_cmp_gt_u32 s3, s7
	s_cbranch_scc1 .LBB236_28
; %bb.2:
	v_bfe_u32 v1, v0, 10, 10
	v_add_u32_e32 v70, s3, v1
	v_mov_b32_e32 v71, 0
	v_lshlrev_b64 v[2:3], 2, v[70:71]
	v_mov_b32_e32 v4, s1
	v_add_co_u32_e32 v2, vcc, s0, v2
	v_addc_co_u32_e32 v3, vcc, v4, v3, vcc
	global_load_dword v97, v[2:3], off
	s_load_dwordx8 s[8:15], s[4:5], 0x30
	s_load_dwordx2 s[16:17], s[4:5], 0x10
	s_waitcnt lgkmcnt(0)
	s_lshl_b32 s15, s6, 7
	s_cmpk_lt_i32 s9, 0x100
	s_cbranch_scc1 .LBB236_18
; %bb.3:
	v_and_b32_e32 v99, 0x3ff, v0
	s_ashr_i32 s0, s9, 31
	v_and_b32_e32 v3, 31, v99
	s_lshr_b32 s0, s0, 24
	v_add_u16_e32 v2, -16, v3
	v_cmp_gt_u32_e32 vcc, 16, v3
	s_add_i32 s0, s9, s0
	v_cndmask_b32_e32 v2, v2, v3, vcc
	s_ashr_i32 s20, s0, 8
	s_ashr_i32 s0, s12, 31
	v_cmp_lt_u16_e32 vcc, 7, v2
	s_lshr_b32 s0, s0, 27
	v_cndmask_b32_e64 v2, 0, 1, vcc
	v_cmp_lt_u32_e32 vcc, 15, v3
	s_add_i32 s0, s12, s0
	v_lshlrev_b32_e32 v101, 1, v2
	v_cndmask_b32_e64 v2, 0, 1, vcc
	s_ashr_i32 s12, s0, 5
	s_not_b32 s0, s15
	v_lshlrev_b32_e32 v9, 5, v2
	s_mul_i32 s8, s2, s8
	s_add_i32 s2, s0, s10
	v_and_or_b32 v2, v99, 15, v9
	v_min_i32_e32 v6, s2, v1
	v_lshlrev_b32_e32 v2, 2, v2
	s_movk_i32 s3, 0x104
	v_mul_lo_u32 v7, v6, s20
	v_mad_u64_u32 v[22:23], s[0:1], v6, s3, v[2:3]
	v_add_u32_e32 v6, 8, v1
	v_min_i32_e32 v6, s2, v6
	v_mul_lo_u32 v10, v6, s20
	v_mad_u64_u32 v[24:25], s[0:1], v6, s3, v[2:3]
	v_add_u32_e32 v6, 16, v1
	v_min_i32_e32 v6, s2, v6
	;; [unrolled: 4-line block ×15, first 2 shown]
	v_mad_u64_u32 v[52:53], s[0:1], v6, s3, v[2:3]
	v_lshlrev_b32_e32 v2, 5, v1
	v_mul_lo_u32 v43, v6, s20
	v_add_u32_e32 v6, v2, v99
	v_and_b32_e32 v23, 0x7f, v6
	v_min_i32_e32 v23, s2, v23
	v_ashrrev_i32_e32 v25, 31, v23
	v_lshrrev_b32_e32 v25, 27, v25
	v_add_u32_e32 v25, v23, v25
	v_ashrrev_i32_e32 v25, 5, v25
	v_mul_lo_u32 v37, v23, s20
	v_lshlrev_b32_e32 v25, 2, v25
	v_lshlrev_b32_e32 v23, 2, v23
	s_mov_b32 s3, 0x8e40
	v_add3_u32 v103, v25, v23, s3
	v_lshrrev_b32_e32 v23, 2, v99
	v_lshl_add_u32 v23, v1, 3, v23
	v_and_b32_e32 v25, 3, v99
	v_and_b32_e32 v23, 0x7f, v23
	v_lshlrev_b32_e32 v31, 2, v25
	v_min_i32_e32 v25, s2, v23
	v_ashrrev_i32_e32 v27, 31, v25
	v_lshrrev_b32_e32 v27, 29, v27
	v_add_u32_e32 v27, v25, v27
	s_load_dwordx4 s[4:7], s[4:5], 0x0
	v_ashrrev_i32_e32 v27, 3, v27
	v_xor_b32_e32 v23, 64, v23
	v_lshlrev_b32_e32 v27, 2, v27
	s_mov_b32 s10, 0x8200
	v_min_i32_e32 v23, s2, v23
	v_add3_u32 v71, v27, v31, s10
	v_ashrrev_i32_e32 v27, 31, v23
	v_lshlrev_b32_e32 v4, 2, v3
	v_lshrrev_b32_e32 v27, 29, v27
	v_or_b32_e32 v2, v2, v3
	v_lshlrev_b32_e32 v3, 2, v99
	v_mul_lo_u32 v33, v25, s20
	v_lshlrev_b32_e32 v128, 4, v25
	v_mul_lo_u32 v25, v23, s20
	v_add_u32_e32 v27, v23, v27
	v_lshlrev_b32_e32 v130, 4, v23
	v_and_b32_e32 v23, 28, v3
	s_waitcnt lgkmcnt(0)
	v_add_co_u32_e32 v54, vcc, s6, v23
	v_mov_b32_e32 v23, 0x8a40
	s_movk_i32 s2, 0xffe4
	v_lshl_add_u32 v105, v2, 2, v23
	v_mad_i32_i24 v2, v1, s2, v6
	v_mov_b32_e32 v6, 0x9050
	v_lshrrev_b32_e32 v109, 3, v99
	v_lshrrev_b32_e32 v5, 5, v99
	v_lshl_add_u32 v107, v2, 2, v6
	v_lshl_add_u32 v111, v1, 7, v23
	v_lshlrev_b32_e32 v113, 4, v1
	v_lshlrev_b32_e32 v1, 2, v109
	;; [unrolled: 1-line block ×3, first 2 shown]
	v_add3_u32 v115, v2, v1, s10
	v_lshlrev_b32_e32 v1, 2, v5
	v_add3_u32 v119, v1, v3, s3
	v_add_u32_e32 v1, 32, v99
	v_lshrrev_b32_e32 v121, 3, v1
	v_lshlrev_b32_e32 v2, 2, v121
	v_lshlrev_b32_e32 v1, 4, v1
	v_add3_u32 v123, v2, v1, s10
	v_and_b32_e32 v1, 60, v121
	v_add3_u32 v125, v3, v1, s3
	v_add_u32_e32 v1, 64, v99
	v_lshrrev_b32_e32 v2, 3, v1
	v_lshlrev_b32_e32 v6, 2, v2
	v_lshlrev_b32_e32 v1, 4, v1
	s_abs_i32 s2, s14
	v_add3_u32 v127, v6, v1, s10
	v_and_b32_e32 v1, 60, v2
	v_cvt_f32_u32_e32 v23, s2
	v_add3_u32 v136, v3, v1, s3
	v_add_u32_e32 v1, 0x60, v99
	v_lshrrev_b32_e32 v2, 3, v1
	v_lshlrev_b32_e32 v6, 2, v2
	v_lshlrev_b32_e32 v1, 4, v1
	v_add3_u32 v137, v6, v1, s10
	v_and_b32_e32 v1, 60, v2
	v_rcp_iflag_f32_e32 v2, v23
	v_add3_u32 v138, v3, v1, s3
	s_sub_i32 s3, 0, s2
	s_waitcnt vmcnt(0)
	v_sub_u32_e32 v3, 0, v97
	v_mul_f32_e32 v2, 0x4f7ffffe, v2
	v_cvt_u32_f32_e32 v2, v2
	v_ashrrev_i32_e32 v27, 3, v27
	v_max_i32_e32 v3, v97, v3
	v_lshlrev_b32_e32 v27, 2, v27
	v_mul_lo_u32 v6, s3, v2
	v_mul_hi_u32 v6, v2, v6
	v_add_u32_e32 v2, v2, v6
	v_mul_hi_u32 v2, v3, v2
	v_add3_u32 v129, v27, v31, s10
	v_mov_b32_e32 v27, s7
	v_mul_lo_u32 v6, v2, s2
	v_addc_co_u32_e32 v55, vcc, 0, v27, vcc
	v_sub_u32_e32 v3, v3, v6
	v_add_u32_e32 v6, 1, v2
	v_cmp_le_u32_e32 vcc, s2, v3
	v_cndmask_b32_e32 v2, v2, v6, vcc
	v_subrev_u32_e32 v6, s2, v3
	v_cndmask_b32_e32 v3, v3, v6, vcc
	v_xor_b32_e32 v1, s14, v97
	v_add_u32_e32 v6, 1, v2
	v_cmp_le_u32_e32 vcc, s2, v3
	s_mul_i32 s23, s20, s15
	v_ashrrev_i32_e32 v1, 31, v1
	v_cndmask_b32_e32 v2, v2, v6, vcc
	v_xor_b32_e32 v2, v2, v1
	s_mul_hi_i32 s25, s23, 0xd2
	s_mul_i32 s24, s23, 0xd2
	v_sub_u32_e32 v1, v2, v1
	s_movk_i32 s22, 0xd2
	v_pk_mov_b32 v[2:3], s[24:25], s[24:25] op_sel:[0,1]
	v_and_b32_e32 v8, 7, v99
	v_mad_u64_u32 v[2:3], s[26:27], v5, s22, v[2:3]
	v_mad_i64_i32 v[6:7], s[26:27], v7, s22, v[2:3]
	v_lshl_or_b32 v5, v8, 2, v9
	v_add_co_u32_e32 v8, vcc, v6, v5
	v_addc_co_u32_e32 v9, vcc, 0, v7, vcc
	v_mov_b32_e32 v95, s5
	v_add_co_u32_e32 v8, vcc, s4, v8
	v_addc_co_u32_e32 v9, vcc, v9, v95, vcc
	s_movk_i32 s10, 0x80
	v_add_co_u32_e32 v58, vcc, s10, v8
	v_addc_co_u32_e32 v23, vcc, 0, v9, vcc
	v_mad_i64_i32 v[8:9], s[26:27], v25, s22, 0
	v_mov_b32_e32 v35, 0xd2
	v_mad_i64_i32 v[8:9], s[26:27], s23, v35, v[8:9]
	v_add_co_u32_e32 v8, vcc, v8, v31
	v_addc_co_u32_e32 v9, vcc, 0, v9, vcc
	v_add_co_u32_e32 v8, vcc, s4, v8
	v_addc_co_u32_e32 v9, vcc, v9, v95, vcc
	s_movk_i32 s28, 0xc0
	v_add_co_u32_e32 v60, vcc, s28, v8
	v_addc_co_u32_e32 v25, vcc, 0, v9, vcc
	v_add_co_u32_e32 v6, vcc, v6, v4
	v_addc_co_u32_e32 v7, vcc, 0, v7, vcc
	;; [unrolled: 2-line block ×4, first 2 shown]
	v_mad_i64_i32 v[6:7], s[26:27], v10, s22, v[2:3]
	v_add_co_u32_e32 v8, vcc, v6, v5
	v_addc_co_u32_e32 v9, vcc, 0, v7, vcc
	v_add_co_u32_e32 v8, vcc, s4, v8
	v_addc_co_u32_e32 v9, vcc, v9, v95, vcc
	;; [unrolled: 2-line block ×3, first 2 shown]
	v_mad_i64_i32 v[8:9], s[26:27], v33, s22, 0
	v_mad_i64_i32 v[8:9], s[26:27], s23, v35, v[8:9]
	v_add_co_u32_e32 v8, vcc, v8, v31
	v_addc_co_u32_e32 v9, vcc, 0, v9, vcc
	v_add_co_u32_e32 v8, vcc, s4, v8
	v_addc_co_u32_e32 v9, vcc, v9, v95, vcc
	;; [unrolled: 2-line block ×6, first 2 shown]
	v_mad_i64_i32 v[6:7], s[26:27], v11, s22, v[2:3]
	s_ashr_i32 s21, s8, 31
	v_add_co_u32_e32 v8, vcc, v6, v5
	s_add_u32 s18, s6, 0x90
	v_addc_co_u32_e32 v9, vcc, 0, v7, vcc
	s_addc_u32 s19, s7, 0
	v_add_co_u32_e32 v8, vcc, s4, v8
	v_addc_co_u32_e32 v9, vcc, v9, v95, vcc
	s_add_u32 s24, s4, s24
	v_add_co_u32_e32 v70, vcc, s10, v8
	s_addc_u32 s25, s5, s25
	v_addc_co_u32_e32 v35, vcc, 0, v9, vcc
	v_pk_mov_b32 v[8:9], s[24:25], s[24:25] op_sel:[0,1]
	v_mad_i64_i32 v[8:9], s[24:25], v37, s22, v[8:9]
	s_movk_i32 s23, 0xd0
	v_add_co_u32_e32 v72, vcc, s23, v8
	v_addc_co_u32_e32 v37, vcc, 0, v9, vcc
	v_add_co_u32_e32 v6, vcc, v6, v4
	v_addc_co_u32_e32 v7, vcc, 0, v7, vcc
	;; [unrolled: 2-line block ×4, first 2 shown]
	v_mad_i64_i32 v[6:7], s[24:25], v12, s22, v[2:3]
	v_add_co_u32_e32 v8, vcc, v6, v5
	v_addc_co_u32_e32 v9, vcc, 0, v7, vcc
	v_add_co_u32_e32 v8, vcc, s4, v8
	v_addc_co_u32_e32 v9, vcc, v9, v95, vcc
	;; [unrolled: 2-line block ×3, first 2 shown]
	v_mad_i64_i32 v[8:9], s[24:25], v43, s22, v[2:3]
	v_add_co_u32_e32 v10, vcc, v8, v4
	v_addc_co_u32_e32 v11, vcc, 0, v9, vcc
	v_mov_b32_e32 v12, s5
	v_add_co_u32_e32 v78, vcc, s4, v10
	v_addc_co_u32_e32 v43, vcc, v12, v11, vcc
	v_add_co_u32_e32 v6, vcc, v6, v4
	v_addc_co_u32_e32 v7, vcc, 0, v7, vcc
	v_add_co_u32_e32 v6, vcc, s4, v6
	v_addc_co_u32_e32 v7, vcc, v7, v95, vcc
	v_add_co_u32_e32 v80, vcc, 2, v6
	v_addc_co_u32_e32 v45, vcc, 0, v7, vcc
	v_mad_i64_i32 v[6:7], s[24:25], v13, s22, v[2:3]
	v_add_co_u32_e32 v10, vcc, v6, v5
	v_addc_co_u32_e32 v11, vcc, 0, v7, vcc
	v_add_co_u32_e32 v10, vcc, s4, v10
	v_addc_co_u32_e32 v11, vcc, v11, v95, vcc
	v_add_co_u32_e32 v82, vcc, s10, v10
	v_addc_co_u32_e32 v47, vcc, 0, v11, vcc
	v_add_co_u32_e32 v8, vcc, v8, v5
	v_addc_co_u32_e32 v9, vcc, 0, v9, vcc
	v_add_co_u32_e32 v8, vcc, s4, v8
	v_addc_co_u32_e32 v9, vcc, v9, v95, vcc
	v_add_co_u32_e32 v84, vcc, s10, v8
	v_addc_co_u32_e32 v49, vcc, 0, v9, vcc
	v_add_co_u32_e32 v6, vcc, v6, v4
	v_addc_co_u32_e32 v7, vcc, 0, v7, vcc
	v_add_co_u32_e32 v6, vcc, s4, v6
	v_addc_co_u32_e32 v7, vcc, v7, v95, vcc
	v_add_co_u32_e32 v86, vcc, 2, v6
	v_addc_co_u32_e32 v51, vcc, 0, v7, vcc
	v_mad_i64_i32 v[6:7], s[24:25], v14, s22, v[2:3]
	v_add_co_u32_e32 v8, vcc, v6, v5
	v_addc_co_u32_e32 v9, vcc, 0, v7, vcc
	v_add_co_u32_e32 v8, vcc, s4, v8
	v_addc_co_u32_e32 v9, vcc, v9, v95, vcc
	v_add_co_u32_e32 v88, vcc, s10, v8
	v_addc_co_u32_e32 v53, vcc, 0, v9, vcc
	v_mad_i64_i32 v[8:9], s[24:25], v57, s22, v[2:3]
	v_add_co_u32_e32 v10, vcc, v8, v4
	v_addc_co_u32_e32 v11, vcc, 0, v9, vcc
	v_add_co_u32_e32 v90, vcc, s4, v10
	v_addc_co_u32_e32 v57, vcc, v12, v11, vcc
	v_add_co_u32_e32 v6, vcc, v6, v4
	v_addc_co_u32_e32 v7, vcc, 0, v7, vcc
	v_add_co_u32_e32 v6, vcc, s4, v6
	v_addc_co_u32_e32 v7, vcc, v7, v95, vcc
	v_add_co_u32_e32 v92, vcc, 2, v6
	v_addc_co_u32_e32 v59, vcc, 0, v7, vcc
	v_mad_i64_i32 v[6:7], s[24:25], v15, s22, v[2:3]
	v_add_co_u32_e32 v10, vcc, v6, v5
	v_addc_co_u32_e32 v11, vcc, 0, v7, vcc
	v_add_co_u32_e32 v10, vcc, s4, v10
	v_addc_co_u32_e32 v11, vcc, v11, v95, vcc
	v_add_co_u32_e32 v94, vcc, s10, v10
	v_addc_co_u32_e32 v61, vcc, 0, v11, vcc
	v_add_co_u32_e32 v8, vcc, v8, v5
	v_addc_co_u32_e32 v9, vcc, 0, v9, vcc
	v_add_co_u32_e32 v8, vcc, s4, v8
	v_addc_co_u32_e32 v9, vcc, v9, v95, vcc
	v_add_co_u32_e32 v96, vcc, s10, v8
	v_addc_co_u32_e32 v63, vcc, 0, v9, vcc
	v_add_co_u32_e32 v6, vcc, v6, v4
	v_addc_co_u32_e32 v7, vcc, 0, v7, vcc
	v_add_co_u32_e32 v6, vcc, s4, v6
	v_addc_co_u32_e32 v7, vcc, v7, v95, vcc
	v_add_co_u32_e32 v98, vcc, 2, v6
	v_addc_co_u32_e32 v65, vcc, 0, v7, vcc
	v_mad_i64_i32 v[6:7], s[24:25], v16, s22, v[2:3]
	v_add_co_u32_e32 v8, vcc, v6, v5
	v_addc_co_u32_e32 v9, vcc, 0, v7, vcc
	v_add_co_u32_e32 v8, vcc, s4, v8
	v_addc_co_u32_e32 v9, vcc, v9, v95, vcc
	v_add_co_u32_e32 v100, vcc, s10, v8
	v_addc_co_u32_e32 v67, vcc, 0, v9, vcc
	v_mad_i64_i32 v[8:9], s[24:25], v69, s22, v[2:3]
	v_add_co_u32_e32 v10, vcc, v8, v4
	v_addc_co_u32_e32 v11, vcc, 0, v9, vcc
	;; [unrolled: 37-line block ×3, first 2 shown]
	v_add_co_u32_e32 v114, vcc, s4, v10
	v_addc_co_u32_e32 v83, vcc, v12, v11, vcc
	v_add_co_u32_e32 v6, vcc, v6, v4
	v_addc_co_u32_e32 v7, vcc, 0, v7, vcc
	v_add_co_u32_e32 v6, vcc, s4, v6
	v_addc_co_u32_e32 v7, vcc, v7, v95, vcc
	v_add_co_u32_e32 v116, vcc, 2, v6
	v_addc_co_u32_e32 v85, vcc, 0, v7, vcc
	v_mad_i64_i32 v[6:7], s[24:25], v19, s22, v[2:3]
	v_add_co_u32_e32 v10, vcc, v6, v5
	v_addc_co_u32_e32 v11, vcc, 0, v7, vcc
	v_add_co_u32_e32 v10, vcc, s4, v10
	v_addc_co_u32_e32 v11, vcc, v11, v95, vcc
	;; [unrolled: 2-line block ×9, first 2 shown]
	v_mad_i64_i32 v[2:3], s[22:23], v20, s22, v[2:3]
	v_add_co_u32_e32 v5, vcc, v2, v5
	v_addc_co_u32_e32 v6, vcc, 0, v3, vcc
	v_add_co_u32_e32 v5, vcc, s4, v5
	v_addc_co_u32_e32 v6, vcc, v6, v95, vcc
	;; [unrolled: 2-line block ×5, first 2 shown]
	v_mul_lo_u32 v56, v1, s12
	v_add_co_u32_e32 v126, vcc, 2, v2
	v_cmp_gt_u32_e64 s[0:1], 4, v99
	v_mul_u32_u24_e32 v117, 0x104, v99
	v_cmp_gt_i32_e64 s[2:3], s11, v1
	v_ashrrev_i32_e32 v1, 31, v56
	v_addc_co_u32_e32 v95, vcc, 0, v3, vcc
	v_mov_b32_e32 v140, 0
	s_mov_b32 s22, 0xf0f0f0f
	s_mov_b32 s23, 0x30303030
	s_movk_i32 s24, 0x3f00
	s_movk_i32 s25, 0xe000
	v_add_u32_e32 v142, v71, v128
	v_add_u32_e32 v143, v129, v130
	v_mov_b32_e32 v144, 8
	v_mov_b32_e32 v141, 0
	;; [unrolled: 1-line block ×4, first 2 shown]
	s_branch .LBB236_6
.LBB236_4:                              ;   in Loop: Header=BB236_6 Depth=1
	s_or_b64 exec, exec, s[4:5]
	s_waitcnt lgkmcnt(0)
	s_barrier
	ds_read_b128 v[6:9], v111
	ds_read_b128 v[10:13], v111 offset:16
	ds_read_b128 v[14:17], v111 offset:32
	;; [unrolled: 1-line block ×3, first 2 shown]
	ds_read_b32 v145, v119
	ds_read2_b32 v[128:129], v117 offset0:38 offset1:39
	ds_read2_b32 v[132:133], v117 offset0:36 offset1:37
	;; [unrolled: 1-line block ×6, first 2 shown]
	ds_read_b128 v[2:5], v113 offset:36944
	ds_read2_b32 v[130:131], v115 offset0:2 offset1:3
	v_mov_b32_e32 v156, 0
	ds_read2_b32 v[152:153], v117 offset0:42 offset1:43
	ds_read2_b32 v[154:155], v117 offset0:40 offset1:41
	s_waitcnt lgkmcnt(4)
	v_dot4c_i32_i8_e32 v156, v150, v18
	v_dot4c_i32_i8_e32 v156, v151, v19
	v_dot4c_i32_i8_e32 v156, v148, v20
	v_dot4c_i32_i8_e32 v156, v149, v21
	v_mov_b32_e32 v149, 0
	v_dot4c_i32_i8_e32 v149, v132, v10
	v_dot4c_i32_i8_e32 v149, v133, v11
	;; [unrolled: 1-line block ×4, first 2 shown]
	v_mov_b32_e32 v129, 0
	v_dot4c_i32_i8_e32 v129, v146, v6
	v_dot4c_i32_i8_e32 v129, v147, v7
	s_waitcnt lgkmcnt(2)
	v_bfe_i32 v128, v130, 8, 8
	v_dot4c_i32_i8_e32 v129, v134, v8
	v_mul_lo_u32 v128, v149, v128
	v_dot4c_i32_i8_e32 v129, v135, v9
	v_bfe_i32 v132, v130, 0, 8
	v_mov_b32_e32 v148, 0
	s_waitcnt lgkmcnt(0)
	v_dot4c_i32_i8_e32 v148, v154, v14
	v_mad_u64_u32 v[128:129], s[4:5], v129, v132, v[128:129]
	v_cvt_f32_i32_e32 v128, v128
	v_dot4c_i32_i8_e32 v148, v155, v15
	v_dot4c_i32_i8_e32 v148, v152, v16
	;; [unrolled: 1-line block ×3, first 2 shown]
	v_fma_f32 v160, v2, v128, 0
	v_ashrrev_i32_e32 v128, 24, v130
	v_bfe_i32 v129, v130, 16, 8
	v_mul_lo_u32 v128, v156, v128
	v_mad_u64_u32 v[128:129], s[4:5], v148, v129, v[128:129]
	v_add_u32_e32 v132, 0x2110, v117
	v_add_u32_e32 v146, 0x2108, v117
	;; [unrolled: 1-line block ×5, first 2 shown]
	v_cvt_f32_i32_e32 v161, v128
	ds_read2_b32 v[128:129], v127 offset0:2 offset1:3
	ds_read_b32 v164, v125 offset:128
	ds_read2_b32 v[134:135], v123 offset0:2 offset1:3
	ds_read2_b32 v[132:133], v132 offset1:1
	ds_read2_b32 v[146:147], v146 offset1:1
	;; [unrolled: 1-line block ×5, first 2 shown]
	v_mov_b32_e32 v162, 0
	v_add_u32_e32 v130, 0x2118, v117
	v_add_u32_e32 v154, 0x2128, v117
	;; [unrolled: 1-line block ×3, first 2 shown]
	s_waitcnt lgkmcnt(0)
	v_dot4c_i32_i8_e32 v162, v152, v18
	v_dot4c_i32_i8_e32 v162, v153, v19
	v_add_u32_e32 v158, 0x4198, v117
	v_dot4c_i32_i8_e32 v162, v150, v20
	ds_read2_b32 v[154:155], v154 offset1:1
	ds_read2_b32 v[156:157], v156 offset1:1
	;; [unrolled: 1-line block ×3, first 2 shown]
	v_dot4c_i32_i8_e32 v162, v151, v21
	ds_read2_b32 v[150:151], v130 offset1:1
	v_mov_b32_e32 v153, 0
	v_dot4c_i32_i8_e32 v153, v132, v10
	v_dot4c_i32_i8_e32 v153, v133, v11
	v_mov_b32_e32 v133, 0
	v_dot4c_i32_i8_e32 v133, v148, v6
	s_waitcnt lgkmcnt(0)
	v_dot4c_i32_i8_e32 v153, v150, v12
	v_dot4c_i32_i8_e32 v133, v149, v7
	v_mov_b32_e32 v152, 0
	v_dot4c_i32_i8_e32 v153, v151, v13
	v_bfe_i32 v132, v134, 8, 8
	v_dot4c_i32_i8_e32 v133, v146, v8
	v_dot4c_i32_i8_e32 v152, v156, v14
	v_mul_lo_u32 v132, v153, v132
	v_dot4c_i32_i8_e32 v133, v147, v9
	v_bfe_i32 v146, v134, 0, 8
	v_dot4c_i32_i8_e32 v152, v157, v15
	v_dot4c_i32_i8_e32 v152, v154, v16
	v_mad_u64_u32 v[132:133], s[4:5], v133, v146, v[132:133]
	v_cvt_f32_i32_e32 v146, v132
	v_ashrrev_i32_e32 v132, 24, v134
	v_dot4c_i32_i8_e32 v152, v155, v17
	v_bfe_i32 v133, v134, 16, 8
	v_mul_lo_u32 v132, v162, v132
	v_add_u32_e32 v148, 0x4180, v117
	v_mad_u64_u32 v[132:133], s[4:5], v152, v133, v[132:133]
	v_cvt_f32_i32_e32 v132, v132
	v_fma_f32 v133, v2, v146, 0
	v_add_u32_e32 v146, 0x4188, v117
	v_add_u32_e32 v150, 0x41b8, v117
	v_fmac_f32_e32 v133, v3, v132
	v_add_u32_e32 v132, 0x4190, v117
	v_add_u32_e32 v152, 0x41b0, v117
	ds_read_b32 v130, v138 offset:384
	ds_read_b32 v134, v136 offset:256
	v_fmac_f32_e32 v141, v164, v133
	ds_read2_b32 v[132:133], v132 offset1:1
	ds_read2_b32 v[146:147], v146 offset1:1
	;; [unrolled: 1-line block ×5, first 2 shown]
	v_mov_b32_e32 v162, 0
	v_fmac_f32_e32 v160, v3, v161
	v_fmac_f32_e32 v140, v145, v160
	v_add_u32_e32 v154, 0x41a8, v117
	s_waitcnt lgkmcnt(0)
	v_dot4c_i32_i8_e32 v162, v152, v18
	v_dot4c_i32_i8_e32 v162, v153, v19
	;; [unrolled: 1-line block ×4, first 2 shown]
	v_mov_b32_e32 v151, 0
	v_dot4c_i32_i8_e32 v151, v132, v10
	v_dot4c_i32_i8_e32 v151, v133, v11
	v_mov_b32_e32 v133, 0
	v_dot4c_i32_i8_e32 v133, v148, v6
	v_dot4c_i32_i8_e32 v151, v158, v12
	v_dot4c_i32_i8_e32 v133, v149, v7
	v_add_u32_e32 v156, 0x41a0, v117
	v_add_u32_e32 v160, 0x6218, v117
	v_dot4c_i32_i8_e32 v151, v159, v13
	v_bfe_i32 v132, v128, 8, 8
	v_dot4c_i32_i8_e32 v133, v146, v8
	ds_read2_b32 v[154:155], v154 offset1:1
	ds_read2_b32 v[156:157], v156 offset1:1
	;; [unrolled: 1-line block ×3, first 2 shown]
	v_mul_lo_u32 v132, v151, v132
	v_dot4c_i32_i8_e32 v133, v147, v9
	v_bfe_i32 v146, v128, 0, 8
	v_mov_b32_e32 v150, 0
	s_waitcnt lgkmcnt(1)
	v_dot4c_i32_i8_e32 v150, v156, v14
	v_mad_u64_u32 v[132:133], s[4:5], v133, v146, v[132:133]
	v_cvt_f32_i32_e32 v132, v132
	v_dot4c_i32_i8_e32 v150, v157, v15
	v_dot4c_i32_i8_e32 v150, v154, v16
	;; [unrolled: 1-line block ×3, first 2 shown]
	v_fma_f32 v165, v2, v132, 0
	v_bfe_i32 v132, v128, 16, 8
	v_ashrrev_i32_e32 v128, 24, v128
	v_mul_lo_u32 v128, v162, v128
	v_mad_u64_u32 v[132:133], s[4:5], v150, v132, v[128:129]
	v_add_u32_e32 v146, 0x6210, v117
	v_add_u32_e32 v148, 0x6208, v117
	;; [unrolled: 1-line block ×5, first 2 shown]
	v_cvt_f32_i32_e32 v128, v132
	ds_read2_b32 v[132:133], v137 offset0:2 offset1:3
	ds_read2_b32 v[146:147], v146 offset1:1
	ds_read2_b32 v[148:149], v148 offset1:1
	;; [unrolled: 1-line block ×5, first 2 shown]
	v_add_u32_e32 v156, 0x6228, v117
	v_add_u32_e32 v158, 0x6220, v117
	;; [unrolled: 1-line block ×3, first 2 shown]
	ds_read2_b32 v[156:157], v156 offset1:1
	ds_read2_b32 v[158:159], v158 offset1:1
	;; [unrolled: 1-line block ×3, first 2 shown]
	v_mov_b32_e32 v166, 0
	s_waitcnt lgkmcnt(3)
	v_dot4c_i32_i8_e32 v166, v154, v18
	v_mov_b32_e32 v18, 0
	s_waitcnt lgkmcnt(1)
	v_dot4c_i32_i8_e32 v18, v158, v14
	v_mov_b32_e32 v14, 0
	v_dot4c_i32_i8_e32 v14, v146, v10
	v_dot4c_i32_i8_e32 v14, v147, v11
	v_mov_b32_e32 v11, 0
	v_dot4c_i32_i8_e32 v11, v150, v6
	v_dot4c_i32_i8_e32 v14, v160, v12
	;; [unrolled: 1-line block ×4, first 2 shown]
	v_bfe_i32 v10, v132, 8, 8
	v_dot4c_i32_i8_e32 v11, v148, v8
	v_dot4c_i32_i8_e32 v166, v155, v19
	v_mul_lo_u32 v10, v14, v10
	v_dot4c_i32_i8_e32 v11, v149, v9
	v_bfe_i32 v6, v132, 0, 8
	v_dot4c_i32_i8_e32 v166, v152, v20
	v_dot4c_i32_i8_e32 v18, v159, v15
	v_mad_u64_u32 v[6:7], s[4:5], v11, v6, v[10:11]
	v_dot4c_i32_i8_e32 v166, v153, v21
	v_dot4c_i32_i8_e32 v18, v156, v16
	v_cvt_f32_i32_e32 v8, v6
	v_ashrrev_i32_e32 v6, 24, v132
	v_dot4c_i32_i8_e32 v18, v157, v17
	v_bfe_i32 v7, v132, 16, 8
	v_mul_lo_u32 v6, v166, v6
	v_fma_f32 v2, v2, v8, 0
	v_mad_u64_u32 v[6:7], s[4:5], v18, v7, v[6:7]
	v_cvt_f32_i32_e32 v6, v6
	v_fmac_f32_e32 v165, v3, v128
	v_mov_b32_e32 v128, 0
	v_mov_b32_e32 v132, 0
	v_fmac_f32_e32 v2, v3, v6
	v_fmac_f32_e32 v71, v130, v2
	ds_read_b128 v[10:13], v111 offset:80
	ds_read_b128 v[6:9], v111 offset:64
	;; [unrolled: 1-line block ×4, first 2 shown]
	ds_read2_b32 v[2:3], v117 offset0:62 offset1:63
	ds_read2_b32 v[146:147], v117 offset0:60 offset1:61
	;; [unrolled: 1-line block ×6, first 2 shown]
	s_waitcnt lgkmcnt(4)
	v_dot4c_i32_i8_e32 v128, v146, v18
	v_dot4c_i32_i8_e32 v128, v147, v19
	;; [unrolled: 1-line block ×3, first 2 shown]
	v_mov_b32_e32 v2, 0
	s_waitcnt lgkmcnt(2)
	v_dot4c_i32_i8_e32 v2, v150, v10
	v_dot4c_i32_i8_e32 v2, v151, v11
	;; [unrolled: 1-line block ×5, first 2 shown]
	v_bfe_i32 v3, v131, 8, 8
	ds_read2_b32 v[156:157], v117 offset0:58 offset1:59
	ds_read2_b32 v[158:159], v117 offset0:56 offset1:57
	v_mul_lo_u32 v2, v2, v3
	v_mov_b32_e32 v3, 0
	s_waitcnt lgkmcnt(2)
	v_dot4c_i32_i8_e32 v3, v154, v6
	v_dot4c_i32_i8_e32 v3, v155, v7
	;; [unrolled: 1-line block ×4, first 2 shown]
	v_bfe_i32 v146, v131, 0, 8
	s_waitcnt lgkmcnt(0)
	v_dot4c_i32_i8_e32 v132, v158, v14
	v_dot4c_i32_i8_e32 v132, v159, v15
	v_mad_u64_u32 v[2:3], s[4:5], v3, v146, v[2:3]
	v_cvt_f32_i32_e32 v2, v2
	v_dot4c_i32_i8_e32 v132, v156, v16
	v_dot4c_i32_i8_e32 v132, v157, v17
	v_bfe_i32 v3, v131, 16, 8
	v_fma_f32 v160, v4, v2, 0
	v_ashrrev_i32_e32 v2, 24, v131
	v_mul_lo_u32 v2, v128, v2
	v_mad_u64_u32 v[2:3], s[4:5], v132, v3, v[2:3]
	v_cvt_f32_i32_e32 v128, v2
	v_add_u32_e32 v2, 0x2150, v117
	v_add_u32_e32 v131, 0x2148, v117
	;; [unrolled: 1-line block ×4, first 2 shown]
	ds_read2_b32 v[2:3], v2 offset1:1
	ds_read2_b32 v[146:147], v131 offset1:1
	ds_read2_b32 v[148:149], v132 offset1:1
	ds_read2_b32 v[150:151], v150 offset1:1
	v_add_u32_e32 v131, 0x2170, v117
	ds_read2_b32 v[152:153], v131 offset1:1
	v_mov_b32_e32 v132, 0
	v_add_u32_e32 v154, 0x2168, v117
	v_add_u32_e32 v156, 0x2160, v117
	;; [unrolled: 1-line block ×3, first 2 shown]
	s_waitcnt lgkmcnt(0)
	v_dot4c_i32_i8_e32 v132, v152, v18
	v_dot4c_i32_i8_e32 v132, v153, v19
	;; [unrolled: 1-line block ×3, first 2 shown]
	v_mov_b32_e32 v150, 0
	v_dot4c_i32_i8_e32 v150, v2, v10
	ds_read2_b32 v[154:155], v154 offset1:1
	ds_read2_b32 v[156:157], v156 offset1:1
	;; [unrolled: 1-line block ×3, first 2 shown]
	v_dot4c_i32_i8_e32 v150, v3, v11
	v_mov_b32_e32 v3, 0
	v_dot4c_i32_i8_e32 v3, v148, v6
	v_dot4c_i32_i8_e32 v150, v162, v12
	;; [unrolled: 1-line block ×3, first 2 shown]
	v_mov_b32_e32 v131, 0
	v_dot4c_i32_i8_e32 v150, v163, v13
	v_bfe_i32 v2, v135, 8, 8
	v_dot4c_i32_i8_e32 v3, v146, v8
	s_waitcnt lgkmcnt(1)
	v_dot4c_i32_i8_e32 v131, v156, v14
	v_mul_lo_u32 v2, v150, v2
	v_dot4c_i32_i8_e32 v3, v147, v9
	v_bfe_i32 v146, v135, 0, 8
	v_dot4c_i32_i8_e32 v131, v157, v15
	v_dot4c_i32_i8_e32 v132, v151, v21
	v_mad_u64_u32 v[2:3], s[4:5], v3, v146, v[2:3]
	v_dot4c_i32_i8_e32 v131, v154, v16
	v_cvt_f32_i32_e32 v146, v2
	v_ashrrev_i32_e32 v2, 24, v135
	v_dot4c_i32_i8_e32 v131, v155, v17
	v_bfe_i32 v3, v135, 16, 8
	v_mul_lo_u32 v2, v132, v2
	v_fmac_f32_e32 v160, v5, v128
	v_mad_u64_u32 v[2:3], s[4:5], v131, v3, v[2:3]
	v_cvt_f32_i32_e32 v2, v2
	v_fma_f32 v3, v4, v146, 0
	v_add_u32_e32 v128, 0x41c8, v117
	v_add_u32_e32 v132, 0x41f8, v117
	v_fmac_f32_e32 v3, v5, v2
	v_add_u32_e32 v2, 0x41d0, v117
	v_fmac_f32_e32 v141, v164, v3
	v_add_u32_e32 v131, 0x41c0, v117
	ds_read2_b32 v[2:3], v2 offset1:1
	ds_read2_b32 v[146:147], v128 offset1:1
	;; [unrolled: 1-line block ×4, first 2 shown]
	v_add_u32_e32 v128, 0x41f0, v117
	v_add_u32_e32 v132, 0x41e8, v117
	v_fmac_f32_e32 v140, v145, v160
	v_add_u32_e32 v135, 0x41e0, v117
	ds_read2_b32 v[152:153], v128 offset1:1
	v_add_u32_e32 v128, 0x6258, v117
	ds_read2_b32 v[154:155], v132 offset1:1
	ds_read2_b32 v[156:157], v135 offset1:1
	;; [unrolled: 1-line block ×3, first 2 shown]
	v_mov_b32_e32 v132, 0
	s_waitcnt lgkmcnt(7)
	v_dot4c_i32_i8_e32 v132, v2, v10
	v_dot4c_i32_i8_e32 v132, v3, v11
	v_mov_b32_e32 v3, 0
	s_waitcnt lgkmcnt(5)
	v_dot4c_i32_i8_e32 v3, v148, v6
	v_dot4c_i32_i8_e32 v132, v158, v12
	;; [unrolled: 1-line block ×4, first 2 shown]
	v_bfe_i32 v2, v129, 8, 8
	v_dot4c_i32_i8_e32 v3, v146, v8
	v_dot4c_i32_i8_e32 v3, v147, v9
	v_mul_lo_u32 v2, v132, v2
	v_bfe_i32 v132, v129, 0, 8
	v_mov_b32_e32 v131, 0
	v_mad_u64_u32 v[2:3], s[4:5], v3, v132, v[2:3]
	v_cvt_f32_i32_e32 v2, v2
	s_waitcnt lgkmcnt(3)
	v_dot4c_i32_i8_e32 v131, v152, v18
	v_mov_b32_e32 v128, 0
	v_dot4c_i32_i8_e32 v131, v153, v19
	s_waitcnt lgkmcnt(1)
	v_dot4c_i32_i8_e32 v128, v156, v14
	v_dot4c_i32_i8_e32 v131, v150, v20
	v_dot4c_i32_i8_e32 v128, v157, v15
	v_dot4c_i32_i8_e32 v131, v151, v21
	v_dot4c_i32_i8_e32 v128, v154, v16
	v_fma_f32 v132, v4, v2, 0
	v_ashrrev_i32_e32 v2, 24, v129
	v_dot4c_i32_i8_e32 v128, v155, v17
	v_bfe_i32 v3, v129, 16, 8
	v_mul_lo_u32 v2, v131, v2
	v_add_u32_e32 v135, 0x6240, v117
	v_mad_u64_u32 v[2:3], s[4:5], v128, v3, v[2:3]
	v_cvt_f32_i32_e32 v131, v2
	v_add_u32_e32 v2, 0x6250, v117
	v_add_u32_e32 v128, 0x6248, v117
	;; [unrolled: 1-line block ×3, first 2 shown]
	ds_read2_b32 v[2:3], v2 offset1:1
	ds_read2_b32 v[128:129], v128 offset1:1
	ds_read2_b32 v[146:147], v135 offset1:1
	ds_read2_b32 v[148:149], v145 offset1:1
	v_add_u32_e32 v135, 0x6270, v117
	ds_read2_b32 v[150:151], v135 offset1:1
	v_add_u32_e32 v135, 0x6268, v117
	v_add_u32_e32 v154, 0x6260, v117
	ds_read2_b32 v[152:153], v135 offset1:1
	ds_read2_b32 v[154:155], v154 offset1:1
	v_mov_b32_e32 v145, 0
	s_waitcnt lgkmcnt(2)
	v_dot4c_i32_i8_e32 v145, v150, v18
	v_mov_b32_e32 v18, 0
	v_dot4c_i32_i8_e32 v145, v151, v19
	s_waitcnt lgkmcnt(0)
	v_dot4c_i32_i8_e32 v18, v154, v14
	v_mov_b32_e32 v14, 0
	v_dot4c_i32_i8_e32 v14, v2, v10
	v_dot4c_i32_i8_e32 v14, v3, v11
	v_mov_b32_e32 v3, 0
	v_dot4c_i32_i8_e32 v3, v146, v6
	v_dot4c_i32_i8_e32 v14, v160, v12
	;; [unrolled: 1-line block ×4, first 2 shown]
	v_bfe_i32 v2, v133, 8, 8
	v_dot4c_i32_i8_e32 v3, v128, v8
	v_dot4c_i32_i8_e32 v3, v129, v9
	v_mul_lo_u32 v2, v14, v2
	v_bfe_i32 v6, v133, 0, 8
	v_dot4c_i32_i8_e32 v145, v148, v20
	v_dot4c_i32_i8_e32 v18, v155, v15
	v_mad_u64_u32 v[2:3], s[4:5], v3, v6, v[2:3]
	v_dot4c_i32_i8_e32 v145, v149, v21
	v_dot4c_i32_i8_e32 v18, v152, v16
	v_cvt_f32_i32_e32 v6, v2
	v_ashrrev_i32_e32 v2, 24, v133
	v_dot4c_i32_i8_e32 v18, v153, v17
	v_bfe_i32 v3, v133, 16, 8
	v_mul_lo_u32 v2, v145, v2
	v_fmac_f32_e32 v139, v134, v165
	v_mad_u64_u32 v[2:3], s[4:5], v18, v3, v[2:3]
	v_cvt_f32_i32_e32 v2, v2
	v_fma_f32 v3, v4, v6, 0
	v_fmac_f32_e32 v132, v5, v131
	v_fmac_f32_e32 v139, v134, v132
	;; [unrolled: 1-line block ×4, first 2 shown]
	s_barrier
.LBB236_5:                              ;   in Loop: Header=BB236_6 Depth=1
	v_add_co_u32_e32 v58, vcc, 0xd2, v58
	v_addc_co_u32_e32 v23, vcc, 0, v23, vcc
	v_add_co_u32_e32 v60, vcc, 0xd2, v60
	v_addc_co_u32_e32 v25, vcc, 0, v25, vcc
	;; [unrolled: 2-line block ×34, first 2 shown]
	s_add_i32 s20, s20, -1
	s_addk_i32 s10, 0x100
	v_add_co_u32_e32 v126, vcc, 0xd2, v126
	v_add_u32_e32 v99, 8, v99
	v_add_u32_e32 v121, 8, v121
	;; [unrolled: 1-line block ×3, first 2 shown]
	s_cmp_eq_u32 s20, 0
	v_addc_co_u32_e32 v95, vcc, 0, v95, vcc
	s_cbranch_scc1 .LBB236_19
.LBB236_6:                              ; =>This Inner Loop Header: Depth=1
	v_mov_b32_e32 v2, s21
	v_add_co_u32_e32 v4, vcc, s8, v62
	v_addc_co_u32_e32 v5, vcc, v27, v2, vcc
	global_load_dword v3, v[4:5], off offset:-2
	v_add_co_u32_e32 v4, vcc, s8, v58
	v_addc_co_u32_e32 v5, vcc, v23, v2, vcc
	global_load_dword v8, v[4:5], off
	v_add_co_u32_e32 v4, vcc, s8, v68
	v_addc_co_u32_e32 v5, vcc, v33, v2, vcc
	global_load_dword v9, v[4:5], off offset:-2
	v_add_co_u32_e32 v4, vcc, s8, v64
	v_addc_co_u32_e32 v5, vcc, v29, v2, vcc
	global_load_dword v10, v[4:5], off
	v_add_co_u32_e32 v4, vcc, s8, v74
	v_addc_co_u32_e32 v5, vcc, v39, v2, vcc
	v_add_co_u32_e32 v6, vcc, s8, v70
	v_addc_co_u32_e32 v7, vcc, v35, v2, vcc
	global_load_dword v11, v[4:5], off offset:-2
	global_load_dword v12, v[6:7], off
	v_add_co_u32_e32 v4, vcc, s8, v80
	v_addc_co_u32_e32 v5, vcc, v45, v2, vcc
	v_add_co_u32_e32 v6, vcc, s8, v76
	v_addc_co_u32_e32 v7, vcc, v41, v2, vcc
	global_load_dword v13, v[4:5], off offset:-2
	s_nop 0
	global_load_dword v6, v[6:7], off
	s_add_i32 s4, s10, 0xffffff80
	s_cmp_lt_i32 s4, s9
	s_waitcnt vmcnt(7)
	v_and_b32_e32 v4, 0xf0f0f0f, v3
	v_lshrrev_b32_e32 v3, 4, v3
	s_waitcnt vmcnt(6)
	v_ashrrev_i32_e32 v5, v101, v8
	s_waitcnt vmcnt(5)
	v_and_b32_e32 v7, 0xf0f0f0f, v9
	v_lshrrev_b32_e32 v8, 4, v9
	s_waitcnt vmcnt(4)
	v_ashrrev_i32_e32 v9, v101, v10
	v_lshlrev_b32_e32 v10, 4, v5
	v_and_b32_e32 v5, 0x30303030, v5
	v_lshlrev_b32_e32 v14, 4, v9
	v_and_b32_e32 v9, 0x30303030, v9
	v_and_or_b32 v4, v10, s23, v4
	v_and_or_b32 v3, v3, s22, v5
	;; [unrolled: 1-line block ×4, first 2 shown]
	v_and_b32_e32 v8, 0x3f00, v4
	v_lshlrev_b16_e32 v9, 8, v4
	v_and_b32_sdwa v10, v4, s24 dst_sel:DWORD dst_unused:UNUSED_PAD src0_sel:WORD_1 src1_sel:DWORD
	v_lshlrev_b16_sdwa v4, v144, v4 dst_sel:DWORD dst_unused:UNUSED_PAD src0_sel:DWORD src1_sel:WORD_1
	v_and_b32_e32 v14, 0x3f00, v3
	v_lshlrev_b16_e32 v15, 8, v3
	v_and_b32_sdwa v16, v3, s24 dst_sel:DWORD dst_unused:UNUSED_PAD src0_sel:WORD_1 src1_sel:DWORD
	v_lshlrev_b16_sdwa v3, v144, v3 dst_sel:DWORD dst_unused:UNUSED_PAD src0_sel:DWORD src1_sel:WORD_1
	v_add_u16_e32 v9, 0xe000, v9
	v_add_u16_e32 v4, 0xe000, v4
	;; [unrolled: 1-line block ×4, first 2 shown]
	v_and_b32_e32 v17, 0x3f00, v5
	v_lshlrev_b16_e32 v18, 8, v5
	v_and_b32_sdwa v19, v5, s24 dst_sel:DWORD dst_unused:UNUSED_PAD src0_sel:WORD_1 src1_sel:DWORD
	v_lshlrev_b16_sdwa v5, v144, v5 dst_sel:DWORD dst_unused:UNUSED_PAD src0_sel:DWORD src1_sel:WORD_1
	v_or_b32_sdwa v8, v8, v9 dst_sel:DWORD dst_unused:UNUSED_PAD src0_sel:DWORD src1_sel:BYTE_1
	v_or_b32_sdwa v4, v10, v4 dst_sel:DWORD dst_unused:UNUSED_PAD src0_sel:DWORD src1_sel:BYTE_1
	;; [unrolled: 1-line block ×4, first 2 shown]
	v_add_u16_e32 v18, 0xe000, v18
	v_add_u16_e32 v5, 0xe000, v5
	;; [unrolled: 1-line block ×3, first 2 shown]
	v_add_u16_sdwa v4, v4, s25 dst_sel:WORD_1 dst_unused:UNUSED_PAD src0_sel:DWORD src1_sel:DWORD
	v_add_u16_e32 v9, 0xe000, v9
	v_add_u16_sdwa v3, v3, s25 dst_sel:WORD_1 dst_unused:UNUSED_PAD src0_sel:DWORD src1_sel:DWORD
	v_or_b32_sdwa v10, v17, v18 dst_sel:DWORD dst_unused:UNUSED_PAD src0_sel:DWORD src1_sel:BYTE_1
	v_or_b32_sdwa v5, v19, v5 dst_sel:DWORD dst_unused:UNUSED_PAD src0_sel:DWORD src1_sel:BYTE_1
	v_or_b32_e32 v4, v8, v4
	v_or_b32_e32 v3, v9, v3
	v_add_u16_e32 v10, 0xe000, v10
	v_add_u16_sdwa v5, v5, s25 dst_sel:WORD_1 dst_unused:UNUSED_PAD src0_sel:DWORD src1_sel:DWORD
	ds_write2_b32 v22, v4, v3 offset1:16
	v_add_co_u32_e32 v4, vcc, s8, v86
	v_or_b32_e32 v8, v10, v5
	v_addc_co_u32_e32 v5, vcc, v51, v2, vcc
	global_load_dword v9, v[4:5], off offset:-2
	v_add_co_u32_e32 v4, vcc, s8, v82
	v_addc_co_u32_e32 v5, vcc, v47, v2, vcc
	v_lshlrev_b16_e32 v21, 8, v7
	global_load_dword v10, v[4:5], off
	v_lshlrev_b16_sdwa v5, v144, v7 dst_sel:DWORD dst_unused:UNUSED_PAD src0_sel:DWORD src1_sel:WORD_1
	v_and_b32_e32 v20, 0x3f00, v7
	v_add_u16_e32 v3, 0xe000, v21
	v_and_b32_sdwa v4, v7, s24 dst_sel:DWORD dst_unused:UNUSED_PAD src0_sel:WORD_1 src1_sel:DWORD
	v_add_u16_e32 v5, 0xe000, v5
	v_or_b32_sdwa v3, v20, v3 dst_sel:DWORD dst_unused:UNUSED_PAD src0_sel:DWORD src1_sel:BYTE_1
	v_or_b32_sdwa v4, v4, v5 dst_sel:DWORD dst_unused:UNUSED_PAD src0_sel:DWORD src1_sel:BYTE_1
	v_add_u16_e32 v3, 0xe000, v3
	v_add_u16_sdwa v4, v4, s25 dst_sel:WORD_1 dst_unused:UNUSED_PAD src0_sel:DWORD src1_sel:DWORD
	v_or_b32_e32 v3, v3, v4
	s_waitcnt vmcnt(4)
	v_ashrrev_i32_e32 v5, v101, v12
	ds_write2_b32 v24, v8, v3 offset1:16
	v_and_b32_e32 v3, 0xf0f0f0f, v11
	v_lshlrev_b32_e32 v7, 4, v5
	v_and_or_b32 v3, v7, s23, v3
	v_lshlrev_b16_e32 v8, 8, v3
	v_and_b32_e32 v7, 0x3f00, v3
	v_add_u16_e32 v8, 0xe000, v8
	v_or_b32_sdwa v7, v7, v8 dst_sel:DWORD dst_unused:UNUSED_PAD src0_sel:DWORD src1_sel:BYTE_1
	v_and_b32_sdwa v8, v3, s24 dst_sel:DWORD dst_unused:UNUSED_PAD src0_sel:WORD_1 src1_sel:DWORD
	v_lshlrev_b16_sdwa v3, v144, v3 dst_sel:DWORD dst_unused:UNUSED_PAD src0_sel:DWORD src1_sel:WORD_1
	v_add_u16_e32 v3, 0xe000, v3
	v_lshrrev_b32_e32 v4, 4, v11
	v_and_b32_e32 v5, 0x30303030, v5
	v_or_b32_sdwa v3, v8, v3 dst_sel:DWORD dst_unused:UNUSED_PAD src0_sel:DWORD src1_sel:BYTE_1
	v_add_u16_e32 v7, 0xe000, v7
	v_add_u16_sdwa v3, v3, s25 dst_sel:WORD_1 dst_unused:UNUSED_PAD src0_sel:DWORD src1_sel:DWORD
	v_and_or_b32 v4, v4, s22, v5
	v_or_b32_e32 v3, v7, v3
	v_lshlrev_b16_e32 v7, 8, v4
	v_and_b32_e32 v5, 0x3f00, v4
	v_add_u16_e32 v7, 0xe000, v7
	v_or_b32_sdwa v5, v5, v7 dst_sel:DWORD dst_unused:UNUSED_PAD src0_sel:DWORD src1_sel:BYTE_1
	v_and_b32_sdwa v7, v4, s24 dst_sel:DWORD dst_unused:UNUSED_PAD src0_sel:WORD_1 src1_sel:DWORD
	v_lshlrev_b16_sdwa v4, v144, v4 dst_sel:DWORD dst_unused:UNUSED_PAD src0_sel:DWORD src1_sel:WORD_1
	v_add_u16_e32 v4, 0xe000, v4
	v_or_b32_sdwa v4, v7, v4 dst_sel:DWORD dst_unused:UNUSED_PAD src0_sel:DWORD src1_sel:BYTE_1
	v_add_u16_e32 v5, 0xe000, v5
	v_add_u16_sdwa v4, v4, s25 dst_sel:WORD_1 dst_unused:UNUSED_PAD src0_sel:DWORD src1_sel:DWORD
	v_or_b32_e32 v4, v5, v4
	ds_write2_b32 v26, v3, v4 offset1:16
	v_add_co_u32_e32 v4, vcc, s8, v92
	v_addc_co_u32_e32 v5, vcc, v59, v2, vcc
	global_load_dword v8, v[4:5], off offset:-2
	v_add_co_u32_e32 v4, vcc, s8, v88
	v_addc_co_u32_e32 v5, vcc, v53, v2, vcc
	global_load_dword v11, v[4:5], off
	s_waitcnt vmcnt(4)
	v_ashrrev_i32_e32 v6, v101, v6
	v_and_b32_e32 v3, 0xf0f0f0f, v13
	v_lshlrev_b32_e32 v4, 4, v6
	v_and_or_b32 v3, v4, s23, v3
	v_and_b32_e32 v5, 0x30303030, v6
	v_lshlrev_b16_e32 v6, 8, v3
	v_and_b32_e32 v4, 0x3f00, v3
	v_add_u16_e32 v6, 0xe000, v6
	v_or_b32_sdwa v4, v4, v6 dst_sel:DWORD dst_unused:UNUSED_PAD src0_sel:DWORD src1_sel:BYTE_1
	v_and_b32_sdwa v6, v3, s24 dst_sel:DWORD dst_unused:UNUSED_PAD src0_sel:WORD_1 src1_sel:DWORD
	v_lshlrev_b16_sdwa v3, v144, v3 dst_sel:DWORD dst_unused:UNUSED_PAD src0_sel:DWORD src1_sel:WORD_1
	v_add_u16_e32 v3, 0xe000, v3
	v_or_b32_sdwa v3, v6, v3 dst_sel:DWORD dst_unused:UNUSED_PAD src0_sel:DWORD src1_sel:BYTE_1
	v_lshrrev_b32_e32 v7, 4, v13
	v_add_u16_e32 v4, 0xe000, v4
	v_add_u16_sdwa v3, v3, s25 dst_sel:WORD_1 dst_unused:UNUSED_PAD src0_sel:DWORD src1_sel:DWORD
	v_or_b32_e32 v3, v4, v3
	v_and_or_b32 v4, v7, s22, v5
	v_lshlrev_b16_e32 v6, 8, v4
	v_and_b32_e32 v5, 0x3f00, v4
	v_add_u16_e32 v6, 0xe000, v6
	v_or_b32_sdwa v5, v5, v6 dst_sel:DWORD dst_unused:UNUSED_PAD src0_sel:DWORD src1_sel:BYTE_1
	v_and_b32_sdwa v6, v4, s24 dst_sel:DWORD dst_unused:UNUSED_PAD src0_sel:WORD_1 src1_sel:DWORD
	v_lshlrev_b16_sdwa v4, v144, v4 dst_sel:DWORD dst_unused:UNUSED_PAD src0_sel:DWORD src1_sel:WORD_1
	v_add_u16_e32 v4, 0xe000, v4
	v_or_b32_sdwa v4, v6, v4 dst_sel:DWORD dst_unused:UNUSED_PAD src0_sel:DWORD src1_sel:BYTE_1
	v_add_u16_e32 v5, 0xe000, v5
	v_add_u16_sdwa v4, v4, s25 dst_sel:WORD_1 dst_unused:UNUSED_PAD src0_sel:DWORD src1_sel:DWORD
	v_or_b32_e32 v4, v5, v4
	ds_write2_b32 v28, v3, v4 offset1:16
	v_add_co_u32_e32 v4, vcc, s8, v98
	v_addc_co_u32_e32 v5, vcc, v65, v2, vcc
	s_waitcnt vmcnt(3)
	v_and_b32_e32 v3, 0xf0f0f0f, v9
	v_lshrrev_b32_e32 v6, 4, v9
	global_load_dword v9, v[4:5], off offset:-2
	v_add_co_u32_e32 v4, vcc, s8, v94
	v_addc_co_u32_e32 v5, vcc, v61, v2, vcc
	s_waitcnt vmcnt(3)
	v_ashrrev_i32_e32 v7, v101, v10
	global_load_dword v10, v[4:5], off
	v_lshlrev_b32_e32 v4, 4, v7
	v_and_or_b32 v3, v4, s23, v3
	v_and_b32_e32 v5, 0x30303030, v7
	v_lshlrev_b16_e32 v7, 8, v3
	v_and_b32_e32 v4, 0x3f00, v3
	v_add_u16_e32 v7, 0xe000, v7
	v_or_b32_sdwa v4, v4, v7 dst_sel:DWORD dst_unused:UNUSED_PAD src0_sel:DWORD src1_sel:BYTE_1
	v_and_b32_sdwa v7, v3, s24 dst_sel:DWORD dst_unused:UNUSED_PAD src0_sel:WORD_1 src1_sel:DWORD
	v_lshlrev_b16_sdwa v3, v144, v3 dst_sel:DWORD dst_unused:UNUSED_PAD src0_sel:DWORD src1_sel:WORD_1
	v_add_u16_e32 v3, 0xe000, v3
	v_or_b32_sdwa v3, v7, v3 dst_sel:DWORD dst_unused:UNUSED_PAD src0_sel:DWORD src1_sel:BYTE_1
	v_and_or_b32 v6, v6, s22, v5
	v_add_u16_e32 v4, 0xe000, v4
	v_add_u16_sdwa v3, v3, s25 dst_sel:WORD_1 dst_unused:UNUSED_PAD src0_sel:DWORD src1_sel:DWORD
	v_lshlrev_b16_e32 v5, 8, v6
	v_or_b32_e32 v3, v4, v3
	v_and_b32_e32 v4, 0x3f00, v6
	v_add_u16_e32 v5, 0xe000, v5
	v_or_b32_sdwa v4, v4, v5 dst_sel:DWORD dst_unused:UNUSED_PAD src0_sel:DWORD src1_sel:BYTE_1
	v_add_u16_e32 v7, 0xe000, v4
	v_add_co_u32_e32 v4, vcc, s8, v104
	v_addc_co_u32_e32 v5, vcc, v73, v2, vcc
	global_load_dword v12, v[4:5], off offset:-2
	v_add_co_u32_e32 v4, vcc, s8, v100
	v_addc_co_u32_e32 v5, vcc, v67, v2, vcc
	global_load_dword v13, v[4:5], off
	v_lshlrev_b16_sdwa v5, v144, v6 dst_sel:DWORD dst_unused:UNUSED_PAD src0_sel:DWORD src1_sel:WORD_1
	v_and_b32_sdwa v4, v6, s24 dst_sel:DWORD dst_unused:UNUSED_PAD src0_sel:WORD_1 src1_sel:DWORD
	v_add_u16_e32 v5, 0xe000, v5
	v_or_b32_sdwa v4, v4, v5 dst_sel:DWORD dst_unused:UNUSED_PAD src0_sel:DWORD src1_sel:BYTE_1
	v_add_u16_sdwa v4, v4, s25 dst_sel:WORD_1 dst_unused:UNUSED_PAD src0_sel:DWORD src1_sel:DWORD
	v_or_b32_e32 v4, v7, v4
	s_waitcnt vmcnt(4)
	v_ashrrev_i32_e32 v5, v101, v11
	ds_write2_b32 v30, v3, v4 offset1:16
	v_and_b32_e32 v3, 0xf0f0f0f, v8
	v_lshlrev_b32_e32 v6, 4, v5
	v_and_or_b32 v3, v6, s23, v3
	v_lshlrev_b16_e32 v7, 8, v3
	v_and_b32_e32 v6, 0x3f00, v3
	v_add_u16_e32 v7, 0xe000, v7
	v_or_b32_sdwa v6, v6, v7 dst_sel:DWORD dst_unused:UNUSED_PAD src0_sel:DWORD src1_sel:BYTE_1
	v_and_b32_sdwa v7, v3, s24 dst_sel:DWORD dst_unused:UNUSED_PAD src0_sel:WORD_1 src1_sel:DWORD
	v_lshlrev_b16_sdwa v3, v144, v3 dst_sel:DWORD dst_unused:UNUSED_PAD src0_sel:DWORD src1_sel:WORD_1
	v_add_u16_e32 v3, 0xe000, v3
	v_or_b32_sdwa v3, v7, v3 dst_sel:DWORD dst_unused:UNUSED_PAD src0_sel:DWORD src1_sel:BYTE_1
	v_lshrrev_b32_e32 v4, 4, v8
	v_and_b32_e32 v5, 0x30303030, v5
	v_add_u16_e32 v6, 0xe000, v6
	v_add_u16_sdwa v3, v3, s25 dst_sel:WORD_1 dst_unused:UNUSED_PAD src0_sel:DWORD src1_sel:DWORD
	v_or_b32_e32 v3, v6, v3
	v_and_or_b32 v6, v4, s22, v5
	v_lshlrev_b16_e32 v5, 8, v6
	v_and_b32_e32 v4, 0x3f00, v6
	v_add_u16_e32 v5, 0xe000, v5
	v_or_b32_sdwa v4, v4, v5 dst_sel:DWORD dst_unused:UNUSED_PAD src0_sel:DWORD src1_sel:BYTE_1
	v_add_u16_e32 v7, 0xe000, v4
	v_add_co_u32_e32 v4, vcc, s8, v110
	v_addc_co_u32_e32 v5, vcc, v79, v2, vcc
	global_load_dword v8, v[4:5], off offset:-2
	v_add_co_u32_e32 v4, vcc, s8, v106
	v_addc_co_u32_e32 v5, vcc, v75, v2, vcc
	global_load_dword v11, v[4:5], off
	v_lshlrev_b16_sdwa v5, v144, v6 dst_sel:DWORD dst_unused:UNUSED_PAD src0_sel:DWORD src1_sel:WORD_1
	v_and_b32_sdwa v4, v6, s24 dst_sel:DWORD dst_unused:UNUSED_PAD src0_sel:WORD_1 src1_sel:DWORD
	v_add_u16_e32 v5, 0xe000, v5
	v_or_b32_sdwa v4, v4, v5 dst_sel:DWORD dst_unused:UNUSED_PAD src0_sel:DWORD src1_sel:BYTE_1
	v_add_u16_sdwa v4, v4, s25 dst_sel:WORD_1 dst_unused:UNUSED_PAD src0_sel:DWORD src1_sel:DWORD
	v_or_b32_e32 v4, v7, v4
	ds_write2_b32 v32, v3, v4 offset1:16
	s_waitcnt vmcnt(5)
	v_and_b32_e32 v3, 0xf0f0f0f, v9
	v_lshrrev_b32_e32 v4, 4, v9
	s_waitcnt vmcnt(4)
	v_ashrrev_i32_e32 v5, v101, v10
	v_lshlrev_b32_e32 v6, 4, v5
	v_and_or_b32 v3, v6, s23, v3
	v_lshlrev_b16_e32 v7, 8, v3
	v_and_b32_e32 v6, 0x3f00, v3
	v_add_u16_e32 v7, 0xe000, v7
	v_or_b32_sdwa v6, v6, v7 dst_sel:DWORD dst_unused:UNUSED_PAD src0_sel:DWORD src1_sel:BYTE_1
	v_and_b32_sdwa v7, v3, s24 dst_sel:DWORD dst_unused:UNUSED_PAD src0_sel:WORD_1 src1_sel:DWORD
	v_lshlrev_b16_sdwa v3, v144, v3 dst_sel:DWORD dst_unused:UNUSED_PAD src0_sel:DWORD src1_sel:WORD_1
	v_add_u16_e32 v3, 0xe000, v3
	v_and_b32_e32 v5, 0x30303030, v5
	v_or_b32_sdwa v3, v7, v3 dst_sel:DWORD dst_unused:UNUSED_PAD src0_sel:DWORD src1_sel:BYTE_1
	v_add_u16_e32 v6, 0xe000, v6
	v_add_u16_sdwa v3, v3, s25 dst_sel:WORD_1 dst_unused:UNUSED_PAD src0_sel:DWORD src1_sel:DWORD
	v_and_or_b32 v4, v4, s22, v5
	v_or_b32_e32 v3, v6, v3
	v_lshlrev_b16_e32 v6, 8, v4
	v_and_b32_e32 v5, 0x3f00, v4
	v_add_u16_e32 v6, 0xe000, v6
	v_or_b32_sdwa v5, v5, v6 dst_sel:DWORD dst_unused:UNUSED_PAD src0_sel:DWORD src1_sel:BYTE_1
	v_and_b32_sdwa v6, v4, s24 dst_sel:DWORD dst_unused:UNUSED_PAD src0_sel:WORD_1 src1_sel:DWORD
	v_lshlrev_b16_sdwa v4, v144, v4 dst_sel:DWORD dst_unused:UNUSED_PAD src0_sel:DWORD src1_sel:WORD_1
	v_add_u16_e32 v4, 0xe000, v4
	v_or_b32_sdwa v4, v6, v4 dst_sel:DWORD dst_unused:UNUSED_PAD src0_sel:DWORD src1_sel:BYTE_1
	v_add_u16_e32 v5, 0xe000, v5
	v_add_u16_sdwa v4, v4, s25 dst_sel:WORD_1 dst_unused:UNUSED_PAD src0_sel:DWORD src1_sel:DWORD
	v_or_b32_e32 v4, v5, v4
	ds_write2_b32 v34, v3, v4 offset1:16
	v_add_co_u32_e32 v4, vcc, s8, v116
	v_addc_co_u32_e32 v5, vcc, v85, v2, vcc
	global_load_dword v9, v[4:5], off offset:-2
	v_add_co_u32_e32 v4, vcc, s8, v112
	v_addc_co_u32_e32 v5, vcc, v81, v2, vcc
	s_waitcnt vmcnt(3)
	v_ashrrev_i32_e32 v7, v101, v13
	global_load_dword v10, v[4:5], off
	v_and_b32_e32 v3, 0xf0f0f0f, v12
	v_lshlrev_b32_e32 v4, 4, v7
	v_and_or_b32 v3, v4, s23, v3
	v_and_b32_e32 v5, 0x30303030, v7
	v_lshlrev_b16_e32 v7, 8, v3
	v_and_b32_e32 v4, 0x3f00, v3
	v_add_u16_e32 v7, 0xe000, v7
	v_or_b32_sdwa v4, v4, v7 dst_sel:DWORD dst_unused:UNUSED_PAD src0_sel:DWORD src1_sel:BYTE_1
	v_and_b32_sdwa v7, v3, s24 dst_sel:DWORD dst_unused:UNUSED_PAD src0_sel:WORD_1 src1_sel:DWORD
	v_lshlrev_b16_sdwa v3, v144, v3 dst_sel:DWORD dst_unused:UNUSED_PAD src0_sel:DWORD src1_sel:WORD_1
	v_add_u16_e32 v3, 0xe000, v3
	v_or_b32_sdwa v3, v7, v3 dst_sel:DWORD dst_unused:UNUSED_PAD src0_sel:DWORD src1_sel:BYTE_1
	v_lshrrev_b32_e32 v6, 4, v12
	v_add_u16_e32 v4, 0xe000, v4
	v_add_u16_sdwa v3, v3, s25 dst_sel:WORD_1 dst_unused:UNUSED_PAD src0_sel:DWORD src1_sel:DWORD
	v_or_b32_e32 v3, v4, v3
	v_and_or_b32 v4, v6, s22, v5
	v_lshlrev_b16_e32 v6, 8, v4
	v_and_b32_e32 v5, 0x3f00, v4
	v_add_u16_e32 v6, 0xe000, v6
	v_or_b32_sdwa v5, v5, v6 dst_sel:DWORD dst_unused:UNUSED_PAD src0_sel:DWORD src1_sel:BYTE_1
	v_and_b32_sdwa v6, v4, s24 dst_sel:DWORD dst_unused:UNUSED_PAD src0_sel:WORD_1 src1_sel:DWORD
	v_lshlrev_b16_sdwa v4, v144, v4 dst_sel:DWORD dst_unused:UNUSED_PAD src0_sel:DWORD src1_sel:WORD_1
	v_add_u16_e32 v4, 0xe000, v4
	v_or_b32_sdwa v4, v6, v4 dst_sel:DWORD dst_unused:UNUSED_PAD src0_sel:DWORD src1_sel:BYTE_1
	v_add_u16_e32 v5, 0xe000, v5
	v_add_u16_sdwa v4, v4, s25 dst_sel:WORD_1 dst_unused:UNUSED_PAD src0_sel:DWORD src1_sel:DWORD
	v_or_b32_e32 v4, v5, v4
	ds_write2_b32 v36, v3, v4 offset1:16
	v_add_co_u32_e32 v4, vcc, s8, v122
	v_addc_co_u32_e32 v5, vcc, v91, v2, vcc
	s_waitcnt vmcnt(3)
	v_and_b32_e32 v3, 0xf0f0f0f, v8
	v_lshrrev_b32_e32 v6, 4, v8
	global_load_dword v8, v[4:5], off offset:-2
	v_add_co_u32_e32 v4, vcc, s8, v118
	v_addc_co_u32_e32 v5, vcc, v87, v2, vcc
	s_waitcnt vmcnt(3)
	v_ashrrev_i32_e32 v7, v101, v11
	global_load_dword v11, v[4:5], off
	v_lshlrev_b32_e32 v4, 4, v7
	v_and_or_b32 v3, v4, s23, v3
	v_and_b32_e32 v5, 0x30303030, v7
	v_lshlrev_b16_e32 v7, 8, v3
	v_and_b32_e32 v4, 0x3f00, v3
	v_add_u16_e32 v7, 0xe000, v7
	v_or_b32_sdwa v4, v4, v7 dst_sel:DWORD dst_unused:UNUSED_PAD src0_sel:DWORD src1_sel:BYTE_1
	v_and_b32_sdwa v7, v3, s24 dst_sel:DWORD dst_unused:UNUSED_PAD src0_sel:WORD_1 src1_sel:DWORD
	v_lshlrev_b16_sdwa v3, v144, v3 dst_sel:DWORD dst_unused:UNUSED_PAD src0_sel:DWORD src1_sel:WORD_1
	v_add_u16_e32 v3, 0xe000, v3
	v_or_b32_sdwa v3, v7, v3 dst_sel:DWORD dst_unused:UNUSED_PAD src0_sel:DWORD src1_sel:BYTE_1
	v_and_or_b32 v6, v6, s22, v5
	v_add_u16_e32 v4, 0xe000, v4
	v_add_u16_sdwa v3, v3, s25 dst_sel:WORD_1 dst_unused:UNUSED_PAD src0_sel:DWORD src1_sel:DWORD
	v_lshlrev_b16_e32 v5, 8, v6
	v_or_b32_e32 v3, v4, v3
	v_and_b32_e32 v4, 0x3f00, v6
	v_add_u16_e32 v5, 0xe000, v5
	v_or_b32_sdwa v4, v4, v5 dst_sel:DWORD dst_unused:UNUSED_PAD src0_sel:DWORD src1_sel:BYTE_1
	v_add_u16_e32 v7, 0xe000, v4
	v_add_co_u32_e32 v4, vcc, s8, v126
	v_addc_co_u32_e32 v5, vcc, v95, v2, vcc
	global_load_dword v12, v[4:5], off offset:-2
	v_add_co_u32_e32 v4, vcc, s8, v124
	v_addc_co_u32_e32 v5, vcc, v93, v2, vcc
	global_load_dword v13, v[4:5], off
	v_lshlrev_b16_sdwa v5, v144, v6 dst_sel:DWORD dst_unused:UNUSED_PAD src0_sel:DWORD src1_sel:WORD_1
	v_and_b32_sdwa v4, v6, s24 dst_sel:DWORD dst_unused:UNUSED_PAD src0_sel:WORD_1 src1_sel:DWORD
	v_add_u16_e32 v5, 0xe000, v5
	v_or_b32_sdwa v4, v4, v5 dst_sel:DWORD dst_unused:UNUSED_PAD src0_sel:DWORD src1_sel:BYTE_1
	v_add_u16_sdwa v4, v4, s25 dst_sel:WORD_1 dst_unused:UNUSED_PAD src0_sel:DWORD src1_sel:DWORD
	v_or_b32_e32 v4, v7, v4
	ds_write2_b32 v38, v3, v4 offset1:16
	s_waitcnt vmcnt(4)
	v_ashrrev_i32_e32 v5, v101, v10
	v_and_b32_e32 v3, 0xf0f0f0f, v9
	v_lshlrev_b32_e32 v6, 4, v5
	v_and_or_b32 v3, v6, s23, v3
	v_lshlrev_b16_e32 v7, 8, v3
	v_and_b32_e32 v6, 0x3f00, v3
	v_add_u16_e32 v7, 0xe000, v7
	v_or_b32_sdwa v6, v6, v7 dst_sel:DWORD dst_unused:UNUSED_PAD src0_sel:DWORD src1_sel:BYTE_1
	v_and_b32_sdwa v7, v3, s24 dst_sel:DWORD dst_unused:UNUSED_PAD src0_sel:WORD_1 src1_sel:DWORD
	v_lshlrev_b16_sdwa v3, v144, v3 dst_sel:DWORD dst_unused:UNUSED_PAD src0_sel:DWORD src1_sel:WORD_1
	v_add_u16_e32 v3, 0xe000, v3
	v_or_b32_sdwa v3, v7, v3 dst_sel:DWORD dst_unused:UNUSED_PAD src0_sel:DWORD src1_sel:BYTE_1
	v_lshrrev_b32_e32 v4, 4, v9
	v_and_b32_e32 v5, 0x30303030, v5
	v_add_u16_e32 v6, 0xe000, v6
	v_add_u16_sdwa v3, v3, s25 dst_sel:WORD_1 dst_unused:UNUSED_PAD src0_sel:DWORD src1_sel:DWORD
	v_or_b32_e32 v3, v6, v3
	v_and_or_b32 v6, v4, s22, v5
	v_lshlrev_b16_e32 v5, 8, v6
	v_and_b32_e32 v4, 0x3f00, v6
	v_add_u16_e32 v5, 0xe000, v5
	v_or_b32_sdwa v4, v4, v5 dst_sel:DWORD dst_unused:UNUSED_PAD src0_sel:DWORD src1_sel:BYTE_1
	v_add_u16_e32 v7, 0xe000, v4
	v_add_co_u32_e32 v4, vcc, s8, v114
	v_addc_co_u32_e32 v5, vcc, v83, v2, vcc
	global_load_dword v9, v[4:5], off
	v_add_co_u32_e32 v4, vcc, s8, v120
	v_addc_co_u32_e32 v5, vcc, v89, v2, vcc
	global_load_dword v10, v[4:5], off
	v_lshlrev_b16_sdwa v5, v144, v6 dst_sel:DWORD dst_unused:UNUSED_PAD src0_sel:DWORD src1_sel:WORD_1
	v_and_b32_sdwa v4, v6, s24 dst_sel:DWORD dst_unused:UNUSED_PAD src0_sel:WORD_1 src1_sel:DWORD
	v_add_u16_e32 v5, 0xe000, v5
	v_or_b32_sdwa v4, v4, v5 dst_sel:DWORD dst_unused:UNUSED_PAD src0_sel:DWORD src1_sel:BYTE_1
	v_add_u16_sdwa v4, v4, s25 dst_sel:WORD_1 dst_unused:UNUSED_PAD src0_sel:DWORD src1_sel:DWORD
	v_or_b32_e32 v4, v7, v4
	ds_write2_b32 v40, v3, v4 offset1:16
	s_waitcnt vmcnt(5)
	v_and_b32_e32 v3, 0xf0f0f0f, v8
	v_lshrrev_b32_e32 v4, 4, v8
	s_waitcnt vmcnt(4)
	v_ashrrev_i32_e32 v5, v101, v11
	v_lshlrev_b32_e32 v6, 4, v5
	v_and_or_b32 v3, v6, s23, v3
	v_lshlrev_b16_e32 v7, 8, v3
	v_and_b32_e32 v6, 0x3f00, v3
	v_add_u16_e32 v7, 0xe000, v7
	v_or_b32_sdwa v6, v6, v7 dst_sel:DWORD dst_unused:UNUSED_PAD src0_sel:DWORD src1_sel:BYTE_1
	v_and_b32_sdwa v7, v3, s24 dst_sel:DWORD dst_unused:UNUSED_PAD src0_sel:WORD_1 src1_sel:DWORD
	v_lshlrev_b16_sdwa v3, v144, v3 dst_sel:DWORD dst_unused:UNUSED_PAD src0_sel:DWORD src1_sel:WORD_1
	v_add_u16_e32 v3, 0xe000, v3
	v_and_b32_e32 v5, 0x30303030, v5
	v_or_b32_sdwa v3, v7, v3 dst_sel:DWORD dst_unused:UNUSED_PAD src0_sel:DWORD src1_sel:BYTE_1
	v_add_u16_e32 v6, 0xe000, v6
	v_add_u16_sdwa v3, v3, s25 dst_sel:WORD_1 dst_unused:UNUSED_PAD src0_sel:DWORD src1_sel:DWORD
	v_and_or_b32 v4, v4, s22, v5
	v_or_b32_e32 v3, v6, v3
	v_lshlrev_b16_e32 v6, 8, v4
	v_and_b32_e32 v5, 0x3f00, v4
	v_add_u16_e32 v6, 0xe000, v6
	v_or_b32_sdwa v5, v5, v6 dst_sel:DWORD dst_unused:UNUSED_PAD src0_sel:DWORD src1_sel:BYTE_1
	v_and_b32_sdwa v6, v4, s24 dst_sel:DWORD dst_unused:UNUSED_PAD src0_sel:WORD_1 src1_sel:DWORD
	v_lshlrev_b16_sdwa v4, v144, v4 dst_sel:DWORD dst_unused:UNUSED_PAD src0_sel:DWORD src1_sel:WORD_1
	v_add_u16_e32 v4, 0xe000, v4
	v_or_b32_sdwa v4, v6, v4 dst_sel:DWORD dst_unused:UNUSED_PAD src0_sel:DWORD src1_sel:BYTE_1
	v_add_u16_e32 v5, 0xe000, v5
	v_add_u16_sdwa v4, v4, s25 dst_sel:WORD_1 dst_unused:UNUSED_PAD src0_sel:DWORD src1_sel:DWORD
	v_or_b32_e32 v4, v5, v4
	ds_write2_b32 v42, v3, v4 offset1:16
	v_add_co_u32_e32 v4, vcc, s8, v102
	v_addc_co_u32_e32 v5, vcc, v69, v2, vcc
	global_load_dword v8, v[4:5], off
	v_add_co_u32_e32 v4, vcc, s8, v108
	v_addc_co_u32_e32 v5, vcc, v77, v2, vcc
	global_load_dword v11, v[4:5], off
	s_waitcnt vmcnt(4)
	v_ashrrev_i32_e32 v7, v101, v13
	v_and_b32_e32 v3, 0xf0f0f0f, v12
	v_lshlrev_b32_e32 v4, 4, v7
	v_and_or_b32 v3, v4, s23, v3
	v_and_b32_e32 v5, 0x30303030, v7
	v_lshlrev_b16_e32 v7, 8, v3
	v_and_b32_e32 v4, 0x3f00, v3
	v_add_u16_e32 v7, 0xe000, v7
	v_or_b32_sdwa v4, v4, v7 dst_sel:DWORD dst_unused:UNUSED_PAD src0_sel:DWORD src1_sel:BYTE_1
	v_and_b32_sdwa v7, v3, s24 dst_sel:DWORD dst_unused:UNUSED_PAD src0_sel:WORD_1 src1_sel:DWORD
	v_lshlrev_b16_sdwa v3, v144, v3 dst_sel:DWORD dst_unused:UNUSED_PAD src0_sel:DWORD src1_sel:WORD_1
	v_add_u16_e32 v3, 0xe000, v3
	v_or_b32_sdwa v3, v7, v3 dst_sel:DWORD dst_unused:UNUSED_PAD src0_sel:DWORD src1_sel:BYTE_1
	v_lshrrev_b32_e32 v6, 4, v12
	v_add_u16_e32 v4, 0xe000, v4
	v_add_u16_sdwa v3, v3, s25 dst_sel:WORD_1 dst_unused:UNUSED_PAD src0_sel:DWORD src1_sel:DWORD
	v_or_b32_e32 v3, v4, v3
	v_and_or_b32 v4, v6, s22, v5
	v_lshlrev_b16_e32 v6, 8, v4
	v_and_b32_e32 v5, 0x3f00, v4
	v_add_u16_e32 v6, 0xe000, v6
	v_or_b32_sdwa v5, v5, v6 dst_sel:DWORD dst_unused:UNUSED_PAD src0_sel:DWORD src1_sel:BYTE_1
	v_and_b32_sdwa v6, v4, s24 dst_sel:DWORD dst_unused:UNUSED_PAD src0_sel:WORD_1 src1_sel:DWORD
	v_lshlrev_b16_sdwa v4, v144, v4 dst_sel:DWORD dst_unused:UNUSED_PAD src0_sel:DWORD src1_sel:WORD_1
	v_add_u16_e32 v4, 0xe000, v4
	v_or_b32_sdwa v4, v6, v4 dst_sel:DWORD dst_unused:UNUSED_PAD src0_sel:DWORD src1_sel:BYTE_1
	v_add_u16_e32 v5, 0xe000, v5
	v_add_u16_sdwa v4, v4, s25 dst_sel:WORD_1 dst_unused:UNUSED_PAD src0_sel:DWORD src1_sel:DWORD
	v_or_b32_e32 v4, v5, v4
	ds_write2_b32 v44, v3, v4 offset1:16
	s_waitcnt vmcnt(3)
	v_and_b32_e32 v3, 0xf0f0f0f, v9
	v_lshrrev_b32_e32 v6, 4, v9
	s_waitcnt vmcnt(2)
	v_ashrrev_i32_e32 v4, v101, v10
	v_lshlrev_b32_e32 v5, 4, v4
	v_and_b32_e32 v7, 0x30303030, v4
	v_add_co_u32_e32 v4, vcc, s8, v90
	v_and_or_b32 v3, v5, s23, v3
	v_addc_co_u32_e32 v5, vcc, v57, v2, vcc
	global_load_dword v12, v[4:5], off
	v_add_co_u32_e32 v4, vcc, s8, v96
	v_addc_co_u32_e32 v5, vcc, v63, v2, vcc
	v_and_b32_e32 v9, 0x3f00, v3
	v_lshlrev_b16_e32 v10, 8, v3
	global_load_dword v13, v[4:5], off
	v_and_b32_sdwa v5, v3, s24 dst_sel:DWORD dst_unused:UNUSED_PAD src0_sel:WORD_1 src1_sel:DWORD
	v_lshlrev_b16_sdwa v3, v144, v3 dst_sel:DWORD dst_unused:UNUSED_PAD src0_sel:DWORD src1_sel:WORD_1
	v_add_u16_e32 v4, 0xe000, v10
	v_add_u16_e32 v3, 0xe000, v3
	v_or_b32_sdwa v4, v9, v4 dst_sel:DWORD dst_unused:UNUSED_PAD src0_sel:DWORD src1_sel:BYTE_1
	v_or_b32_sdwa v3, v5, v3 dst_sel:DWORD dst_unused:UNUSED_PAD src0_sel:DWORD src1_sel:BYTE_1
	v_add_u16_e32 v4, 0xe000, v4
	v_add_u16_sdwa v3, v3, s25 dst_sel:WORD_1 dst_unused:UNUSED_PAD src0_sel:DWORD src1_sel:DWORD
	v_or_b32_e32 v3, v4, v3
	v_and_or_b32 v4, v6, s22, v7
	v_lshlrev_b16_e32 v6, 8, v4
	v_and_b32_e32 v5, 0x3f00, v4
	v_add_u16_e32 v6, 0xe000, v6
	v_or_b32_sdwa v5, v5, v6 dst_sel:DWORD dst_unused:UNUSED_PAD src0_sel:DWORD src1_sel:BYTE_1
	v_add_u16_e32 v6, 0xe000, v5
	v_and_b32_sdwa v5, v4, s24 dst_sel:DWORD dst_unused:UNUSED_PAD src0_sel:WORD_1 src1_sel:DWORD
	v_lshlrev_b16_sdwa v4, v144, v4 dst_sel:DWORD dst_unused:UNUSED_PAD src0_sel:DWORD src1_sel:WORD_1
	v_add_u16_e32 v4, 0xe000, v4
	v_or_b32_sdwa v4, v5, v4 dst_sel:DWORD dst_unused:UNUSED_PAD src0_sel:DWORD src1_sel:BYTE_1
	v_add_u16_sdwa v7, v4, s25 dst_sel:WORD_1 dst_unused:UNUSED_PAD src0_sel:DWORD src1_sel:DWORD
	v_add_co_u32_e32 v4, vcc, s8, v78
	v_addc_co_u32_e32 v5, vcc, v43, v2, vcc
	global_load_dword v9, v[4:5], off
	v_add_co_u32_e32 v4, vcc, s8, v84
	v_addc_co_u32_e32 v5, vcc, v49, v2, vcc
	global_load_dword v10, v[4:5], off
	v_or_b32_e32 v4, v6, v7
	ds_write2_b32 v46, v3, v4 offset1:16
	s_waitcnt vmcnt(4)
	v_ashrrev_i32_e32 v4, v101, v11
	v_and_b32_e32 v3, 0xf0f0f0f, v8
	v_lshlrev_b32_e32 v5, 4, v4
	v_and_or_b32 v3, v5, s23, v3
	v_lshlrev_b16_e32 v5, 8, v3
	v_and_b32_e32 v7, 0x30303030, v4
	v_and_b32_e32 v4, 0x3f00, v3
	v_add_u16_e32 v5, 0xe000, v5
	v_or_b32_sdwa v4, v4, v5 dst_sel:DWORD dst_unused:UNUSED_PAD src0_sel:DWORD src1_sel:BYTE_1
	v_lshrrev_b32_e32 v6, 4, v8
	v_add_u16_e32 v8, 0xe000, v4
	v_and_b32_sdwa v4, v3, s24 dst_sel:DWORD dst_unused:UNUSED_PAD src0_sel:WORD_1 src1_sel:DWORD
	v_lshlrev_b16_sdwa v3, v144, v3 dst_sel:DWORD dst_unused:UNUSED_PAD src0_sel:DWORD src1_sel:WORD_1
	v_add_u16_e32 v3, 0xe000, v3
	v_or_b32_sdwa v3, v4, v3 dst_sel:DWORD dst_unused:UNUSED_PAD src0_sel:DWORD src1_sel:BYTE_1
	v_add_co_u32_e32 v4, vcc, s8, v72
	v_addc_co_u32_e32 v5, vcc, v37, v2, vcc
	global_load_ushort v11, v[4:5], off
	v_add_co_u32_e32 v4, vcc, s8, v66
	v_addc_co_u32_e32 v5, vcc, v31, v2, vcc
	global_load_dword v14, v[4:5], off
	v_add_co_u32_e32 v4, vcc, s8, v60
	v_addc_co_u32_e32 v5, vcc, v25, v2, vcc
	global_load_dword v2, v[4:5], off
	v_and_or_b32 v4, v6, s22, v7
	v_lshlrev_b16_e32 v6, 8, v4
	v_and_b32_e32 v5, 0x3f00, v4
	v_add_u16_e32 v6, 0xe000, v6
	v_or_b32_sdwa v5, v5, v6 dst_sel:DWORD dst_unused:UNUSED_PAD src0_sel:DWORD src1_sel:BYTE_1
	v_and_b32_sdwa v6, v4, s24 dst_sel:DWORD dst_unused:UNUSED_PAD src0_sel:WORD_1 src1_sel:DWORD
	v_lshlrev_b16_sdwa v4, v144, v4 dst_sel:DWORD dst_unused:UNUSED_PAD src0_sel:DWORD src1_sel:WORD_1
	v_add_u16_e32 v4, 0xe000, v4
	v_or_b32_sdwa v4, v6, v4 dst_sel:DWORD dst_unused:UNUSED_PAD src0_sel:DWORD src1_sel:BYTE_1
	v_add_u16_sdwa v3, v3, s25 dst_sel:WORD_1 dst_unused:UNUSED_PAD src0_sel:DWORD src1_sel:DWORD
	v_add_u16_e32 v5, 0xe000, v5
	v_add_u16_sdwa v4, v4, s25 dst_sel:WORD_1 dst_unused:UNUSED_PAD src0_sel:DWORD src1_sel:DWORD
	v_or_b32_e32 v3, v8, v3
	v_or_b32_e32 v4, v5, v4
	ds_write2_b32 v48, v3, v4 offset1:16
	s_waitcnt vmcnt(6)
	v_and_b32_e32 v3, 0xf0f0f0f, v12
	v_lshrrev_b32_e32 v4, 4, v12
	s_waitcnt vmcnt(5)
	v_ashrrev_i32_e32 v5, v101, v13
	v_lshlrev_b32_e32 v6, 4, v5
	v_and_or_b32 v3, v6, s23, v3
	v_lshlrev_b16_e32 v7, 8, v3
	v_and_b32_e32 v6, 0x3f00, v3
	v_add_u16_e32 v7, 0xe000, v7
	v_or_b32_sdwa v6, v6, v7 dst_sel:DWORD dst_unused:UNUSED_PAD src0_sel:DWORD src1_sel:BYTE_1
	v_and_b32_sdwa v7, v3, s24 dst_sel:DWORD dst_unused:UNUSED_PAD src0_sel:WORD_1 src1_sel:DWORD
	v_lshlrev_b16_sdwa v3, v144, v3 dst_sel:DWORD dst_unused:UNUSED_PAD src0_sel:DWORD src1_sel:WORD_1
	v_add_u16_e32 v3, 0xe000, v3
	v_and_b32_e32 v5, 0x30303030, v5
	v_or_b32_sdwa v3, v7, v3 dst_sel:DWORD dst_unused:UNUSED_PAD src0_sel:DWORD src1_sel:BYTE_1
	v_add_u16_e32 v6, 0xe000, v6
	v_add_u16_sdwa v3, v3, s25 dst_sel:WORD_1 dst_unused:UNUSED_PAD src0_sel:DWORD src1_sel:DWORD
	v_and_or_b32 v4, v4, s22, v5
	v_or_b32_e32 v3, v6, v3
	v_lshlrev_b16_e32 v6, 8, v4
	v_and_b32_e32 v5, 0x3f00, v4
	v_add_u16_e32 v6, 0xe000, v6
	v_or_b32_sdwa v5, v5, v6 dst_sel:DWORD dst_unused:UNUSED_PAD src0_sel:DWORD src1_sel:BYTE_1
	v_and_b32_sdwa v6, v4, s24 dst_sel:DWORD dst_unused:UNUSED_PAD src0_sel:WORD_1 src1_sel:DWORD
	v_lshlrev_b16_sdwa v4, v144, v4 dst_sel:DWORD dst_unused:UNUSED_PAD src0_sel:DWORD src1_sel:WORD_1
	v_add_u16_e32 v4, 0xe000, v4
	v_or_b32_sdwa v4, v6, v4 dst_sel:DWORD dst_unused:UNUSED_PAD src0_sel:DWORD src1_sel:BYTE_1
	v_add_u16_e32 v5, 0xe000, v5
	v_add_u16_sdwa v4, v4, s25 dst_sel:WORD_1 dst_unused:UNUSED_PAD src0_sel:DWORD src1_sel:DWORD
	v_or_b32_e32 v4, v5, v4
	ds_write2_b32 v50, v3, v4 offset1:16
	s_waitcnt vmcnt(4)
	v_and_b32_e32 v3, 0xf0f0f0f, v9
	v_lshrrev_b32_e32 v4, 4, v9
	s_waitcnt vmcnt(3)
	v_ashrrev_i32_e32 v5, v101, v10
	v_lshlrev_b32_e32 v6, 4, v5
	v_and_or_b32 v3, v6, s23, v3
	v_lshlrev_b16_e32 v7, 8, v3
	v_and_b32_e32 v6, 0x3f00, v3
	v_add_u16_e32 v7, 0xe000, v7
	v_or_b32_sdwa v6, v6, v7 dst_sel:DWORD dst_unused:UNUSED_PAD src0_sel:DWORD src1_sel:BYTE_1
	v_and_b32_sdwa v7, v3, s24 dst_sel:DWORD dst_unused:UNUSED_PAD src0_sel:WORD_1 src1_sel:DWORD
	v_lshlrev_b16_sdwa v3, v144, v3 dst_sel:DWORD dst_unused:UNUSED_PAD src0_sel:DWORD src1_sel:WORD_1
	v_add_u16_e32 v3, 0xe000, v3
	v_and_b32_e32 v5, 0x30303030, v5
	v_or_b32_sdwa v3, v7, v3 dst_sel:DWORD dst_unused:UNUSED_PAD src0_sel:DWORD src1_sel:BYTE_1
	v_add_u16_e32 v6, 0xe000, v6
	v_add_u16_sdwa v3, v3, s25 dst_sel:WORD_1 dst_unused:UNUSED_PAD src0_sel:DWORD src1_sel:DWORD
	v_and_or_b32 v4, v4, s22, v5
	v_or_b32_e32 v3, v6, v3
	v_lshlrev_b16_e32 v6, 8, v4
	v_and_b32_e32 v5, 0x3f00, v4
	v_add_u16_e32 v6, 0xe000, v6
	v_or_b32_sdwa v5, v5, v6 dst_sel:DWORD dst_unused:UNUSED_PAD src0_sel:DWORD src1_sel:BYTE_1
	v_and_b32_sdwa v6, v4, s24 dst_sel:DWORD dst_unused:UNUSED_PAD src0_sel:WORD_1 src1_sel:DWORD
	v_lshlrev_b16_sdwa v4, v144, v4 dst_sel:DWORD dst_unused:UNUSED_PAD src0_sel:DWORD src1_sel:WORD_1
	v_add_u16_e32 v4, 0xe000, v4
	v_or_b32_sdwa v4, v6, v4 dst_sel:DWORD dst_unused:UNUSED_PAD src0_sel:DWORD src1_sel:BYTE_1
	s_waitcnt vmcnt(2)
	v_cvt_f32_f16_e32 v6, v11
	v_add_u16_e32 v5, 0xe000, v5
	v_add_u16_sdwa v4, v4, s25 dst_sel:WORD_1 dst_unused:UNUSED_PAD src0_sel:DWORD src1_sel:DWORD
	v_or_b32_e32 v4, v5, v4
	ds_write2_b32 v52, v3, v4 offset1:16
	ds_write_b32 v103, v6
	s_waitcnt vmcnt(1)
	ds_write_b32 v142, v14
	s_waitcnt vmcnt(0)
	ds_write_b32 v143, v2
	s_cbranch_scc0 .LBB236_5
; %bb.7:                                ;   in Loop: Header=BB236_6 Depth=1
	v_cmp_gt_i32_e32 vcc, s12, v109
	s_and_b64 s[26:27], s[2:3], vcc
	s_and_saveexec_b64 s[4:5], s[26:27]
	s_cbranch_execz .LBB236_9
; %bb.8:                                ;   in Loop: Header=BB236_6 Depth=1
	v_add_u32_e32 v2, v56, v109
	v_mad_i64_i32 v[2:3], s[26:27], v2, 36, v[54:55]
	global_load_dword v2, v[2:3], off offset:4
	s_waitcnt vmcnt(0)
	ds_write_b32 v105, v2
.LBB236_9:                              ;   in Loop: Header=BB236_6 Depth=1
	s_or_b64 exec, exec, s[4:5]
	s_and_saveexec_b64 s[4:5], s[0:1]
	s_cbranch_execz .LBB236_12
; %bb.10:                               ;   in Loop: Header=BB236_6 Depth=1
	v_cmp_gt_i32_e32 vcc, s12, v99
	s_and_b64 s[26:27], s[2:3], vcc
	s_and_b64 exec, exec, s[26:27]
	s_cbranch_execz .LBB236_12
; %bb.11:                               ;   in Loop: Header=BB236_6 Depth=1
	v_add_u32_e32 v2, v56, v99
	v_mad_i64_i32 v[2:3], s[26:27], v2, 36, s[6:7]
	global_load_dword v2, v[2:3], off
	s_waitcnt vmcnt(0)
	v_cvt_f32_f16_e32 v2, v2
	ds_write_b32 v107, v2
.LBB236_12:                             ;   in Loop: Header=BB236_6 Depth=1
	s_or_b64 exec, exec, s[4:5]
	s_waitcnt lgkmcnt(0)
	s_barrier
	ds_read_b128 v[6:9], v111
	ds_read_b128 v[10:13], v111 offset:16
	ds_read_b128 v[14:17], v111 offset:32
	;; [unrolled: 1-line block ×3, first 2 shown]
	ds_read_b32 v145, v119
	ds_read2_b32 v[128:129], v117 offset0:6 offset1:7
	ds_read2_b32 v[132:133], v117 offset0:4 offset1:5
	;; [unrolled: 1-line block ×3, first 2 shown]
	ds_read2_b32 v[146:147], v117 offset1:1
	ds_read2_b32 v[148:149], v117 offset0:14 offset1:15
	ds_read2_b32 v[150:151], v117 offset0:12 offset1:13
	ds_read_b128 v[2:5], v113 offset:36944
	ds_read2_b32 v[130:131], v115 offset1:1
	v_mov_b32_e32 v156, 0
	ds_read2_b32 v[152:153], v117 offset0:10 offset1:11
	ds_read2_b32 v[154:155], v117 offset0:8 offset1:9
	s_waitcnt lgkmcnt(4)
	v_dot4c_i32_i8_e32 v156, v150, v18
	v_dot4c_i32_i8_e32 v156, v151, v19
	;; [unrolled: 1-line block ×4, first 2 shown]
	v_mov_b32_e32 v149, 0
	v_dot4c_i32_i8_e32 v149, v132, v10
	v_dot4c_i32_i8_e32 v149, v133, v11
	v_dot4c_i32_i8_e32 v149, v128, v12
	v_dot4c_i32_i8_e32 v149, v129, v13
	v_mov_b32_e32 v129, 0
	v_dot4c_i32_i8_e32 v129, v146, v6
	v_dot4c_i32_i8_e32 v129, v147, v7
	s_waitcnt lgkmcnt(2)
	v_bfe_i32 v128, v130, 8, 8
	v_dot4c_i32_i8_e32 v129, v134, v8
	v_mul_lo_u32 v128, v149, v128
	v_dot4c_i32_i8_e32 v129, v135, v9
	v_bfe_i32 v132, v130, 0, 8
	v_mov_b32_e32 v148, 0
	s_waitcnt lgkmcnt(0)
	v_dot4c_i32_i8_e32 v148, v154, v14
	v_mad_u64_u32 v[128:129], s[4:5], v129, v132, v[128:129]
	v_cvt_f32_i32_e32 v128, v128
	v_dot4c_i32_i8_e32 v148, v155, v15
	v_dot4c_i32_i8_e32 v148, v152, v16
	;; [unrolled: 1-line block ×3, first 2 shown]
	v_fma_f32 v160, v2, v128, 0
	v_ashrrev_i32_e32 v128, 24, v130
	v_bfe_i32 v129, v130, 16, 8
	v_mul_lo_u32 v128, v156, v128
	v_mad_u64_u32 v[128:129], s[4:5], v148, v129, v[128:129]
	v_add_u32_e32 v132, 0x2090, v117
	v_add_u32_e32 v146, 0x2088, v117
	;; [unrolled: 1-line block ×5, first 2 shown]
	v_cvt_f32_i32_e32 v161, v128
	ds_read2_b32 v[128:129], v127 offset1:1
	ds_read_b32 v164, v125 offset:128
	ds_read2_b32 v[134:135], v123 offset1:1
	ds_read2_b32 v[132:133], v132 offset1:1
	;; [unrolled: 1-line block ×6, first 2 shown]
	v_mov_b32_e32 v162, 0
	v_add_u32_e32 v130, 0x2098, v117
	v_add_u32_e32 v154, 0x20a8, v117
	;; [unrolled: 1-line block ×3, first 2 shown]
	s_waitcnt lgkmcnt(0)
	v_dot4c_i32_i8_e32 v162, v152, v18
	v_dot4c_i32_i8_e32 v162, v153, v19
	v_add_u32_e32 v158, 0x4118, v117
	v_dot4c_i32_i8_e32 v162, v150, v20
	ds_read2_b32 v[154:155], v154 offset1:1
	ds_read2_b32 v[156:157], v156 offset1:1
	;; [unrolled: 1-line block ×3, first 2 shown]
	v_dot4c_i32_i8_e32 v162, v151, v21
	ds_read2_b32 v[150:151], v130 offset1:1
	v_mov_b32_e32 v153, 0
	v_dot4c_i32_i8_e32 v153, v132, v10
	v_dot4c_i32_i8_e32 v153, v133, v11
	v_mov_b32_e32 v133, 0
	v_dot4c_i32_i8_e32 v133, v148, v6
	s_waitcnt lgkmcnt(0)
	v_dot4c_i32_i8_e32 v153, v150, v12
	v_dot4c_i32_i8_e32 v133, v149, v7
	v_mov_b32_e32 v152, 0
	v_dot4c_i32_i8_e32 v153, v151, v13
	v_bfe_i32 v132, v134, 8, 8
	v_dot4c_i32_i8_e32 v133, v146, v8
	v_dot4c_i32_i8_e32 v152, v156, v14
	v_mul_lo_u32 v132, v153, v132
	v_dot4c_i32_i8_e32 v133, v147, v9
	v_bfe_i32 v146, v134, 0, 8
	v_dot4c_i32_i8_e32 v152, v157, v15
	v_dot4c_i32_i8_e32 v152, v154, v16
	v_mad_u64_u32 v[132:133], s[4:5], v133, v146, v[132:133]
	v_cvt_f32_i32_e32 v146, v132
	v_ashrrev_i32_e32 v132, 24, v134
	v_dot4c_i32_i8_e32 v152, v155, v17
	v_bfe_i32 v133, v134, 16, 8
	v_mul_lo_u32 v132, v162, v132
	v_add_u32_e32 v148, 0x4100, v117
	v_mad_u64_u32 v[132:133], s[4:5], v152, v133, v[132:133]
	v_cvt_f32_i32_e32 v132, v132
	v_fma_f32 v133, v2, v146, 0
	v_add_u32_e32 v146, 0x4108, v117
	v_add_u32_e32 v150, 0x4138, v117
	v_fmac_f32_e32 v133, v3, v132
	v_add_u32_e32 v132, 0x4110, v117
	v_add_u32_e32 v152, 0x4130, v117
	ds_read_b32 v130, v138 offset:384
	ds_read_b32 v134, v136 offset:256
	v_fmac_f32_e32 v141, v164, v133
	ds_read2_b32 v[132:133], v132 offset1:1
	ds_read2_b32 v[146:147], v146 offset1:1
	ds_read2_b32 v[148:149], v148 offset1:1
	ds_read2_b32 v[150:151], v150 offset1:1
	ds_read2_b32 v[152:153], v152 offset1:1
	v_mov_b32_e32 v162, 0
	v_fmac_f32_e32 v160, v3, v161
	v_fmac_f32_e32 v140, v145, v160
	v_add_u32_e32 v154, 0x4128, v117
	s_waitcnt lgkmcnt(0)
	v_dot4c_i32_i8_e32 v162, v152, v18
	v_dot4c_i32_i8_e32 v162, v153, v19
	;; [unrolled: 1-line block ×4, first 2 shown]
	v_mov_b32_e32 v151, 0
	v_dot4c_i32_i8_e32 v151, v132, v10
	v_dot4c_i32_i8_e32 v151, v133, v11
	v_mov_b32_e32 v133, 0
	v_dot4c_i32_i8_e32 v133, v148, v6
	v_dot4c_i32_i8_e32 v151, v158, v12
	;; [unrolled: 1-line block ×3, first 2 shown]
	v_add_u32_e32 v156, 0x4120, v117
	v_add_u32_e32 v160, 0x6198, v117
	v_dot4c_i32_i8_e32 v151, v159, v13
	v_bfe_i32 v132, v128, 8, 8
	v_dot4c_i32_i8_e32 v133, v146, v8
	ds_read2_b32 v[154:155], v154 offset1:1
	ds_read2_b32 v[156:157], v156 offset1:1
	;; [unrolled: 1-line block ×3, first 2 shown]
	v_mul_lo_u32 v132, v151, v132
	v_dot4c_i32_i8_e32 v133, v147, v9
	v_bfe_i32 v146, v128, 0, 8
	v_mov_b32_e32 v150, 0
	s_waitcnt lgkmcnt(1)
	v_dot4c_i32_i8_e32 v150, v156, v14
	v_mad_u64_u32 v[132:133], s[4:5], v133, v146, v[132:133]
	v_cvt_f32_i32_e32 v132, v132
	v_dot4c_i32_i8_e32 v150, v157, v15
	v_dot4c_i32_i8_e32 v150, v154, v16
	;; [unrolled: 1-line block ×3, first 2 shown]
	v_fma_f32 v165, v2, v132, 0
	v_bfe_i32 v132, v128, 16, 8
	v_ashrrev_i32_e32 v128, 24, v128
	v_mul_lo_u32 v128, v162, v128
	v_mad_u64_u32 v[132:133], s[4:5], v150, v132, v[128:129]
	v_add_u32_e32 v146, 0x6190, v117
	v_add_u32_e32 v148, 0x6188, v117
	;; [unrolled: 1-line block ×5, first 2 shown]
	v_cvt_f32_i32_e32 v128, v132
	ds_read2_b32 v[132:133], v137 offset1:1
	ds_read2_b32 v[146:147], v146 offset1:1
	;; [unrolled: 1-line block ×6, first 2 shown]
	v_add_u32_e32 v156, 0x61a8, v117
	v_add_u32_e32 v158, 0x61a0, v117
	;; [unrolled: 1-line block ×3, first 2 shown]
	ds_read2_b32 v[156:157], v156 offset1:1
	ds_read2_b32 v[158:159], v158 offset1:1
	;; [unrolled: 1-line block ×3, first 2 shown]
	v_mov_b32_e32 v166, 0
	s_waitcnt lgkmcnt(3)
	v_dot4c_i32_i8_e32 v166, v154, v18
	v_mov_b32_e32 v18, 0
	s_waitcnt lgkmcnt(1)
	v_dot4c_i32_i8_e32 v18, v158, v14
	v_mov_b32_e32 v14, 0
	v_dot4c_i32_i8_e32 v14, v146, v10
	v_dot4c_i32_i8_e32 v14, v147, v11
	v_mov_b32_e32 v11, 0
	v_dot4c_i32_i8_e32 v11, v150, v6
	v_dot4c_i32_i8_e32 v14, v160, v12
	;; [unrolled: 1-line block ×4, first 2 shown]
	v_bfe_i32 v10, v132, 8, 8
	v_dot4c_i32_i8_e32 v11, v148, v8
	v_dot4c_i32_i8_e32 v166, v155, v19
	v_mul_lo_u32 v10, v14, v10
	v_dot4c_i32_i8_e32 v11, v149, v9
	v_bfe_i32 v6, v132, 0, 8
	v_dot4c_i32_i8_e32 v166, v152, v20
	v_dot4c_i32_i8_e32 v18, v159, v15
	v_mad_u64_u32 v[6:7], s[4:5], v11, v6, v[10:11]
	v_dot4c_i32_i8_e32 v166, v153, v21
	v_dot4c_i32_i8_e32 v18, v156, v16
	v_cvt_f32_i32_e32 v8, v6
	v_ashrrev_i32_e32 v6, 24, v132
	v_dot4c_i32_i8_e32 v18, v157, v17
	v_bfe_i32 v7, v132, 16, 8
	v_mul_lo_u32 v6, v166, v6
	v_fma_f32 v2, v2, v8, 0
	v_mad_u64_u32 v[6:7], s[4:5], v18, v7, v[6:7]
	v_cvt_f32_i32_e32 v6, v6
	v_fmac_f32_e32 v165, v3, v128
	v_mov_b32_e32 v128, 0
	v_mov_b32_e32 v132, 0
	v_fmac_f32_e32 v2, v3, v6
	v_fmac_f32_e32 v71, v130, v2
	ds_read_b128 v[10:13], v111 offset:80
	ds_read_b128 v[6:9], v111 offset:64
	;; [unrolled: 1-line block ×4, first 2 shown]
	ds_read2_b32 v[2:3], v117 offset0:30 offset1:31
	ds_read2_b32 v[146:147], v117 offset0:28 offset1:29
	;; [unrolled: 1-line block ×6, first 2 shown]
	s_waitcnt lgkmcnt(4)
	v_dot4c_i32_i8_e32 v128, v146, v18
	v_dot4c_i32_i8_e32 v128, v147, v19
	;; [unrolled: 1-line block ×3, first 2 shown]
	v_mov_b32_e32 v2, 0
	s_waitcnt lgkmcnt(2)
	v_dot4c_i32_i8_e32 v2, v150, v10
	v_dot4c_i32_i8_e32 v2, v151, v11
	;; [unrolled: 1-line block ×5, first 2 shown]
	v_bfe_i32 v3, v131, 8, 8
	ds_read2_b32 v[156:157], v117 offset0:26 offset1:27
	ds_read2_b32 v[158:159], v117 offset0:24 offset1:25
	v_mul_lo_u32 v2, v2, v3
	v_mov_b32_e32 v3, 0
	s_waitcnt lgkmcnt(2)
	v_dot4c_i32_i8_e32 v3, v154, v6
	v_dot4c_i32_i8_e32 v3, v155, v7
	;; [unrolled: 1-line block ×4, first 2 shown]
	v_bfe_i32 v146, v131, 0, 8
	s_waitcnt lgkmcnt(0)
	v_dot4c_i32_i8_e32 v132, v158, v14
	v_dot4c_i32_i8_e32 v132, v159, v15
	v_mad_u64_u32 v[2:3], s[4:5], v3, v146, v[2:3]
	v_cvt_f32_i32_e32 v2, v2
	v_dot4c_i32_i8_e32 v132, v156, v16
	v_dot4c_i32_i8_e32 v132, v157, v17
	v_bfe_i32 v3, v131, 16, 8
	v_fma_f32 v160, v4, v2, 0
	v_ashrrev_i32_e32 v2, 24, v131
	v_mul_lo_u32 v2, v128, v2
	v_mad_u64_u32 v[2:3], s[4:5], v132, v3, v[2:3]
	v_cvt_f32_i32_e32 v128, v2
	v_add_u32_e32 v2, 0x20d0, v117
	v_add_u32_e32 v131, 0x20c8, v117
	;; [unrolled: 1-line block ×4, first 2 shown]
	ds_read2_b32 v[2:3], v2 offset1:1
	ds_read2_b32 v[146:147], v131 offset1:1
	;; [unrolled: 1-line block ×4, first 2 shown]
	v_add_u32_e32 v131, 0x20f0, v117
	ds_read2_b32 v[152:153], v131 offset1:1
	v_mov_b32_e32 v132, 0
	v_add_u32_e32 v154, 0x20e8, v117
	v_add_u32_e32 v156, 0x20e0, v117
	v_add_u32_e32 v131, 0x4158, v117
	s_waitcnt lgkmcnt(0)
	v_dot4c_i32_i8_e32 v132, v152, v18
	v_dot4c_i32_i8_e32 v132, v153, v19
	;; [unrolled: 1-line block ×3, first 2 shown]
	v_mov_b32_e32 v150, 0
	v_dot4c_i32_i8_e32 v150, v2, v10
	ds_read2_b32 v[154:155], v154 offset1:1
	ds_read2_b32 v[156:157], v156 offset1:1
	ds_read2_b32 v[158:159], v131 offset1:1
	v_dot4c_i32_i8_e32 v150, v3, v11
	v_mov_b32_e32 v3, 0
	v_dot4c_i32_i8_e32 v3, v148, v6
	v_dot4c_i32_i8_e32 v150, v162, v12
	;; [unrolled: 1-line block ×3, first 2 shown]
	v_mov_b32_e32 v131, 0
	v_dot4c_i32_i8_e32 v150, v163, v13
	v_bfe_i32 v2, v135, 8, 8
	v_dot4c_i32_i8_e32 v3, v146, v8
	s_waitcnt lgkmcnt(1)
	v_dot4c_i32_i8_e32 v131, v156, v14
	v_mul_lo_u32 v2, v150, v2
	v_dot4c_i32_i8_e32 v3, v147, v9
	v_bfe_i32 v146, v135, 0, 8
	v_dot4c_i32_i8_e32 v131, v157, v15
	v_dot4c_i32_i8_e32 v132, v151, v21
	v_mad_u64_u32 v[2:3], s[4:5], v3, v146, v[2:3]
	v_dot4c_i32_i8_e32 v131, v154, v16
	v_cvt_f32_i32_e32 v146, v2
	v_ashrrev_i32_e32 v2, 24, v135
	v_dot4c_i32_i8_e32 v131, v155, v17
	v_bfe_i32 v3, v135, 16, 8
	v_mul_lo_u32 v2, v132, v2
	v_fmac_f32_e32 v160, v5, v128
	v_mad_u64_u32 v[2:3], s[4:5], v131, v3, v[2:3]
	v_cvt_f32_i32_e32 v2, v2
	v_fma_f32 v3, v4, v146, 0
	v_add_u32_e32 v128, 0x4148, v117
	v_add_u32_e32 v132, 0x4178, v117
	v_fmac_f32_e32 v3, v5, v2
	v_add_u32_e32 v2, 0x4150, v117
	v_fmac_f32_e32 v141, v164, v3
	v_add_u32_e32 v131, 0x4140, v117
	ds_read2_b32 v[2:3], v2 offset1:1
	ds_read2_b32 v[146:147], v128 offset1:1
	;; [unrolled: 1-line block ×4, first 2 shown]
	v_add_u32_e32 v128, 0x4170, v117
	v_add_u32_e32 v132, 0x4168, v117
	v_fmac_f32_e32 v140, v145, v160
	v_add_u32_e32 v135, 0x4160, v117
	ds_read2_b32 v[152:153], v128 offset1:1
	v_add_u32_e32 v128, 0x61d8, v117
	ds_read2_b32 v[154:155], v132 offset1:1
	ds_read2_b32 v[156:157], v135 offset1:1
	;; [unrolled: 1-line block ×3, first 2 shown]
	v_mov_b32_e32 v132, 0
	s_waitcnt lgkmcnt(7)
	v_dot4c_i32_i8_e32 v132, v2, v10
	v_dot4c_i32_i8_e32 v132, v3, v11
	v_mov_b32_e32 v3, 0
	s_waitcnt lgkmcnt(5)
	v_dot4c_i32_i8_e32 v3, v148, v6
	v_dot4c_i32_i8_e32 v132, v158, v12
	;; [unrolled: 1-line block ×4, first 2 shown]
	v_bfe_i32 v2, v129, 8, 8
	v_dot4c_i32_i8_e32 v3, v146, v8
	v_dot4c_i32_i8_e32 v3, v147, v9
	v_mul_lo_u32 v2, v132, v2
	v_bfe_i32 v132, v129, 0, 8
	v_mov_b32_e32 v131, 0
	v_mad_u64_u32 v[2:3], s[4:5], v3, v132, v[2:3]
	v_cvt_f32_i32_e32 v2, v2
	s_waitcnt lgkmcnt(3)
	v_dot4c_i32_i8_e32 v131, v152, v18
	v_mov_b32_e32 v128, 0
	v_dot4c_i32_i8_e32 v131, v153, v19
	s_waitcnt lgkmcnt(1)
	v_dot4c_i32_i8_e32 v128, v156, v14
	v_dot4c_i32_i8_e32 v131, v150, v20
	;; [unrolled: 1-line block ×5, first 2 shown]
	v_fma_f32 v132, v4, v2, 0
	v_ashrrev_i32_e32 v2, 24, v129
	v_dot4c_i32_i8_e32 v128, v155, v17
	v_bfe_i32 v3, v129, 16, 8
	v_mul_lo_u32 v2, v131, v2
	v_add_u32_e32 v135, 0x61c0, v117
	v_mad_u64_u32 v[2:3], s[4:5], v128, v3, v[2:3]
	v_cvt_f32_i32_e32 v131, v2
	v_add_u32_e32 v2, 0x61d0, v117
	v_add_u32_e32 v128, 0x61c8, v117
	;; [unrolled: 1-line block ×3, first 2 shown]
	ds_read2_b32 v[2:3], v2 offset1:1
	ds_read2_b32 v[128:129], v128 offset1:1
	;; [unrolled: 1-line block ×4, first 2 shown]
	v_add_u32_e32 v135, 0x61f0, v117
	ds_read2_b32 v[150:151], v135 offset1:1
	v_add_u32_e32 v135, 0x61e8, v117
	v_add_u32_e32 v154, 0x61e0, v117
	ds_read2_b32 v[152:153], v135 offset1:1
	ds_read2_b32 v[154:155], v154 offset1:1
	v_mov_b32_e32 v145, 0
	s_waitcnt lgkmcnt(2)
	v_dot4c_i32_i8_e32 v145, v150, v18
	v_mov_b32_e32 v18, 0
	v_dot4c_i32_i8_e32 v145, v151, v19
	s_waitcnt lgkmcnt(0)
	v_dot4c_i32_i8_e32 v18, v154, v14
	v_mov_b32_e32 v14, 0
	v_dot4c_i32_i8_e32 v14, v2, v10
	v_dot4c_i32_i8_e32 v14, v3, v11
	v_mov_b32_e32 v3, 0
	v_dot4c_i32_i8_e32 v3, v146, v6
	v_dot4c_i32_i8_e32 v14, v160, v12
	;; [unrolled: 1-line block ×4, first 2 shown]
	v_bfe_i32 v2, v133, 8, 8
	v_dot4c_i32_i8_e32 v3, v128, v8
	v_dot4c_i32_i8_e32 v3, v129, v9
	v_mul_lo_u32 v2, v14, v2
	v_bfe_i32 v6, v133, 0, 8
	v_dot4c_i32_i8_e32 v145, v148, v20
	v_dot4c_i32_i8_e32 v18, v155, v15
	v_mad_u64_u32 v[2:3], s[4:5], v3, v6, v[2:3]
	v_dot4c_i32_i8_e32 v145, v149, v21
	v_dot4c_i32_i8_e32 v18, v152, v16
	v_cvt_f32_i32_e32 v6, v2
	v_ashrrev_i32_e32 v2, 24, v133
	v_dot4c_i32_i8_e32 v18, v153, v17
	v_bfe_i32 v3, v133, 16, 8
	v_mul_lo_u32 v2, v145, v2
	v_fmac_f32_e32 v139, v134, v165
	v_mad_u64_u32 v[2:3], s[4:5], v18, v3, v[2:3]
	v_cvt_f32_i32_e32 v2, v2
	v_fma_f32 v3, v4, v6, 0
	v_fmac_f32_e32 v132, v5, v131
	v_fmac_f32_e32 v139, v134, v132
	;; [unrolled: 1-line block ×4, first 2 shown]
	s_cmp_ge_i32 s10, s9
	s_barrier
	s_cbranch_scc1 .LBB236_5
; %bb.13:                               ;   in Loop: Header=BB236_6 Depth=1
	v_cmp_gt_i32_e32 vcc, s12, v121
	s_and_b64 s[26:27], s[2:3], vcc
	s_and_saveexec_b64 s[4:5], s[26:27]
	s_cbranch_execz .LBB236_15
; %bb.14:                               ;   in Loop: Header=BB236_6 Depth=1
	v_add_u32_e32 v2, v56, v121
	v_mad_i64_i32 v[2:3], s[26:27], v2, 36, v[54:55]
	global_load_dword v2, v[2:3], off offset:4
	s_waitcnt vmcnt(0)
	ds_write_b32 v105, v2
.LBB236_15:                             ;   in Loop: Header=BB236_6 Depth=1
	s_or_b64 exec, exec, s[4:5]
	s_and_saveexec_b64 s[4:5], s[0:1]
	s_cbranch_execz .LBB236_4
; %bb.16:                               ;   in Loop: Header=BB236_6 Depth=1
	v_add_u32_e32 v2, 4, v99
	v_cmp_gt_i32_e32 vcc, s12, v2
	s_and_b64 s[26:27], s[2:3], vcc
	s_and_b64 exec, exec, s[26:27]
	s_cbranch_execz .LBB236_4
; %bb.17:                               ;   in Loop: Header=BB236_6 Depth=1
	v_ashrrev_i32_e32 v2, 31, v99
	v_add_co_u32_e32 v3, vcc, v56, v99
	v_addc_co_u32_e32 v4, vcc, v1, v2, vcc
	v_mad_u64_u32 v[2:3], s[26:27], v3, 36, s[18:19]
	v_mad_i32_i24 v3, v4, 36, v3
	global_load_dword v2, v[2:3], off
	s_waitcnt vmcnt(0)
	v_cvt_f32_f16_e32 v2, v2
	ds_write_b32 v107, v2
	s_branch .LBB236_4
.LBB236_18:
	v_mov_b32_e32 v139, 0
	v_mov_b32_e32 v141, 0
	;; [unrolled: 1-line block ×3, first 2 shown]
.LBB236_19:
	s_mul_i32 s0, s14, s11
	s_waitcnt vmcnt(0)
	v_cmp_gt_i32_e32 vcc, s0, v97
	s_and_saveexec_b64 s[0:1], vcc
	s_cbranch_execz .LBB236_28
; %bb.20:
	v_and_b32_e32 v0, 0x3ff, v0
	v_add_u32_e32 v1, s15, v0
	v_mul_lo_u32 v0, v97, s13
	v_cmp_gt_u32_e32 vcc, s13, v1
	s_and_saveexec_b64 s[0:1], vcc
	s_cbranch_execz .LBB236_22
; %bb.21:
	v_bfe_u32 v2, v140, 16, 1
	s_movk_i32 s2, 0x7fff
	v_add3_u32 v2, v140, v2, s2
	v_lshrrev_b32_e32 v2, 16, v2
	v_mov_b32_e32 v3, 0x7fc0
	v_cmp_o_f32_e32 vcc, v140, v140
	v_cndmask_b32_e32 v4, v3, v2, vcc
	v_add_u32_e32 v2, v0, v1
	v_mov_b32_e32 v3, 0
	v_lshlrev_b64 v[2:3], 1, v[2:3]
	v_mov_b32_e32 v5, s17
	v_add_co_u32_e32 v2, vcc, s16, v2
	v_addc_co_u32_e32 v3, vcc, v5, v3, vcc
	global_store_short v[2:3], v4, off
.LBB236_22:
	s_or_b64 exec, exec, s[0:1]
	v_add_u32_e32 v2, 32, v1
	v_cmp_gt_u32_e32 vcc, s13, v2
	s_and_saveexec_b64 s[0:1], vcc
	s_cbranch_execz .LBB236_24
; %bb.23:
	v_bfe_u32 v3, v141, 16, 1
	s_movk_i32 s2, 0x7fff
	v_add3_u32 v3, v141, v3, s2
	v_lshrrev_b32_e32 v3, 16, v3
	v_mov_b32_e32 v4, 0x7fc0
	v_cmp_o_f32_e32 vcc, v141, v141
	v_cndmask_b32_e32 v4, v4, v3, vcc
	v_add_u32_e32 v2, v0, v2
	v_mov_b32_e32 v3, 0
	v_lshlrev_b64 v[2:3], 1, v[2:3]
	v_mov_b32_e32 v5, s17
	v_add_co_u32_e32 v2, vcc, s16, v2
	v_addc_co_u32_e32 v3, vcc, v5, v3, vcc
	global_store_short v[2:3], v4, off
.LBB236_24:
	s_or_b64 exec, exec, s[0:1]
	v_add_u32_e32 v2, 64, v1
	v_cmp_gt_u32_e32 vcc, s13, v2
	s_and_saveexec_b64 s[0:1], vcc
	s_cbranch_execz .LBB236_26
; %bb.25:
	v_bfe_u32 v3, v139, 16, 1
	s_movk_i32 s2, 0x7fff
	v_add3_u32 v3, v139, v3, s2
	v_lshrrev_b32_e32 v3, 16, v3
	v_mov_b32_e32 v4, 0x7fc0
	v_cmp_o_f32_e32 vcc, v139, v139
	v_cndmask_b32_e32 v4, v4, v3, vcc
	v_add_u32_e32 v2, v0, v2
	v_mov_b32_e32 v3, 0
	v_lshlrev_b64 v[2:3], 1, v[2:3]
	v_mov_b32_e32 v5, s17
	v_add_co_u32_e32 v2, vcc, s16, v2
	v_addc_co_u32_e32 v3, vcc, v5, v3, vcc
	global_store_short v[2:3], v4, off
.LBB236_26:
	s_or_b64 exec, exec, s[0:1]
	v_add_u32_e32 v1, 0x60, v1
	v_cmp_gt_u32_e32 vcc, s13, v1
	s_and_b64 exec, exec, vcc
	s_cbranch_execz .LBB236_28
; %bb.27:
	v_bfe_u32 v2, v71, 16, 1
	s_movk_i32 s0, 0x7fff
	v_add3_u32 v2, v71, v2, s0
	v_add_u32_e32 v0, v0, v1
	v_mov_b32_e32 v1, 0
	v_lshrrev_b32_e32 v2, 16, v2
	v_mov_b32_e32 v3, 0x7fc0
	v_cmp_o_f32_e32 vcc, v71, v71
	v_lshlrev_b64 v[0:1], 1, v[0:1]
	v_cndmask_b32_e32 v2, v3, v2, vcc
	v_mov_b32_e32 v3, s17
	v_add_co_u32_e32 v0, vcc, s16, v0
	v_addc_co_u32_e32 v1, vcc, v3, v1, vcc
	global_store_short v[0:1], v2, off
.LBB236_28:
	s_endpgm
	.section	.rodata,"a",@progbits
	.p2align	6, 0x0
	.amdhsa_kernel _ZL8moe_q6_KIN3c108BFloat16ELb1EEvPKvS3_PT_PKiS7_S7_iiiiiii
		.amdhsa_group_segment_fixed_size 37072
		.amdhsa_private_segment_fixed_size 0
		.amdhsa_kernarg_size 76
		.amdhsa_user_sgpr_count 6
		.amdhsa_user_sgpr_private_segment_buffer 1
		.amdhsa_user_sgpr_dispatch_ptr 0
		.amdhsa_user_sgpr_queue_ptr 0
		.amdhsa_user_sgpr_kernarg_segment_ptr 1
		.amdhsa_user_sgpr_dispatch_id 0
		.amdhsa_user_sgpr_flat_scratch_init 0
		.amdhsa_user_sgpr_kernarg_preload_length 0
		.amdhsa_user_sgpr_kernarg_preload_offset 0
		.amdhsa_user_sgpr_private_segment_size 0
		.amdhsa_uses_dynamic_stack 0
		.amdhsa_system_sgpr_private_segment_wavefront_offset 0
		.amdhsa_system_sgpr_workgroup_id_x 1
		.amdhsa_system_sgpr_workgroup_id_y 1
		.amdhsa_system_sgpr_workgroup_id_z 0
		.amdhsa_system_sgpr_workgroup_info 0
		.amdhsa_system_vgpr_workitem_id 1
		.amdhsa_next_free_vgpr 167
		.amdhsa_next_free_sgpr 29
		.amdhsa_accum_offset 168
		.amdhsa_reserve_vcc 1
		.amdhsa_reserve_flat_scratch 0
		.amdhsa_float_round_mode_32 0
		.amdhsa_float_round_mode_16_64 0
		.amdhsa_float_denorm_mode_32 3
		.amdhsa_float_denorm_mode_16_64 3
		.amdhsa_dx10_clamp 1
		.amdhsa_ieee_mode 1
		.amdhsa_fp16_overflow 0
		.amdhsa_tg_split 0
		.amdhsa_exception_fp_ieee_invalid_op 0
		.amdhsa_exception_fp_denorm_src 0
		.amdhsa_exception_fp_ieee_div_zero 0
		.amdhsa_exception_fp_ieee_overflow 0
		.amdhsa_exception_fp_ieee_underflow 0
		.amdhsa_exception_fp_ieee_inexact 0
		.amdhsa_exception_int_div_zero 0
	.end_amdhsa_kernel
	.section	.text._ZL8moe_q6_KIN3c108BFloat16ELb1EEvPKvS3_PT_PKiS7_S7_iiiiiii,"axG",@progbits,_ZL8moe_q6_KIN3c108BFloat16ELb1EEvPKvS3_PT_PKiS7_S7_iiiiiii,comdat
.Lfunc_end236:
	.size	_ZL8moe_q6_KIN3c108BFloat16ELb1EEvPKvS3_PT_PKiS7_S7_iiiiiii, .Lfunc_end236-_ZL8moe_q6_KIN3c108BFloat16ELb1EEvPKvS3_PT_PKiS7_S7_iiiiiii
                                        ; -- End function
	.section	.AMDGPU.csdata,"",@progbits
; Kernel info:
; codeLenInByte = 12564
; NumSgprs: 33
; NumVgprs: 167
; NumAgprs: 0
; TotalNumVgprs: 167
; ScratchSize: 0
; MemoryBound: 0
; FloatMode: 240
; IeeeMode: 1
; LDSByteSize: 37072 bytes/workgroup (compile time only)
; SGPRBlocks: 4
; VGPRBlocks: 20
; NumSGPRsForWavesPerEU: 33
; NumVGPRsForWavesPerEU: 167
; AccumOffset: 168
; Occupancy: 1
; WaveLimiterHint : 1
; COMPUTE_PGM_RSRC2:SCRATCH_EN: 0
; COMPUTE_PGM_RSRC2:USER_SGPR: 6
; COMPUTE_PGM_RSRC2:TRAP_HANDLER: 0
; COMPUTE_PGM_RSRC2:TGID_X_EN: 1
; COMPUTE_PGM_RSRC2:TGID_Y_EN: 1
; COMPUTE_PGM_RSRC2:TGID_Z_EN: 0
; COMPUTE_PGM_RSRC2:TIDIG_COMP_CNT: 1
; COMPUTE_PGM_RSRC3_GFX90A:ACCUM_OFFSET: 41
; COMPUTE_PGM_RSRC3_GFX90A:TG_SPLIT: 0
	.section	.text._ZL9moe_vec_qIfLi32ELi4E10block_q4_0Li2EXadL_ZL17vec_dot_q4_0_q8_1PKvPK10block_q8_1RKiEEEvS2_S2_PT_PS6_iiii,"axG",@progbits,_ZL9moe_vec_qIfLi32ELi4E10block_q4_0Li2EXadL_ZL17vec_dot_q4_0_q8_1PKvPK10block_q8_1RKiEEEvS2_S2_PT_PS6_iiii,comdat
	.globl	_ZL9moe_vec_qIfLi32ELi4E10block_q4_0Li2EXadL_ZL17vec_dot_q4_0_q8_1PKvPK10block_q8_1RKiEEEvS2_S2_PT_PS6_iiii ; -- Begin function _ZL9moe_vec_qIfLi32ELi4E10block_q4_0Li2EXadL_ZL17vec_dot_q4_0_q8_1PKvPK10block_q8_1RKiEEEvS2_S2_PT_PS6_iiii
	.p2align	8
	.type	_ZL9moe_vec_qIfLi32ELi4E10block_q4_0Li2EXadL_ZL17vec_dot_q4_0_q8_1PKvPK10block_q8_1RKiEEEvS2_S2_PT_PS6_iiii,@function
_ZL9moe_vec_qIfLi32ELi4E10block_q4_0Li2EXadL_ZL17vec_dot_q4_0_q8_1PKvPK10block_q8_1RKiEEEvS2_S2_PT_PS6_iiii: ; @_ZL9moe_vec_qIfLi32ELi4E10block_q4_0Li2EXadL_ZL17vec_dot_q4_0_q8_1PKvPK10block_q8_1RKiEEEvS2_S2_PT_PS6_iiii
; %bb.0:
	s_mov_b32 s8, s7
	s_load_dword s7, s[4:5], 0x3c
	s_load_dwordx4 s[0:3], s[4:5], 0x20
	v_bfe_u32 v1, v0, 10, 10
	s_waitcnt lgkmcnt(0)
	s_lshr_b32 s7, s7, 16
	s_mul_i32 s6, s6, s7
	v_add_u32_e32 v1, s6, v1
	v_cmp_gt_u32_e32 vcc, s2, v1
	s_and_saveexec_b64 s[6:7], vcc
	s_cbranch_execz .LBB237_7
; %bb.1:
	v_cvt_f32_u32_e32 v2, s0
	v_and_b32_e32 v4, 0x3ff, v0
	s_load_dwordx2 s[6:7], s[4:5], 0x10
	s_ashr_i32 s9, s1, 31
	v_rcp_iflag_f32_e32 v2, v2
	s_lshr_b32 s9, s9, 27
	s_add_i32 s1, s1, s9
	v_lshrrev_b32_e32 v5, 1, v4
	v_mul_f32_e32 v0, 0x4f7ffffe, v2
	v_cvt_u32_f32_e32 v0, v0
	s_ashr_i32 s14, s1, 5
	v_cmp_gt_u32_e32 vcc, s14, v5
	v_mov_b32_e32 v6, 0
	v_readfirstlane_b32 s1, v0
	s_and_saveexec_b64 s[10:11], vcc
	s_cbranch_execz .LBB237_5
; %bb.2:
	s_sub_i32 s12, 0, s0
	s_mul_i32 s15, s12, s1
	s_load_dwordx4 s[16:19], s[4:5], 0x0
	s_load_dwordx2 s[12:13], s[4:5], 0x18
	s_mov_b32 s9, 0
	s_mul_hi_u32 s4, s1, s15
	s_add_i32 s1, s1, s4
	s_lshl_b64 s[4:5], s[8:9], 2
	s_waitcnt lgkmcnt(0)
	s_add_u32 s4, s12, s4
	s_mul_hi_u32 s1, s8, s1
	s_addc_u32 s5, s13, s5
	s_load_dword s4, s[4:5], 0x0
	s_mul_i32 s5, s1, s0
	s_sub_i32 s5, s8, s5
	s_add_i32 s12, s1, 1
	s_sub_i32 s13, s5, s0
	s_cmp_ge_u32 s5, s0
	s_cselect_b32 s1, s12, s1
	s_cselect_b32 s5, s13, s5
	s_add_i32 s12, s1, 1
	s_cmp_ge_u32 s5, s0
	s_mul_i32 s0, s14, s2
	s_waitcnt lgkmcnt(0)
	s_mul_i32 s0, s0, s4
	s_cselect_b32 s5, s12, s1
	s_mul_hi_i32 s1, s0, 18
	s_mul_i32 s0, s0, 18
	s_add_u32 s0, s16, s0
	s_mul_i32 s4, s5, s3
	s_mov_b32 s5, s9
	s_addc_u32 s1, s17, s1
	s_lshl_b64 s[4:5], s[4:5], 2
	s_add_u32 s4, s18, s4
	v_lshlrev_b32_e32 v0, 3, v4
	s_addc_u32 s5, s19, s5
	v_mul_lo_u32 v7, v1, s14
	v_and_b32_e32 v0, 8, v0
	v_mov_b32_e32 v6, 0
	s_mov_b64 s[12:13], 0
	v_mov_b32_e32 v3, 4.0
.LBB237_3:                              ; =>This Inner Loop Header: Depth=1
	v_mad_i64_i32 v[8:9], s[16:17], v5, 36, s[4:5]
	v_add_u32_e32 v2, v7, v5
	v_add_co_u32_e32 v12, vcc, v8, v0
	v_mad_i64_i32 v[10:11], s[16:17], v2, 18, s[0:1]
	v_addc_co_u32_e32 v13, vcc, 0, v9, vcc
	v_add_co_u32_e32 v14, vcc, v10, v0
	v_addc_co_u32_e32 v15, vcc, 0, v11, vcc
	global_load_dwordx2 v[16:17], v[12:13], off offset:4
	global_load_dwordx2 v[18:19], v[12:13], off offset:20
	global_load_dword v2, v[14:15], off offset:2
	global_load_dword v20, v[14:15], off offset:6
	global_load_dword v21, v[8:9], off
	global_load_ushort v22, v[10:11], off
	v_mov_b32_e32 v10, 0
	v_add_u32_e32 v5, 32, v5
	v_cmp_le_u32_e32 vcc, s14, v5
	s_or_b64 s[12:13], vcc, s[12:13]
	s_waitcnt vmcnt(3)
	v_and_b32_e32 v11, 0xf0f0f0f, v2
	v_lshrrev_b32_e32 v2, 4, v2
	v_and_b32_e32 v2, 0xf0f0f0f, v2
	v_dot4c_i32_i8_e32 v10, v11, v16
	s_waitcnt vmcnt(2)
	v_and_b32_e32 v12, 0xf0f0f0f, v20
	v_lshrrev_b32_e32 v13, 4, v20
	v_dot4c_i32_i8_e32 v10, v2, v18
	v_and_b32_e32 v11, 0xf0f0f0f, v13
	v_dot4c_i32_i8_e32 v10, v12, v17
	v_dot4c_i32_i8_e32 v10, v11, v19
	s_waitcnt vmcnt(1)
	v_cvt_f32_f16_e32 v8, v21
	v_cvt_f32_f16_sdwa v9, v21 dst_sel:DWORD dst_unused:UNUSED_PAD src0_sel:WORD_1
	v_cvt_f32_i32_e32 v2, v10
	v_pk_mul_f32 v[8:9], v[2:3], v[8:9]
	v_sub_f32_e32 v2, v8, v9
	s_waitcnt vmcnt(0)
	v_fma_mix_f32 v6, v2, v22, v6 op_sel_hi:[0,1,0]
	s_andn2_b64 exec, exec, s[12:13]
	s_cbranch_execnz .LBB237_3
; %bb.4:
	s_or_b64 exec, exec, s[12:13]
.LBB237_5:
	s_or_b64 exec, exec, s[10:11]
	v_mbcnt_lo_u32_b32 v0, -1, 0
	v_mbcnt_hi_u32_b32 v2, -1, v0
	v_and_b32_e32 v0, 64, v2
	v_add_u32_e32 v3, 64, v0
	v_xor_b32_e32 v0, 32, v2
	v_cmp_lt_i32_e32 vcc, v0, v3
	v_cndmask_b32_e32 v0, v2, v0, vcc
	v_lshlrev_b32_e32 v0, 2, v0
	ds_bpermute_b32 v0, v0, v6
	v_xor_b32_e32 v5, 16, v2
	v_cmp_lt_i32_e32 vcc, v5, v3
	v_cndmask_b32_e32 v5, v2, v5, vcc
	v_lshlrev_b32_e32 v5, 2, v5
	s_waitcnt lgkmcnt(0)
	v_add_f32_e32 v0, v6, v0
	ds_bpermute_b32 v5, v5, v0
	v_xor_b32_e32 v6, 8, v2
	v_cmp_lt_i32_e32 vcc, v6, v3
	s_waitcnt lgkmcnt(0)
	v_add_f32_e32 v0, v0, v5
	v_cndmask_b32_e32 v5, v2, v6, vcc
	v_lshlrev_b32_e32 v5, 2, v5
	ds_bpermute_b32 v5, v5, v0
	v_xor_b32_e32 v6, 4, v2
	v_cmp_lt_i32_e32 vcc, v6, v3
	s_waitcnt lgkmcnt(0)
	v_add_f32_e32 v0, v0, v5
	v_cndmask_b32_e32 v5, v2, v6, vcc
	v_lshlrev_b32_e32 v5, 2, v5
	ds_bpermute_b32 v5, v5, v0
	v_xor_b32_e32 v6, 2, v2
	v_cmp_lt_i32_e32 vcc, v6, v3
	s_waitcnt lgkmcnt(0)
	v_add_f32_e32 v0, v0, v5
	v_cndmask_b32_e32 v5, v2, v6, vcc
	v_lshlrev_b32_e32 v5, 2, v5
	ds_bpermute_b32 v5, v5, v0
	v_xor_b32_e32 v6, 1, v2
	v_cmp_lt_i32_e32 vcc, v6, v3
	v_cndmask_b32_e32 v2, v2, v6, vcc
	v_lshlrev_b32_e32 v2, 2, v2
	s_waitcnt lgkmcnt(0)
	v_add_f32_e32 v0, v0, v5
	ds_bpermute_b32 v2, v2, v0
	v_cmp_eq_u32_e32 vcc, 0, v4
	s_and_b64 exec, exec, vcc
	s_cbranch_execz .LBB237_7
; %bb.6:
	s_mul_i32 s0, s8, s2
	s_waitcnt lgkmcnt(0)
	v_add_f32_e32 v2, v0, v2
	v_add_u32_e32 v0, s0, v1
	v_mov_b32_e32 v1, 0
	v_lshlrev_b64 v[0:1], 2, v[0:1]
	v_mov_b32_e32 v3, s7
	v_add_co_u32_e32 v0, vcc, s6, v0
	v_addc_co_u32_e32 v1, vcc, v3, v1, vcc
	global_store_dword v[0:1], v2, off
.LBB237_7:
	s_endpgm
	.section	.rodata,"a",@progbits
	.p2align	6, 0x0
	.amdhsa_kernel _ZL9moe_vec_qIfLi32ELi4E10block_q4_0Li2EXadL_ZL17vec_dot_q4_0_q8_1PKvPK10block_q8_1RKiEEEvS2_S2_PT_PS6_iiii
		.amdhsa_group_segment_fixed_size 0
		.amdhsa_private_segment_fixed_size 0
		.amdhsa_kernarg_size 304
		.amdhsa_user_sgpr_count 6
		.amdhsa_user_sgpr_private_segment_buffer 1
		.amdhsa_user_sgpr_dispatch_ptr 0
		.amdhsa_user_sgpr_queue_ptr 0
		.amdhsa_user_sgpr_kernarg_segment_ptr 1
		.amdhsa_user_sgpr_dispatch_id 0
		.amdhsa_user_sgpr_flat_scratch_init 0
		.amdhsa_user_sgpr_kernarg_preload_length 0
		.amdhsa_user_sgpr_kernarg_preload_offset 0
		.amdhsa_user_sgpr_private_segment_size 0
		.amdhsa_uses_dynamic_stack 0
		.amdhsa_system_sgpr_private_segment_wavefront_offset 0
		.amdhsa_system_sgpr_workgroup_id_x 1
		.amdhsa_system_sgpr_workgroup_id_y 0
		.amdhsa_system_sgpr_workgroup_id_z 1
		.amdhsa_system_sgpr_workgroup_info 0
		.amdhsa_system_vgpr_workitem_id 1
		.amdhsa_next_free_vgpr 23
		.amdhsa_next_free_sgpr 20
		.amdhsa_accum_offset 24
		.amdhsa_reserve_vcc 1
		.amdhsa_reserve_flat_scratch 0
		.amdhsa_float_round_mode_32 0
		.amdhsa_float_round_mode_16_64 0
		.amdhsa_float_denorm_mode_32 3
		.amdhsa_float_denorm_mode_16_64 3
		.amdhsa_dx10_clamp 1
		.amdhsa_ieee_mode 1
		.amdhsa_fp16_overflow 0
		.amdhsa_tg_split 0
		.amdhsa_exception_fp_ieee_invalid_op 0
		.amdhsa_exception_fp_denorm_src 0
		.amdhsa_exception_fp_ieee_div_zero 0
		.amdhsa_exception_fp_ieee_overflow 0
		.amdhsa_exception_fp_ieee_underflow 0
		.amdhsa_exception_fp_ieee_inexact 0
		.amdhsa_exception_int_div_zero 0
	.end_amdhsa_kernel
	.section	.text._ZL9moe_vec_qIfLi32ELi4E10block_q4_0Li2EXadL_ZL17vec_dot_q4_0_q8_1PKvPK10block_q8_1RKiEEEvS2_S2_PT_PS6_iiii,"axG",@progbits,_ZL9moe_vec_qIfLi32ELi4E10block_q4_0Li2EXadL_ZL17vec_dot_q4_0_q8_1PKvPK10block_q8_1RKiEEEvS2_S2_PT_PS6_iiii,comdat
.Lfunc_end237:
	.size	_ZL9moe_vec_qIfLi32ELi4E10block_q4_0Li2EXadL_ZL17vec_dot_q4_0_q8_1PKvPK10block_q8_1RKiEEEvS2_S2_PT_PS6_iiii, .Lfunc_end237-_ZL9moe_vec_qIfLi32ELi4E10block_q4_0Li2EXadL_ZL17vec_dot_q4_0_q8_1PKvPK10block_q8_1RKiEEEvS2_S2_PT_PS6_iiii
                                        ; -- End function
	.section	.AMDGPU.csdata,"",@progbits
; Kernel info:
; codeLenInByte = 808
; NumSgprs: 24
; NumVgprs: 23
; NumAgprs: 0
; TotalNumVgprs: 23
; ScratchSize: 0
; MemoryBound: 0
; FloatMode: 240
; IeeeMode: 1
; LDSByteSize: 0 bytes/workgroup (compile time only)
; SGPRBlocks: 2
; VGPRBlocks: 2
; NumSGPRsForWavesPerEU: 24
; NumVGPRsForWavesPerEU: 23
; AccumOffset: 24
; Occupancy: 8
; WaveLimiterHint : 1
; COMPUTE_PGM_RSRC2:SCRATCH_EN: 0
; COMPUTE_PGM_RSRC2:USER_SGPR: 6
; COMPUTE_PGM_RSRC2:TRAP_HANDLER: 0
; COMPUTE_PGM_RSRC2:TGID_X_EN: 1
; COMPUTE_PGM_RSRC2:TGID_Y_EN: 0
; COMPUTE_PGM_RSRC2:TGID_Z_EN: 1
; COMPUTE_PGM_RSRC2:TIDIG_COMP_CNT: 1
; COMPUTE_PGM_RSRC3_GFX90A:ACCUM_OFFSET: 5
; COMPUTE_PGM_RSRC3_GFX90A:TG_SPLIT: 0
	.section	.text._ZL9moe_vec_qIfLi32ELi4E10block_q4_1Li2EXadL_ZL17vec_dot_q4_1_q8_1PKvPK10block_q8_1RKiEEEvS2_S2_PT_PS6_iiii,"axG",@progbits,_ZL9moe_vec_qIfLi32ELi4E10block_q4_1Li2EXadL_ZL17vec_dot_q4_1_q8_1PKvPK10block_q8_1RKiEEEvS2_S2_PT_PS6_iiii,comdat
	.globl	_ZL9moe_vec_qIfLi32ELi4E10block_q4_1Li2EXadL_ZL17vec_dot_q4_1_q8_1PKvPK10block_q8_1RKiEEEvS2_S2_PT_PS6_iiii ; -- Begin function _ZL9moe_vec_qIfLi32ELi4E10block_q4_1Li2EXadL_ZL17vec_dot_q4_1_q8_1PKvPK10block_q8_1RKiEEEvS2_S2_PT_PS6_iiii
	.p2align	8
	.type	_ZL9moe_vec_qIfLi32ELi4E10block_q4_1Li2EXadL_ZL17vec_dot_q4_1_q8_1PKvPK10block_q8_1RKiEEEvS2_S2_PT_PS6_iiii,@function
_ZL9moe_vec_qIfLi32ELi4E10block_q4_1Li2EXadL_ZL17vec_dot_q4_1_q8_1PKvPK10block_q8_1RKiEEEvS2_S2_PT_PS6_iiii: ; @_ZL9moe_vec_qIfLi32ELi4E10block_q4_1Li2EXadL_ZL17vec_dot_q4_1_q8_1PKvPK10block_q8_1RKiEEEvS2_S2_PT_PS6_iiii
; %bb.0:
	s_mov_b32 s8, s7
	s_load_dword s7, s[4:5], 0x3c
	s_load_dwordx4 s[0:3], s[4:5], 0x20
	v_bfe_u32 v1, v0, 10, 10
	s_waitcnt lgkmcnt(0)
	s_lshr_b32 s7, s7, 16
	s_mul_i32 s6, s6, s7
	v_add_u32_e32 v1, s6, v1
	v_cmp_gt_u32_e32 vcc, s2, v1
	s_and_saveexec_b64 s[6:7], vcc
	s_cbranch_execz .LBB238_7
; %bb.1:
	v_cvt_f32_u32_e32 v2, s0
	s_load_dwordx2 s[6:7], s[4:5], 0x10
	s_ashr_i32 s9, s1, 31
	s_lshr_b32 s9, s9, 27
	v_rcp_iflag_f32_e32 v4, v2
	v_and_b32_e32 v2, 0x3ff, v0
	s_add_i32 s1, s1, s9
	v_lshrrev_b32_e32 v3, 1, v2
	v_mul_f32_e32 v0, 0x4f7ffffe, v4
	v_cvt_u32_f32_e32 v0, v0
	s_ashr_i32 s14, s1, 5
	v_cmp_gt_u32_e32 vcc, s14, v3
	v_mov_b32_e32 v4, 0
	v_readfirstlane_b32 s1, v0
	s_and_saveexec_b64 s[10:11], vcc
	s_cbranch_execz .LBB238_5
; %bb.2:
	s_sub_i32 s12, 0, s0
	s_mul_i32 s15, s12, s1
	s_load_dwordx4 s[16:19], s[4:5], 0x0
	s_load_dwordx2 s[12:13], s[4:5], 0x18
	s_mov_b32 s9, 0
	s_mul_hi_u32 s4, s1, s15
	s_add_i32 s1, s1, s4
	s_lshl_b64 s[4:5], s[8:9], 2
	s_waitcnt lgkmcnt(0)
	s_add_u32 s4, s12, s4
	s_mul_hi_u32 s1, s8, s1
	s_addc_u32 s5, s13, s5
	s_load_dword s4, s[4:5], 0x0
	s_mul_i32 s5, s1, s0
	s_sub_i32 s5, s8, s5
	s_add_i32 s12, s1, 1
	s_sub_i32 s13, s5, s0
	s_cmp_ge_u32 s5, s0
	s_cselect_b32 s1, s12, s1
	s_cselect_b32 s5, s13, s5
	s_add_i32 s12, s1, 1
	s_cmp_ge_u32 s5, s0
	s_mul_i32 s0, s14, s2
	s_waitcnt lgkmcnt(0)
	s_mul_i32 s0, s0, s4
	s_cselect_b32 s5, s12, s1
	s_mul_hi_i32 s1, s0, 20
	s_mul_i32 s0, s0, 20
	s_add_u32 s0, s16, s0
	s_mul_i32 s4, s5, s3
	s_mov_b32 s5, s9
	s_addc_u32 s1, s17, s1
	s_lshl_b64 s[4:5], s[4:5], 2
	s_add_u32 s4, s18, s4
	v_lshlrev_b32_e32 v0, 3, v2
	s_addc_u32 s5, s19, s5
	v_mul_lo_u32 v5, v1, s14
	v_and_b32_e32 v0, 8, v0
	v_mov_b32_e32 v4, 0
	s_mov_b64 s[12:13], 0
	s_mov_b32 s3, 0.5
.LBB238_3:                              ; =>This Inner Loop Header: Depth=1
	v_mad_i64_i32 v[6:7], s[16:17], v3, 36, s[4:5]
	v_add_u32_e32 v8, v5, v3
	v_add_co_u32_e32 v10, vcc, v6, v0
	v_mad_i64_i32 v[8:9], s[16:17], v8, 20, s[0:1]
	v_addc_co_u32_e32 v11, vcc, 0, v7, vcc
	global_load_dword v18, v[6:7], off
	v_add_co_u32_e32 v6, vcc, v8, v0
	v_addc_co_u32_e32 v7, vcc, 0, v9, vcc
	global_load_dwordx2 v[12:13], v[10:11], off offset:4
	global_load_dwordx2 v[14:15], v[10:11], off offset:20
	global_load_dwordx2 v[16:17], v[6:7], off offset:4
	global_load_dword v19, v[8:9], off
	v_mov_b32_e32 v6, 0
	v_add_u32_e32 v3, 32, v3
	v_cmp_le_u32_e32 vcc, s14, v3
	s_or_b64 s[12:13], vcc, s[12:13]
	s_waitcnt vmcnt(1)
	v_and_b32_e32 v8, 0xf0f0f0f, v16
	v_lshrrev_b32_e32 v9, 4, v16
	v_and_b32_e32 v9, 0xf0f0f0f, v9
	v_dot4c_i32_i8_e32 v6, v8, v12
	v_and_b32_e32 v10, 0xf0f0f0f, v17
	v_lshrrev_b32_e32 v11, 4, v17
	v_dot4c_i32_i8_e32 v6, v9, v14
	v_and_b32_e32 v8, 0xf0f0f0f, v11
	v_dot4c_i32_i8_e32 v6, v10, v13
	s_waitcnt vmcnt(0)
	v_pk_mul_f16 v7, v19, v18
	v_dot4c_i32_i8_e32 v6, v8, v15
	v_cvt_f32_f16_e32 v16, v7
	s_nop 1
	v_cvt_f32_i32_e32 v6, v6
	v_mul_f32_e32 v6, v6, v16
	v_fma_mix_f32 v6, v7, s3, v6 op_sel:[1,0,0] op_sel_hi:[1,0,0]
	v_add_f32_e32 v4, v4, v6
	s_andn2_b64 exec, exec, s[12:13]
	s_cbranch_execnz .LBB238_3
; %bb.4:
	s_or_b64 exec, exec, s[12:13]
.LBB238_5:
	s_or_b64 exec, exec, s[10:11]
	v_mbcnt_lo_u32_b32 v0, -1, 0
	v_mbcnt_hi_u32_b32 v3, -1, v0
	v_and_b32_e32 v0, 64, v3
	v_add_u32_e32 v5, 64, v0
	v_xor_b32_e32 v0, 32, v3
	v_cmp_lt_i32_e32 vcc, v0, v5
	v_cndmask_b32_e32 v0, v3, v0, vcc
	v_lshlrev_b32_e32 v0, 2, v0
	ds_bpermute_b32 v0, v0, v4
	v_xor_b32_e32 v6, 16, v3
	v_cmp_lt_i32_e32 vcc, v6, v5
	s_waitcnt lgkmcnt(0)
	v_add_f32_e32 v0, v4, v0
	v_cndmask_b32_e32 v4, v3, v6, vcc
	v_lshlrev_b32_e32 v4, 2, v4
	ds_bpermute_b32 v4, v4, v0
	v_xor_b32_e32 v6, 8, v3
	v_cmp_lt_i32_e32 vcc, v6, v5
	s_waitcnt lgkmcnt(0)
	v_add_f32_e32 v0, v0, v4
	;; [unrolled: 7-line block ×4, first 2 shown]
	v_cndmask_b32_e32 v4, v3, v6, vcc
	v_lshlrev_b32_e32 v4, 2, v4
	ds_bpermute_b32 v4, v4, v0
	v_xor_b32_e32 v6, 1, v3
	v_cmp_lt_i32_e32 vcc, v6, v5
	v_cndmask_b32_e32 v3, v3, v6, vcc
	v_lshlrev_b32_e32 v3, 2, v3
	s_waitcnt lgkmcnt(0)
	v_add_f32_e32 v0, v0, v4
	ds_bpermute_b32 v3, v3, v0
	v_cmp_eq_u32_e32 vcc, 0, v2
	s_and_b64 exec, exec, vcc
	s_cbranch_execz .LBB238_7
; %bb.6:
	s_mul_i32 s0, s8, s2
	s_waitcnt lgkmcnt(0)
	v_add_f32_e32 v2, v0, v3
	v_add_u32_e32 v0, s0, v1
	v_mov_b32_e32 v1, 0
	v_lshlrev_b64 v[0:1], 2, v[0:1]
	v_mov_b32_e32 v3, s7
	v_add_co_u32_e32 v0, vcc, s6, v0
	v_addc_co_u32_e32 v1, vcc, v3, v1, vcc
	global_store_dword v[0:1], v2, off
.LBB238_7:
	s_endpgm
	.section	.rodata,"a",@progbits
	.p2align	6, 0x0
	.amdhsa_kernel _ZL9moe_vec_qIfLi32ELi4E10block_q4_1Li2EXadL_ZL17vec_dot_q4_1_q8_1PKvPK10block_q8_1RKiEEEvS2_S2_PT_PS6_iiii
		.amdhsa_group_segment_fixed_size 0
		.amdhsa_private_segment_fixed_size 0
		.amdhsa_kernarg_size 304
		.amdhsa_user_sgpr_count 6
		.amdhsa_user_sgpr_private_segment_buffer 1
		.amdhsa_user_sgpr_dispatch_ptr 0
		.amdhsa_user_sgpr_queue_ptr 0
		.amdhsa_user_sgpr_kernarg_segment_ptr 1
		.amdhsa_user_sgpr_dispatch_id 0
		.amdhsa_user_sgpr_flat_scratch_init 0
		.amdhsa_user_sgpr_kernarg_preload_length 0
		.amdhsa_user_sgpr_kernarg_preload_offset 0
		.amdhsa_user_sgpr_private_segment_size 0
		.amdhsa_uses_dynamic_stack 0
		.amdhsa_system_sgpr_private_segment_wavefront_offset 0
		.amdhsa_system_sgpr_workgroup_id_x 1
		.amdhsa_system_sgpr_workgroup_id_y 0
		.amdhsa_system_sgpr_workgroup_id_z 1
		.amdhsa_system_sgpr_workgroup_info 0
		.amdhsa_system_vgpr_workitem_id 1
		.amdhsa_next_free_vgpr 20
		.amdhsa_next_free_sgpr 20
		.amdhsa_accum_offset 20
		.amdhsa_reserve_vcc 1
		.amdhsa_reserve_flat_scratch 0
		.amdhsa_float_round_mode_32 0
		.amdhsa_float_round_mode_16_64 0
		.amdhsa_float_denorm_mode_32 3
		.amdhsa_float_denorm_mode_16_64 3
		.amdhsa_dx10_clamp 1
		.amdhsa_ieee_mode 1
		.amdhsa_fp16_overflow 0
		.amdhsa_tg_split 0
		.amdhsa_exception_fp_ieee_invalid_op 0
		.amdhsa_exception_fp_denorm_src 0
		.amdhsa_exception_fp_ieee_div_zero 0
		.amdhsa_exception_fp_ieee_overflow 0
		.amdhsa_exception_fp_ieee_underflow 0
		.amdhsa_exception_fp_ieee_inexact 0
		.amdhsa_exception_int_div_zero 0
	.end_amdhsa_kernel
	.section	.text._ZL9moe_vec_qIfLi32ELi4E10block_q4_1Li2EXadL_ZL17vec_dot_q4_1_q8_1PKvPK10block_q8_1RKiEEEvS2_S2_PT_PS6_iiii,"axG",@progbits,_ZL9moe_vec_qIfLi32ELi4E10block_q4_1Li2EXadL_ZL17vec_dot_q4_1_q8_1PKvPK10block_q8_1RKiEEEvS2_S2_PT_PS6_iiii,comdat
.Lfunc_end238:
	.size	_ZL9moe_vec_qIfLi32ELi4E10block_q4_1Li2EXadL_ZL17vec_dot_q4_1_q8_1PKvPK10block_q8_1RKiEEEvS2_S2_PT_PS6_iiii, .Lfunc_end238-_ZL9moe_vec_qIfLi32ELi4E10block_q4_1Li2EXadL_ZL17vec_dot_q4_1_q8_1PKvPK10block_q8_1RKiEEEvS2_S2_PT_PS6_iiii
                                        ; -- End function
	.section	.AMDGPU.csdata,"",@progbits
; Kernel info:
; codeLenInByte = 792
; NumSgprs: 24
; NumVgprs: 20
; NumAgprs: 0
; TotalNumVgprs: 20
; ScratchSize: 0
; MemoryBound: 0
; FloatMode: 240
; IeeeMode: 1
; LDSByteSize: 0 bytes/workgroup (compile time only)
; SGPRBlocks: 2
; VGPRBlocks: 2
; NumSGPRsForWavesPerEU: 24
; NumVGPRsForWavesPerEU: 20
; AccumOffset: 20
; Occupancy: 8
; WaveLimiterHint : 1
; COMPUTE_PGM_RSRC2:SCRATCH_EN: 0
; COMPUTE_PGM_RSRC2:USER_SGPR: 6
; COMPUTE_PGM_RSRC2:TRAP_HANDLER: 0
; COMPUTE_PGM_RSRC2:TGID_X_EN: 1
; COMPUTE_PGM_RSRC2:TGID_Y_EN: 0
; COMPUTE_PGM_RSRC2:TGID_Z_EN: 1
; COMPUTE_PGM_RSRC2:TIDIG_COMP_CNT: 1
; COMPUTE_PGM_RSRC3_GFX90A:ACCUM_OFFSET: 4
; COMPUTE_PGM_RSRC3_GFX90A:TG_SPLIT: 0
	.section	.text._ZL9moe_vec_qIfLi32ELi4E10block_q5_0Li2EXadL_ZL17vec_dot_q5_0_q8_1PKvPK10block_q8_1RKiEEEvS2_S2_PT_PS6_iiii,"axG",@progbits,_ZL9moe_vec_qIfLi32ELi4E10block_q5_0Li2EXadL_ZL17vec_dot_q5_0_q8_1PKvPK10block_q8_1RKiEEEvS2_S2_PT_PS6_iiii,comdat
	.globl	_ZL9moe_vec_qIfLi32ELi4E10block_q5_0Li2EXadL_ZL17vec_dot_q5_0_q8_1PKvPK10block_q8_1RKiEEEvS2_S2_PT_PS6_iiii ; -- Begin function _ZL9moe_vec_qIfLi32ELi4E10block_q5_0Li2EXadL_ZL17vec_dot_q5_0_q8_1PKvPK10block_q8_1RKiEEEvS2_S2_PT_PS6_iiii
	.p2align	8
	.type	_ZL9moe_vec_qIfLi32ELi4E10block_q5_0Li2EXadL_ZL17vec_dot_q5_0_q8_1PKvPK10block_q8_1RKiEEEvS2_S2_PT_PS6_iiii,@function
_ZL9moe_vec_qIfLi32ELi4E10block_q5_0Li2EXadL_ZL17vec_dot_q5_0_q8_1PKvPK10block_q8_1RKiEEEvS2_S2_PT_PS6_iiii: ; @_ZL9moe_vec_qIfLi32ELi4E10block_q5_0Li2EXadL_ZL17vec_dot_q5_0_q8_1PKvPK10block_q8_1RKiEEEvS2_S2_PT_PS6_iiii
; %bb.0:
	s_mov_b32 s8, s7
	s_load_dword s7, s[4:5], 0x3c
	s_load_dwordx4 s[0:3], s[4:5], 0x20
	v_bfe_u32 v1, v0, 10, 10
	s_waitcnt lgkmcnt(0)
	s_lshr_b32 s7, s7, 16
	s_mul_i32 s6, s6, s7
	v_add_u32_e32 v1, s6, v1
	v_cmp_gt_u32_e32 vcc, s2, v1
	s_and_saveexec_b64 s[6:7], vcc
	s_cbranch_execz .LBB239_7
; %bb.1:
	v_cvt_f32_u32_e32 v2, s0
	v_and_b32_e32 v4, 0x3ff, v0
	s_load_dwordx2 s[6:7], s[4:5], 0x10
	s_ashr_i32 s9, s1, 31
	v_rcp_iflag_f32_e32 v2, v2
	s_lshr_b32 s9, s9, 27
	s_add_i32 s1, s1, s9
	v_lshrrev_b32_e32 v5, 1, v4
	v_mul_f32_e32 v0, 0x4f7ffffe, v2
	v_cvt_u32_f32_e32 v0, v0
	s_ashr_i32 s14, s1, 5
	v_cmp_gt_u32_e32 vcc, s14, v5
	v_mov_b32_e32 v6, 0
	v_readfirstlane_b32 s1, v0
	s_and_saveexec_b64 s[10:11], vcc
	s_cbranch_execz .LBB239_5
; %bb.2:
	s_sub_i32 s12, 0, s0
	s_mul_i32 s15, s12, s1
	s_load_dwordx4 s[16:19], s[4:5], 0x0
	s_load_dwordx2 s[12:13], s[4:5], 0x18
	s_mov_b32 s9, 0
	s_mul_hi_u32 s4, s1, s15
	s_add_i32 s1, s1, s4
	s_lshl_b64 s[4:5], s[8:9], 2
	s_waitcnt lgkmcnt(0)
	s_add_u32 s4, s12, s4
	s_mul_hi_u32 s1, s8, s1
	s_addc_u32 s5, s13, s5
	s_load_dword s4, s[4:5], 0x0
	s_mul_i32 s5, s1, s0
	s_sub_i32 s5, s8, s5
	s_add_i32 s12, s1, 1
	s_sub_i32 s13, s5, s0
	s_cmp_ge_u32 s5, s0
	s_cselect_b32 s1, s12, s1
	s_cselect_b32 s5, s13, s5
	s_add_i32 s12, s1, 1
	s_cmp_ge_u32 s5, s0
	s_mul_i32 s0, s14, s2
	s_waitcnt lgkmcnt(0)
	s_mul_i32 s0, s0, s4
	s_cselect_b32 s5, s12, s1
	s_mul_hi_i32 s1, s0, 22
	s_mul_i32 s0, s0, 22
	s_add_u32 s0, s16, s0
	s_mul_i32 s4, s5, s3
	s_mov_b32 s5, s9
	s_addc_u32 s1, s17, s1
	s_lshl_b64 s[4:5], s[4:5], 2
	v_lshlrev_b32_e32 v0, 3, v4
	s_add_u32 s4, s18, s4
	v_and_b32_e32 v0, 8, v0
	s_addc_u32 s5, s19, s5
	v_mul_lo_u32 v7, v1, s14
	v_mov_b32_e32 v6, 0
	v_or_b32_e32 v8, 4, v0
	s_mov_b64 s[12:13], 0
	s_mov_b32 s3, 0x1000706
	v_mov_b32_e32 v3, 0x41000000
.LBB239_3:                              ; =>This Inner Loop Header: Depth=1
	v_add_u32_e32 v2, v7, v5
	v_mad_i64_i32 v[10:11], s[16:17], v5, 36, s[4:5]
	v_mad_i64_i32 v[12:13], s[16:17], v2, 22, s[0:1]
	v_add_co_u32_e32 v14, vcc, v10, v0
	v_addc_co_u32_e32 v15, vcc, 0, v11, vcc
	global_load_dword v9, v[12:13], off
	global_load_ushort v2, v[12:13], off offset:4
	v_add_co_u32_e32 v12, vcc, v12, v0
	v_addc_co_u32_e32 v13, vcc, 0, v13, vcc
	global_load_dwordx2 v[16:17], v[14:15], off offset:4
	global_load_dwordx2 v[18:19], v[14:15], off offset:20
	global_load_dword v20, v[12:13], off offset:6
	global_load_dword v21, v[12:13], off offset:10
	global_load_dword v22, v[10:11], off
	v_mov_b32_e32 v12, 0
	v_add_u32_e32 v5, 32, v5
	v_cmp_le_u32_e32 vcc, s14, v5
	s_or_b64 s[12:13], vcc, s[12:13]
	s_waitcnt vmcnt(5)
	v_perm_b32 v2, v9, v2, s3
	v_ashrrev_i32_e32 v13, v0, v2
	v_lshlrev_b32_e32 v23, 11, v13
	v_ashrrev_i32_e32 v2, v8, v2
	s_waitcnt vmcnt(2)
	v_and_b32_e32 v14, 0xf0f0f0f, v20
	s_waitcnt vmcnt(0)
	v_cvt_f32_f16_e32 v10, v22
	v_cvt_f32_f16_sdwa v11, v22 dst_sel:DWORD dst_unused:UNUSED_PAD src0_sel:WORD_1
	v_lshlrev_b32_e32 v22, 4, v13
	v_lshlrev_b32_e32 v24, 18, v13
	;; [unrolled: 1-line block ×3, first 2 shown]
	v_lshrrev_b32_e32 v26, 12, v13
	v_lshrrev_b32_e32 v27, 5, v13
	v_lshlrev_b32_e32 v28, 2, v13
	v_and_b32_e32 v22, 16, v22
	v_and_b32_e32 v23, 0x1000, v23
	v_lshrrev_b32_e32 v15, 4, v20
	v_lshlrev_b32_e32 v13, 9, v13
	v_lshlrev_b32_e32 v29, 4, v2
	;; [unrolled: 1-line block ×4, first 2 shown]
	v_and_b32_e32 v24, 0x100000, v24
	v_and_b32_e32 v25, 0x10000000, v25
	;; [unrolled: 1-line block ×5, first 2 shown]
	v_or3_b32 v14, v22, v14, v23
	v_and_b32_e32 v15, 0xf0f0f0f, v15
	v_lshlrev_b32_e32 v32, 25, v2
	v_lshrrev_b32_e32 v33, 12, v2
	v_lshrrev_b32_e32 v34, 5, v2
	v_lshlrev_b32_e32 v35, 2, v2
	v_and_b32_e32 v13, 0x10000000, v13
	v_and_b32_e32 v29, 16, v29
	;; [unrolled: 1-line block ×4, first 2 shown]
	v_or3_b32 v22, v27, v26, v28
	v_or3_b32 v14, v14, v24, v25
	v_and_b32_e32 v20, 0xf0f0f0f, v21
	v_lshrrev_b32_e32 v21, 4, v21
	v_lshlrev_b32_e32 v2, 9, v2
	v_and_b32_e32 v32, 0x10000000, v32
	v_and_b32_e32 v33, 16, v33
	;; [unrolled: 1-line block ×4, first 2 shown]
	v_or3_b32 v23, v30, v29, v31
	v_or3_b32 v13, v22, v13, v15
	v_dot4c_i32_i8_e32 v12, v14, v16
	v_and_b32_e32 v21, 0xf0f0f0f, v21
	v_and_b32_e32 v2, 0x10000000, v2
	v_or3_b32 v26, v34, v33, v35
	v_or3_b32 v15, v23, v32, v20
	v_dot4c_i32_i8_e32 v12, v13, v18
	v_or3_b32 v2, v26, v2, v21
	v_dot4c_i32_i8_e32 v12, v15, v17
	v_dot4c_i32_i8_e32 v12, v2, v19
	s_nop 2
	v_cvt_f32_i32_e32 v2, v12
	v_pk_mul_f32 v[10:11], v[2:3], v[10:11]
	v_sub_f32_e32 v2, v10, v11
	v_fma_mix_f32 v6, v2, v9, v6 op_sel_hi:[0,1,0]
	s_andn2_b64 exec, exec, s[12:13]
	s_cbranch_execnz .LBB239_3
; %bb.4:
	s_or_b64 exec, exec, s[12:13]
.LBB239_5:
	s_or_b64 exec, exec, s[10:11]
	v_mbcnt_lo_u32_b32 v0, -1, 0
	v_mbcnt_hi_u32_b32 v2, -1, v0
	v_and_b32_e32 v0, 64, v2
	v_add_u32_e32 v3, 64, v0
	v_xor_b32_e32 v0, 32, v2
	v_cmp_lt_i32_e32 vcc, v0, v3
	v_cndmask_b32_e32 v0, v2, v0, vcc
	v_lshlrev_b32_e32 v0, 2, v0
	ds_bpermute_b32 v0, v0, v6
	v_xor_b32_e32 v5, 16, v2
	v_cmp_lt_i32_e32 vcc, v5, v3
	v_cndmask_b32_e32 v5, v2, v5, vcc
	v_lshlrev_b32_e32 v5, 2, v5
	s_waitcnt lgkmcnt(0)
	v_add_f32_e32 v0, v6, v0
	ds_bpermute_b32 v5, v5, v0
	v_xor_b32_e32 v6, 8, v2
	v_cmp_lt_i32_e32 vcc, v6, v3
	s_waitcnt lgkmcnt(0)
	v_add_f32_e32 v0, v0, v5
	v_cndmask_b32_e32 v5, v2, v6, vcc
	v_lshlrev_b32_e32 v5, 2, v5
	ds_bpermute_b32 v5, v5, v0
	v_xor_b32_e32 v6, 4, v2
	v_cmp_lt_i32_e32 vcc, v6, v3
	s_waitcnt lgkmcnt(0)
	v_add_f32_e32 v0, v0, v5
	v_cndmask_b32_e32 v5, v2, v6, vcc
	v_lshlrev_b32_e32 v5, 2, v5
	;; [unrolled: 7-line block ×3, first 2 shown]
	ds_bpermute_b32 v5, v5, v0
	v_xor_b32_e32 v6, 1, v2
	v_cmp_lt_i32_e32 vcc, v6, v3
	v_cndmask_b32_e32 v2, v2, v6, vcc
	v_lshlrev_b32_e32 v2, 2, v2
	s_waitcnt lgkmcnt(0)
	v_add_f32_e32 v0, v0, v5
	ds_bpermute_b32 v2, v2, v0
	v_cmp_eq_u32_e32 vcc, 0, v4
	s_and_b64 exec, exec, vcc
	s_cbranch_execz .LBB239_7
; %bb.6:
	s_mul_i32 s0, s8, s2
	s_waitcnt lgkmcnt(0)
	v_add_f32_e32 v2, v0, v2
	v_add_u32_e32 v0, s0, v1
	v_mov_b32_e32 v1, 0
	v_lshlrev_b64 v[0:1], 2, v[0:1]
	v_mov_b32_e32 v3, s7
	v_add_co_u32_e32 v0, vcc, s6, v0
	v_addc_co_u32_e32 v1, vcc, v3, v1, vcc
	global_store_dword v[0:1], v2, off
.LBB239_7:
	s_endpgm
	.section	.rodata,"a",@progbits
	.p2align	6, 0x0
	.amdhsa_kernel _ZL9moe_vec_qIfLi32ELi4E10block_q5_0Li2EXadL_ZL17vec_dot_q5_0_q8_1PKvPK10block_q8_1RKiEEEvS2_S2_PT_PS6_iiii
		.amdhsa_group_segment_fixed_size 0
		.amdhsa_private_segment_fixed_size 0
		.amdhsa_kernarg_size 304
		.amdhsa_user_sgpr_count 6
		.amdhsa_user_sgpr_private_segment_buffer 1
		.amdhsa_user_sgpr_dispatch_ptr 0
		.amdhsa_user_sgpr_queue_ptr 0
		.amdhsa_user_sgpr_kernarg_segment_ptr 1
		.amdhsa_user_sgpr_dispatch_id 0
		.amdhsa_user_sgpr_flat_scratch_init 0
		.amdhsa_user_sgpr_kernarg_preload_length 0
		.amdhsa_user_sgpr_kernarg_preload_offset 0
		.amdhsa_user_sgpr_private_segment_size 0
		.amdhsa_uses_dynamic_stack 0
		.amdhsa_system_sgpr_private_segment_wavefront_offset 0
		.amdhsa_system_sgpr_workgroup_id_x 1
		.amdhsa_system_sgpr_workgroup_id_y 0
		.amdhsa_system_sgpr_workgroup_id_z 1
		.amdhsa_system_sgpr_workgroup_info 0
		.amdhsa_system_vgpr_workitem_id 1
		.amdhsa_next_free_vgpr 36
		.amdhsa_next_free_sgpr 20
		.amdhsa_accum_offset 36
		.amdhsa_reserve_vcc 1
		.amdhsa_reserve_flat_scratch 0
		.amdhsa_float_round_mode_32 0
		.amdhsa_float_round_mode_16_64 0
		.amdhsa_float_denorm_mode_32 3
		.amdhsa_float_denorm_mode_16_64 3
		.amdhsa_dx10_clamp 1
		.amdhsa_ieee_mode 1
		.amdhsa_fp16_overflow 0
		.amdhsa_tg_split 0
		.amdhsa_exception_fp_ieee_invalid_op 0
		.amdhsa_exception_fp_denorm_src 0
		.amdhsa_exception_fp_ieee_div_zero 0
		.amdhsa_exception_fp_ieee_overflow 0
		.amdhsa_exception_fp_ieee_underflow 0
		.amdhsa_exception_fp_ieee_inexact 0
		.amdhsa_exception_int_div_zero 0
	.end_amdhsa_kernel
	.section	.text._ZL9moe_vec_qIfLi32ELi4E10block_q5_0Li2EXadL_ZL17vec_dot_q5_0_q8_1PKvPK10block_q8_1RKiEEEvS2_S2_PT_PS6_iiii,"axG",@progbits,_ZL9moe_vec_qIfLi32ELi4E10block_q5_0Li2EXadL_ZL17vec_dot_q5_0_q8_1PKvPK10block_q8_1RKiEEEvS2_S2_PT_PS6_iiii,comdat
.Lfunc_end239:
	.size	_ZL9moe_vec_qIfLi32ELi4E10block_q5_0Li2EXadL_ZL17vec_dot_q5_0_q8_1PKvPK10block_q8_1RKiEEEvS2_S2_PT_PS6_iiii, .Lfunc_end239-_ZL9moe_vec_qIfLi32ELi4E10block_q5_0Li2EXadL_ZL17vec_dot_q5_0_q8_1PKvPK10block_q8_1RKiEEEvS2_S2_PT_PS6_iiii
                                        ; -- End function
	.section	.AMDGPU.csdata,"",@progbits
; Kernel info:
; codeLenInByte = 1088
; NumSgprs: 24
; NumVgprs: 36
; NumAgprs: 0
; TotalNumVgprs: 36
; ScratchSize: 0
; MemoryBound: 0
; FloatMode: 240
; IeeeMode: 1
; LDSByteSize: 0 bytes/workgroup (compile time only)
; SGPRBlocks: 2
; VGPRBlocks: 4
; NumSGPRsForWavesPerEU: 24
; NumVGPRsForWavesPerEU: 36
; AccumOffset: 36
; Occupancy: 8
; WaveLimiterHint : 1
; COMPUTE_PGM_RSRC2:SCRATCH_EN: 0
; COMPUTE_PGM_RSRC2:USER_SGPR: 6
; COMPUTE_PGM_RSRC2:TRAP_HANDLER: 0
; COMPUTE_PGM_RSRC2:TGID_X_EN: 1
; COMPUTE_PGM_RSRC2:TGID_Y_EN: 0
; COMPUTE_PGM_RSRC2:TGID_Z_EN: 1
; COMPUTE_PGM_RSRC2:TIDIG_COMP_CNT: 1
; COMPUTE_PGM_RSRC3_GFX90A:ACCUM_OFFSET: 8
; COMPUTE_PGM_RSRC3_GFX90A:TG_SPLIT: 0
	.section	.text._ZL9moe_vec_qIfLi32ELi4E10block_q5_1Li2EXadL_ZL17vec_dot_q5_1_q8_1PKvPK10block_q8_1RKiEEEvS2_S2_PT_PS6_iiii,"axG",@progbits,_ZL9moe_vec_qIfLi32ELi4E10block_q5_1Li2EXadL_ZL17vec_dot_q5_1_q8_1PKvPK10block_q8_1RKiEEEvS2_S2_PT_PS6_iiii,comdat
	.globl	_ZL9moe_vec_qIfLi32ELi4E10block_q5_1Li2EXadL_ZL17vec_dot_q5_1_q8_1PKvPK10block_q8_1RKiEEEvS2_S2_PT_PS6_iiii ; -- Begin function _ZL9moe_vec_qIfLi32ELi4E10block_q5_1Li2EXadL_ZL17vec_dot_q5_1_q8_1PKvPK10block_q8_1RKiEEEvS2_S2_PT_PS6_iiii
	.p2align	8
	.type	_ZL9moe_vec_qIfLi32ELi4E10block_q5_1Li2EXadL_ZL17vec_dot_q5_1_q8_1PKvPK10block_q8_1RKiEEEvS2_S2_PT_PS6_iiii,@function
_ZL9moe_vec_qIfLi32ELi4E10block_q5_1Li2EXadL_ZL17vec_dot_q5_1_q8_1PKvPK10block_q8_1RKiEEEvS2_S2_PT_PS6_iiii: ; @_ZL9moe_vec_qIfLi32ELi4E10block_q5_1Li2EXadL_ZL17vec_dot_q5_1_q8_1PKvPK10block_q8_1RKiEEEvS2_S2_PT_PS6_iiii
; %bb.0:
	s_mov_b32 s8, s7
	s_load_dword s7, s[4:5], 0x3c
	s_load_dwordx4 s[0:3], s[4:5], 0x20
	v_bfe_u32 v1, v0, 10, 10
	s_waitcnt lgkmcnt(0)
	s_lshr_b32 s7, s7, 16
	s_mul_i32 s6, s6, s7
	v_add_u32_e32 v1, s6, v1
	v_cmp_gt_u32_e32 vcc, s2, v1
	s_and_saveexec_b64 s[6:7], vcc
	s_cbranch_execz .LBB240_7
; %bb.1:
	v_cvt_f32_u32_e32 v2, s0
	s_load_dwordx2 s[6:7], s[4:5], 0x10
	s_ashr_i32 s9, s1, 31
	s_lshr_b32 s9, s9, 27
	v_rcp_iflag_f32_e32 v4, v2
	v_and_b32_e32 v2, 0x3ff, v0
	s_add_i32 s1, s1, s9
	v_lshrrev_b32_e32 v3, 1, v2
	v_mul_f32_e32 v0, 0x4f7ffffe, v4
	v_cvt_u32_f32_e32 v0, v0
	s_ashr_i32 s14, s1, 5
	v_cmp_gt_u32_e32 vcc, s14, v3
	v_mov_b32_e32 v4, 0
	v_readfirstlane_b32 s1, v0
	s_and_saveexec_b64 s[10:11], vcc
	s_cbranch_execz .LBB240_5
; %bb.2:
	s_sub_i32 s12, 0, s0
	s_mul_i32 s15, s12, s1
	s_load_dwordx4 s[16:19], s[4:5], 0x0
	s_load_dwordx2 s[12:13], s[4:5], 0x18
	s_mov_b32 s9, 0
	s_mul_hi_u32 s4, s1, s15
	s_add_i32 s1, s1, s4
	s_lshl_b64 s[4:5], s[8:9], 2
	s_waitcnt lgkmcnt(0)
	s_add_u32 s4, s12, s4
	s_mul_hi_u32 s1, s8, s1
	s_addc_u32 s5, s13, s5
	s_load_dword s4, s[4:5], 0x0
	s_mul_i32 s5, s1, s0
	s_sub_i32 s5, s8, s5
	s_add_i32 s12, s1, 1
	s_sub_i32 s13, s5, s0
	s_cmp_ge_u32 s5, s0
	s_cselect_b32 s1, s12, s1
	s_cselect_b32 s5, s13, s5
	s_add_i32 s12, s1, 1
	s_cmp_ge_u32 s5, s0
	s_mul_i32 s0, s14, s2
	s_waitcnt lgkmcnt(0)
	s_mul_i32 s0, s0, s4
	s_cselect_b32 s5, s12, s1
	s_mul_hi_i32 s1, s0, 24
	s_mul_i32 s0, s0, 24
	s_add_u32 s0, s16, s0
	s_mul_i32 s4, s5, s3
	s_mov_b32 s5, s9
	s_addc_u32 s1, s17, s1
	s_lshl_b64 s[4:5], s[4:5], 2
	v_lshlrev_b32_e32 v0, 3, v2
	s_add_u32 s4, s18, s4
	v_and_b32_e32 v0, 8, v0
	s_addc_u32 s5, s19, s5
	v_mul_lo_u32 v5, v1, s14
	v_mov_b32_e32 v4, 0
	v_or_b32_e32 v6, 4, v0
	s_mov_b64 s[12:13], 0
	s_mov_b32 s3, 0.5
.LBB240_3:                              ; =>This Inner Loop Header: Depth=1
	v_add_u32_e32 v7, v5, v3
	v_mad_i64_i32 v[8:9], s[16:17], v3, 36, s[4:5]
	v_mad_i64_i32 v[10:11], s[16:17], v7, 24, s[0:1]
	v_add_co_u32_e32 v12, vcc, v8, v0
	v_addc_co_u32_e32 v13, vcc, 0, v9, vcc
	global_load_dwordx2 v[14:15], v[10:11], off
	v_add_co_u32_e32 v10, vcc, v10, v0
	v_addc_co_u32_e32 v11, vcc, 0, v11, vcc
	global_load_dwordx2 v[16:17], v[12:13], off offset:4
	global_load_dwordx2 v[18:19], v[12:13], off offset:20
	global_load_dwordx2 v[20:21], v[10:11], off offset:8
	global_load_dword v7, v[8:9], off
	v_mov_b32_e32 v8, 0
	v_add_u32_e32 v3, 32, v3
	v_cmp_le_u32_e32 vcc, s14, v3
	s_or_b64 s[12:13], vcc, s[12:13]
	s_waitcnt vmcnt(4)
	v_ashrrev_i32_e32 v9, v0, v15
	v_lshlrev_b32_e32 v12, 4, v9
	v_lshlrev_b32_e32 v13, 11, v9
	v_ashrrev_i32_e32 v10, v6, v15
	s_waitcnt vmcnt(1)
	v_and_b32_e32 v11, 0xf0f0f0f, v20
	s_waitcnt vmcnt(0)
	v_pk_mul_f16 v7, v14, v7
	v_lshlrev_b32_e32 v14, 18, v9
	v_lshlrev_b32_e32 v15, 25, v9
	v_lshrrev_b32_e32 v22, 12, v9
	v_lshrrev_b32_e32 v23, 5, v9
	v_lshlrev_b32_e32 v24, 2, v9
	v_and_b32_e32 v12, 16, v12
	v_and_b32_e32 v13, 0x1000, v13
	v_lshrrev_b32_e32 v20, 4, v20
	v_lshlrev_b32_e32 v9, 9, v9
	v_lshlrev_b32_e32 v26, 4, v10
	;; [unrolled: 1-line block ×4, first 2 shown]
	v_and_b32_e32 v14, 0x100000, v14
	v_and_b32_e32 v15, 0x10000000, v15
	;; [unrolled: 1-line block ×5, first 2 shown]
	v_or3_b32 v11, v12, v11, v13
	v_lshlrev_b32_e32 v29, 25, v10
	v_lshrrev_b32_e32 v30, 12, v10
	v_lshrrev_b32_e32 v31, 5, v10
	v_lshlrev_b32_e32 v32, 2, v10
	v_and_b32_e32 v20, 0xf0f0f0f, v20
	v_and_b32_e32 v9, 0x10000000, v9
	;; [unrolled: 1-line block ×5, first 2 shown]
	v_or3_b32 v12, v23, v22, v24
	v_or3_b32 v11, v11, v14, v15
	v_and_b32_e32 v25, 0xf0f0f0f, v21
	v_lshrrev_b32_e32 v21, 4, v21
	v_lshlrev_b32_e32 v10, 9, v10
	v_and_b32_e32 v29, 0x10000000, v29
	v_and_b32_e32 v30, 16, v30
	;; [unrolled: 1-line block ×4, first 2 shown]
	v_or3_b32 v13, v27, v26, v28
	v_or3_b32 v9, v12, v9, v20
	v_dot4c_i32_i8_e32 v8, v11, v16
	v_and_b32_e32 v21, 0xf0f0f0f, v21
	v_and_b32_e32 v10, 0x10000000, v10
	v_or3_b32 v22, v31, v30, v32
	v_or3_b32 v12, v13, v29, v25
	v_dot4c_i32_i8_e32 v8, v9, v18
	v_or3_b32 v10, v22, v10, v21
	v_dot4c_i32_i8_e32 v8, v12, v17
	v_dot4c_i32_i8_e32 v8, v10, v19
	v_cvt_f32_f16_e32 v33, v7
	s_nop 1
	v_cvt_f32_i32_e32 v8, v8
	v_mul_f32_e32 v8, v33, v8
	v_fma_mix_f32 v7, v7, s3, v8 op_sel:[1,0,0] op_sel_hi:[1,0,0]
	v_add_f32_e32 v4, v4, v7
	s_andn2_b64 exec, exec, s[12:13]
	s_cbranch_execnz .LBB240_3
; %bb.4:
	s_or_b64 exec, exec, s[12:13]
.LBB240_5:
	s_or_b64 exec, exec, s[10:11]
	v_mbcnt_lo_u32_b32 v0, -1, 0
	v_mbcnt_hi_u32_b32 v3, -1, v0
	v_and_b32_e32 v0, 64, v3
	v_add_u32_e32 v5, 64, v0
	v_xor_b32_e32 v0, 32, v3
	v_cmp_lt_i32_e32 vcc, v0, v5
	v_cndmask_b32_e32 v0, v3, v0, vcc
	v_lshlrev_b32_e32 v0, 2, v0
	ds_bpermute_b32 v0, v0, v4
	v_xor_b32_e32 v6, 16, v3
	v_cmp_lt_i32_e32 vcc, v6, v5
	s_waitcnt lgkmcnt(0)
	v_add_f32_e32 v0, v4, v0
	v_cndmask_b32_e32 v4, v3, v6, vcc
	v_lshlrev_b32_e32 v4, 2, v4
	ds_bpermute_b32 v4, v4, v0
	v_xor_b32_e32 v6, 8, v3
	v_cmp_lt_i32_e32 vcc, v6, v5
	s_waitcnt lgkmcnt(0)
	v_add_f32_e32 v0, v0, v4
	;; [unrolled: 7-line block ×4, first 2 shown]
	v_cndmask_b32_e32 v4, v3, v6, vcc
	v_lshlrev_b32_e32 v4, 2, v4
	ds_bpermute_b32 v4, v4, v0
	v_xor_b32_e32 v6, 1, v3
	v_cmp_lt_i32_e32 vcc, v6, v5
	v_cndmask_b32_e32 v3, v3, v6, vcc
	v_lshlrev_b32_e32 v3, 2, v3
	s_waitcnt lgkmcnt(0)
	v_add_f32_e32 v0, v0, v4
	ds_bpermute_b32 v3, v3, v0
	v_cmp_eq_u32_e32 vcc, 0, v2
	s_and_b64 exec, exec, vcc
	s_cbranch_execz .LBB240_7
; %bb.6:
	s_mul_i32 s0, s8, s2
	s_waitcnt lgkmcnt(0)
	v_add_f32_e32 v2, v0, v3
	v_add_u32_e32 v0, s0, v1
	v_mov_b32_e32 v1, 0
	v_lshlrev_b64 v[0:1], 2, v[0:1]
	v_mov_b32_e32 v3, s7
	v_add_co_u32_e32 v0, vcc, s6, v0
	v_addc_co_u32_e32 v1, vcc, v3, v1, vcc
	global_store_dword v[0:1], v2, off
.LBB240_7:
	s_endpgm
	.section	.rodata,"a",@progbits
	.p2align	6, 0x0
	.amdhsa_kernel _ZL9moe_vec_qIfLi32ELi4E10block_q5_1Li2EXadL_ZL17vec_dot_q5_1_q8_1PKvPK10block_q8_1RKiEEEvS2_S2_PT_PS6_iiii
		.amdhsa_group_segment_fixed_size 0
		.amdhsa_private_segment_fixed_size 0
		.amdhsa_kernarg_size 304
		.amdhsa_user_sgpr_count 6
		.amdhsa_user_sgpr_private_segment_buffer 1
		.amdhsa_user_sgpr_dispatch_ptr 0
		.amdhsa_user_sgpr_queue_ptr 0
		.amdhsa_user_sgpr_kernarg_segment_ptr 1
		.amdhsa_user_sgpr_dispatch_id 0
		.amdhsa_user_sgpr_flat_scratch_init 0
		.amdhsa_user_sgpr_kernarg_preload_length 0
		.amdhsa_user_sgpr_kernarg_preload_offset 0
		.amdhsa_user_sgpr_private_segment_size 0
		.amdhsa_uses_dynamic_stack 0
		.amdhsa_system_sgpr_private_segment_wavefront_offset 0
		.amdhsa_system_sgpr_workgroup_id_x 1
		.amdhsa_system_sgpr_workgroup_id_y 0
		.amdhsa_system_sgpr_workgroup_id_z 1
		.amdhsa_system_sgpr_workgroup_info 0
		.amdhsa_system_vgpr_workitem_id 1
		.amdhsa_next_free_vgpr 34
		.amdhsa_next_free_sgpr 20
		.amdhsa_accum_offset 36
		.amdhsa_reserve_vcc 1
		.amdhsa_reserve_flat_scratch 0
		.amdhsa_float_round_mode_32 0
		.amdhsa_float_round_mode_16_64 0
		.amdhsa_float_denorm_mode_32 3
		.amdhsa_float_denorm_mode_16_64 3
		.amdhsa_dx10_clamp 1
		.amdhsa_ieee_mode 1
		.amdhsa_fp16_overflow 0
		.amdhsa_tg_split 0
		.amdhsa_exception_fp_ieee_invalid_op 0
		.amdhsa_exception_fp_denorm_src 0
		.amdhsa_exception_fp_ieee_div_zero 0
		.amdhsa_exception_fp_ieee_overflow 0
		.amdhsa_exception_fp_ieee_underflow 0
		.amdhsa_exception_fp_ieee_inexact 0
		.amdhsa_exception_int_div_zero 0
	.end_amdhsa_kernel
	.section	.text._ZL9moe_vec_qIfLi32ELi4E10block_q5_1Li2EXadL_ZL17vec_dot_q5_1_q8_1PKvPK10block_q8_1RKiEEEvS2_S2_PT_PS6_iiii,"axG",@progbits,_ZL9moe_vec_qIfLi32ELi4E10block_q5_1Li2EXadL_ZL17vec_dot_q5_1_q8_1PKvPK10block_q8_1RKiEEEvS2_S2_PT_PS6_iiii,comdat
.Lfunc_end240:
	.size	_ZL9moe_vec_qIfLi32ELi4E10block_q5_1Li2EXadL_ZL17vec_dot_q5_1_q8_1PKvPK10block_q8_1RKiEEEvS2_S2_PT_PS6_iiii, .Lfunc_end240-_ZL9moe_vec_qIfLi32ELi4E10block_q5_1Li2EXadL_ZL17vec_dot_q5_1_q8_1PKvPK10block_q8_1RKiEEEvS2_S2_PT_PS6_iiii
                                        ; -- End function
	.section	.AMDGPU.csdata,"",@progbits
; Kernel info:
; codeLenInByte = 1048
; NumSgprs: 24
; NumVgprs: 34
; NumAgprs: 0
; TotalNumVgprs: 34
; ScratchSize: 0
; MemoryBound: 0
; FloatMode: 240
; IeeeMode: 1
; LDSByteSize: 0 bytes/workgroup (compile time only)
; SGPRBlocks: 2
; VGPRBlocks: 4
; NumSGPRsForWavesPerEU: 24
; NumVGPRsForWavesPerEU: 34
; AccumOffset: 36
; Occupancy: 8
; WaveLimiterHint : 1
; COMPUTE_PGM_RSRC2:SCRATCH_EN: 0
; COMPUTE_PGM_RSRC2:USER_SGPR: 6
; COMPUTE_PGM_RSRC2:TRAP_HANDLER: 0
; COMPUTE_PGM_RSRC2:TGID_X_EN: 1
; COMPUTE_PGM_RSRC2:TGID_Y_EN: 0
; COMPUTE_PGM_RSRC2:TGID_Z_EN: 1
; COMPUTE_PGM_RSRC2:TIDIG_COMP_CNT: 1
; COMPUTE_PGM_RSRC3_GFX90A:ACCUM_OFFSET: 8
; COMPUTE_PGM_RSRC3_GFX90A:TG_SPLIT: 0
	.section	.text._ZL9moe_vec_qIfLi32ELi8E10block_q8_0Li2EXadL_ZL17vec_dot_q8_0_q8_1PKvPK10block_q8_1RKiEEEvS2_S2_PT_PS6_iiii,"axG",@progbits,_ZL9moe_vec_qIfLi32ELi8E10block_q8_0Li2EXadL_ZL17vec_dot_q8_0_q8_1PKvPK10block_q8_1RKiEEEvS2_S2_PT_PS6_iiii,comdat
	.globl	_ZL9moe_vec_qIfLi32ELi8E10block_q8_0Li2EXadL_ZL17vec_dot_q8_0_q8_1PKvPK10block_q8_1RKiEEEvS2_S2_PT_PS6_iiii ; -- Begin function _ZL9moe_vec_qIfLi32ELi8E10block_q8_0Li2EXadL_ZL17vec_dot_q8_0_q8_1PKvPK10block_q8_1RKiEEEvS2_S2_PT_PS6_iiii
	.p2align	8
	.type	_ZL9moe_vec_qIfLi32ELi8E10block_q8_0Li2EXadL_ZL17vec_dot_q8_0_q8_1PKvPK10block_q8_1RKiEEEvS2_S2_PT_PS6_iiii,@function
_ZL9moe_vec_qIfLi32ELi8E10block_q8_0Li2EXadL_ZL17vec_dot_q8_0_q8_1PKvPK10block_q8_1RKiEEEvS2_S2_PT_PS6_iiii: ; @_ZL9moe_vec_qIfLi32ELi8E10block_q8_0Li2EXadL_ZL17vec_dot_q8_0_q8_1PKvPK10block_q8_1RKiEEEvS2_S2_PT_PS6_iiii
; %bb.0:
	s_mov_b32 s8, s7
	s_load_dword s7, s[4:5], 0x3c
	s_load_dwordx4 s[0:3], s[4:5], 0x20
	v_bfe_u32 v1, v0, 10, 10
	s_waitcnt lgkmcnt(0)
	s_lshr_b32 s7, s7, 16
	s_mul_i32 s6, s6, s7
	v_add_u32_e32 v1, s6, v1
	v_cmp_gt_u32_e32 vcc, s2, v1
	s_and_saveexec_b64 s[6:7], vcc
	s_cbranch_execz .LBB241_7
; %bb.1:
	v_cvt_f32_u32_e32 v2, s0
	s_load_dwordx2 s[6:7], s[4:5], 0x10
	s_ashr_i32 s9, s1, 31
	s_lshr_b32 s9, s9, 27
	v_rcp_iflag_f32_e32 v4, v2
	v_and_b32_e32 v2, 0x3ff, v0
	s_add_i32 s1, s1, s9
	v_lshrrev_b32_e32 v3, 2, v2
	v_mul_f32_e32 v0, 0x4f7ffffe, v4
	v_cvt_u32_f32_e32 v0, v0
	s_ashr_i32 s14, s1, 5
	v_cmp_gt_u32_e32 vcc, s14, v3
	v_mov_b32_e32 v4, 0
	v_readfirstlane_b32 s1, v0
	s_and_saveexec_b64 s[10:11], vcc
	s_cbranch_execz .LBB241_5
; %bb.2:
	s_sub_i32 s12, 0, s0
	s_mul_i32 s15, s12, s1
	s_load_dwordx4 s[16:19], s[4:5], 0x0
	s_load_dwordx2 s[12:13], s[4:5], 0x18
	s_mov_b32 s9, 0
	s_mul_hi_u32 s4, s1, s15
	s_add_i32 s1, s1, s4
	s_lshl_b64 s[4:5], s[8:9], 2
	s_waitcnt lgkmcnt(0)
	s_add_u32 s4, s12, s4
	s_mul_hi_u32 s1, s8, s1
	s_addc_u32 s5, s13, s5
	s_load_dword s4, s[4:5], 0x0
	s_mul_i32 s5, s1, s0
	s_sub_i32 s5, s8, s5
	s_add_i32 s12, s1, 1
	s_sub_i32 s13, s5, s0
	s_cmp_ge_u32 s5, s0
	s_cselect_b32 s1, s12, s1
	s_cselect_b32 s5, s13, s5
	s_add_i32 s12, s1, 1
	s_cmp_ge_u32 s5, s0
	s_mul_i32 s0, s14, s2
	s_waitcnt lgkmcnt(0)
	s_mul_i32 s0, s0, s4
	s_cselect_b32 s5, s12, s1
	s_mul_hi_i32 s1, s0, 34
	s_mul_i32 s0, s0, 34
	s_add_u32 s0, s16, s0
	s_mul_i32 s4, s5, s3
	s_mov_b32 s5, s9
	s_addc_u32 s1, s17, s1
	s_lshl_b64 s[4:5], s[4:5], 2
	s_add_u32 s4, s18, s4
	v_lshlrev_b32_e32 v0, 3, v2
	s_addc_u32 s5, s19, s5
	v_mul_lo_u32 v5, v1, s14
	v_and_b32_e32 v0, 24, v0
	v_mov_b32_e32 v4, 0
	s_mov_b64 s[12:13], 0
.LBB241_3:                              ; =>This Inner Loop Header: Depth=1
	v_mad_i64_i32 v[6:7], s[16:17], v3, 36, s[4:5]
	v_add_u32_e32 v8, v5, v3
	v_add_co_u32_e32 v10, vcc, v6, v0
	v_mad_i64_i32 v[8:9], s[16:17], v8, 34, s[0:1]
	v_addc_co_u32_e32 v11, vcc, 0, v7, vcc
	global_load_dword v16, v[6:7], off
	v_add_co_u32_e32 v6, vcc, v8, v0
	v_addc_co_u32_e32 v7, vcc, 0, v9, vcc
	global_load_dwordx2 v[12:13], v[10:11], off offset:4
	global_load_dwordx2 v[14:15], v[6:7], off offset:2
	global_load_ushort v17, v[8:9], off
	v_mov_b32_e32 v6, 0
	v_add_u32_e32 v3, 16, v3
	v_cmp_le_u32_e32 vcc, s14, v3
	s_or_b64 s[12:13], vcc, s[12:13]
	s_waitcnt vmcnt(3)
	v_cvt_f32_f16_e32 v7, v16
	s_waitcnt vmcnt(1)
	v_dot4c_i32_i8_e32 v6, v14, v12
	s_waitcnt vmcnt(0)
	v_cvt_f32_f16_e32 v8, v17
	v_dot4c_i32_i8_e32 v6, v15, v13
	v_mul_f32_e32 v7, v8, v7
	s_nop 1
	v_cvt_f32_i32_e32 v6, v6
	v_fmac_f32_e32 v4, v7, v6
	s_andn2_b64 exec, exec, s[12:13]
	s_cbranch_execnz .LBB241_3
; %bb.4:
	s_or_b64 exec, exec, s[12:13]
.LBB241_5:
	s_or_b64 exec, exec, s[10:11]
	v_mbcnt_lo_u32_b32 v0, -1, 0
	v_mbcnt_hi_u32_b32 v3, -1, v0
	v_and_b32_e32 v0, 64, v3
	v_add_u32_e32 v5, 64, v0
	v_xor_b32_e32 v0, 32, v3
	v_cmp_lt_i32_e32 vcc, v0, v5
	v_cndmask_b32_e32 v0, v3, v0, vcc
	v_lshlrev_b32_e32 v0, 2, v0
	ds_bpermute_b32 v0, v0, v4
	v_xor_b32_e32 v6, 16, v3
	v_cmp_lt_i32_e32 vcc, v6, v5
	s_waitcnt lgkmcnt(0)
	v_add_f32_e32 v0, v4, v0
	v_cndmask_b32_e32 v4, v3, v6, vcc
	v_lshlrev_b32_e32 v4, 2, v4
	ds_bpermute_b32 v4, v4, v0
	v_xor_b32_e32 v6, 8, v3
	v_cmp_lt_i32_e32 vcc, v6, v5
	s_waitcnt lgkmcnt(0)
	v_add_f32_e32 v0, v0, v4
	;; [unrolled: 7-line block ×4, first 2 shown]
	v_cndmask_b32_e32 v4, v3, v6, vcc
	v_lshlrev_b32_e32 v4, 2, v4
	ds_bpermute_b32 v4, v4, v0
	v_xor_b32_e32 v6, 1, v3
	v_cmp_lt_i32_e32 vcc, v6, v5
	v_cndmask_b32_e32 v3, v3, v6, vcc
	v_lshlrev_b32_e32 v3, 2, v3
	s_waitcnt lgkmcnt(0)
	v_add_f32_e32 v0, v0, v4
	ds_bpermute_b32 v3, v3, v0
	v_cmp_eq_u32_e32 vcc, 0, v2
	s_and_b64 exec, exec, vcc
	s_cbranch_execz .LBB241_7
; %bb.6:
	s_mul_i32 s0, s8, s2
	s_waitcnt lgkmcnt(0)
	v_add_f32_e32 v2, v0, v3
	v_add_u32_e32 v0, s0, v1
	v_mov_b32_e32 v1, 0
	v_lshlrev_b64 v[0:1], 2, v[0:1]
	v_mov_b32_e32 v3, s7
	v_add_co_u32_e32 v0, vcc, s6, v0
	v_addc_co_u32_e32 v1, vcc, v3, v1, vcc
	global_store_dword v[0:1], v2, off
.LBB241_7:
	s_endpgm
	.section	.rodata,"a",@progbits
	.p2align	6, 0x0
	.amdhsa_kernel _ZL9moe_vec_qIfLi32ELi8E10block_q8_0Li2EXadL_ZL17vec_dot_q8_0_q8_1PKvPK10block_q8_1RKiEEEvS2_S2_PT_PS6_iiii
		.amdhsa_group_segment_fixed_size 0
		.amdhsa_private_segment_fixed_size 0
		.amdhsa_kernarg_size 304
		.amdhsa_user_sgpr_count 6
		.amdhsa_user_sgpr_private_segment_buffer 1
		.amdhsa_user_sgpr_dispatch_ptr 0
		.amdhsa_user_sgpr_queue_ptr 0
		.amdhsa_user_sgpr_kernarg_segment_ptr 1
		.amdhsa_user_sgpr_dispatch_id 0
		.amdhsa_user_sgpr_flat_scratch_init 0
		.amdhsa_user_sgpr_kernarg_preload_length 0
		.amdhsa_user_sgpr_kernarg_preload_offset 0
		.amdhsa_user_sgpr_private_segment_size 0
		.amdhsa_uses_dynamic_stack 0
		.amdhsa_system_sgpr_private_segment_wavefront_offset 0
		.amdhsa_system_sgpr_workgroup_id_x 1
		.amdhsa_system_sgpr_workgroup_id_y 0
		.amdhsa_system_sgpr_workgroup_id_z 1
		.amdhsa_system_sgpr_workgroup_info 0
		.amdhsa_system_vgpr_workitem_id 1
		.amdhsa_next_free_vgpr 18
		.amdhsa_next_free_sgpr 20
		.amdhsa_accum_offset 20
		.amdhsa_reserve_vcc 1
		.amdhsa_reserve_flat_scratch 0
		.amdhsa_float_round_mode_32 0
		.amdhsa_float_round_mode_16_64 0
		.amdhsa_float_denorm_mode_32 3
		.amdhsa_float_denorm_mode_16_64 3
		.amdhsa_dx10_clamp 1
		.amdhsa_ieee_mode 1
		.amdhsa_fp16_overflow 0
		.amdhsa_tg_split 0
		.amdhsa_exception_fp_ieee_invalid_op 0
		.amdhsa_exception_fp_denorm_src 0
		.amdhsa_exception_fp_ieee_div_zero 0
		.amdhsa_exception_fp_ieee_overflow 0
		.amdhsa_exception_fp_ieee_underflow 0
		.amdhsa_exception_fp_ieee_inexact 0
		.amdhsa_exception_int_div_zero 0
	.end_amdhsa_kernel
	.section	.text._ZL9moe_vec_qIfLi32ELi8E10block_q8_0Li2EXadL_ZL17vec_dot_q8_0_q8_1PKvPK10block_q8_1RKiEEEvS2_S2_PT_PS6_iiii,"axG",@progbits,_ZL9moe_vec_qIfLi32ELi8E10block_q8_0Li2EXadL_ZL17vec_dot_q8_0_q8_1PKvPK10block_q8_1RKiEEEvS2_S2_PT_PS6_iiii,comdat
.Lfunc_end241:
	.size	_ZL9moe_vec_qIfLi32ELi8E10block_q8_0Li2EXadL_ZL17vec_dot_q8_0_q8_1PKvPK10block_q8_1RKiEEEvS2_S2_PT_PS6_iiii, .Lfunc_end241-_ZL9moe_vec_qIfLi32ELi8E10block_q8_0Li2EXadL_ZL17vec_dot_q8_0_q8_1PKvPK10block_q8_1RKiEEEvS2_S2_PT_PS6_iiii
                                        ; -- End function
	.section	.AMDGPU.csdata,"",@progbits
; Kernel info:
; codeLenInByte = 724
; NumSgprs: 24
; NumVgprs: 18
; NumAgprs: 0
; TotalNumVgprs: 18
; ScratchSize: 0
; MemoryBound: 0
; FloatMode: 240
; IeeeMode: 1
; LDSByteSize: 0 bytes/workgroup (compile time only)
; SGPRBlocks: 2
; VGPRBlocks: 2
; NumSGPRsForWavesPerEU: 24
; NumVGPRsForWavesPerEU: 18
; AccumOffset: 20
; Occupancy: 8
; WaveLimiterHint : 1
; COMPUTE_PGM_RSRC2:SCRATCH_EN: 0
; COMPUTE_PGM_RSRC2:USER_SGPR: 6
; COMPUTE_PGM_RSRC2:TRAP_HANDLER: 0
; COMPUTE_PGM_RSRC2:TGID_X_EN: 1
; COMPUTE_PGM_RSRC2:TGID_Y_EN: 0
; COMPUTE_PGM_RSRC2:TGID_Z_EN: 1
; COMPUTE_PGM_RSRC2:TIDIG_COMP_CNT: 1
; COMPUTE_PGM_RSRC3_GFX90A:ACCUM_OFFSET: 4
; COMPUTE_PGM_RSRC3_GFX90A:TG_SPLIT: 0
	.section	.text._ZL9moe_vec_qIfLi256ELi16E10block_q2_KLi1EXadL_ZL17vec_dot_q2_K_q8_1PKvPK10block_q8_1RKiEEEvS2_S2_PT_PS6_iiii,"axG",@progbits,_ZL9moe_vec_qIfLi256ELi16E10block_q2_KLi1EXadL_ZL17vec_dot_q2_K_q8_1PKvPK10block_q8_1RKiEEEvS2_S2_PT_PS6_iiii,comdat
	.globl	_ZL9moe_vec_qIfLi256ELi16E10block_q2_KLi1EXadL_ZL17vec_dot_q2_K_q8_1PKvPK10block_q8_1RKiEEEvS2_S2_PT_PS6_iiii ; -- Begin function _ZL9moe_vec_qIfLi256ELi16E10block_q2_KLi1EXadL_ZL17vec_dot_q2_K_q8_1PKvPK10block_q8_1RKiEEEvS2_S2_PT_PS6_iiii
	.p2align	8
	.type	_ZL9moe_vec_qIfLi256ELi16E10block_q2_KLi1EXadL_ZL17vec_dot_q2_K_q8_1PKvPK10block_q8_1RKiEEEvS2_S2_PT_PS6_iiii,@function
_ZL9moe_vec_qIfLi256ELi16E10block_q2_KLi1EXadL_ZL17vec_dot_q2_K_q8_1PKvPK10block_q8_1RKiEEEvS2_S2_PT_PS6_iiii: ; @_ZL9moe_vec_qIfLi256ELi16E10block_q2_KLi1EXadL_ZL17vec_dot_q2_K_q8_1PKvPK10block_q8_1RKiEEEvS2_S2_PT_PS6_iiii
; %bb.0:
	s_mov_b32 s8, s7
	s_load_dword s7, s[4:5], 0x3c
	s_load_dwordx4 s[0:3], s[4:5], 0x20
	v_bfe_u32 v1, v0, 10, 10
	s_waitcnt lgkmcnt(0)
	s_lshr_b32 s7, s7, 16
	s_mul_i32 s6, s6, s7
	v_add_u32_e32 v10, s6, v1
	v_cmp_gt_u32_e32 vcc, s2, v10
	s_and_saveexec_b64 s[6:7], vcc
	s_cbranch_execz .LBB242_7
; %bb.1:
	v_cvt_f32_u32_e32 v1, s0
	v_and_b32_e32 v11, 0x3ff, v0
	s_load_dwordx2 s[6:7], s[4:5], 0x10
	s_ashr_i32 s9, s1, 31
	v_rcp_iflag_f32_e32 v1, v1
	s_lshr_b32 s9, s9, 24
	s_add_i32 s1, s1, s9
	v_lshrrev_b32_e32 v12, 4, v11
	v_mul_f32_e32 v0, 0x4f7ffffe, v1
	v_cvt_u32_f32_e32 v0, v0
	s_ashr_i32 s12, s1, 8
	v_cmp_gt_u32_e32 vcc, s12, v12
	v_mov_b32_e32 v1, 0
	v_readfirstlane_b32 s1, v0
	s_and_saveexec_b64 s[10:11], vcc
	s_cbranch_execz .LBB242_5
; %bb.2:
	s_load_dwordx4 s[16:19], s[4:5], 0x0
	s_load_dwordx2 s[14:15], s[4:5], 0x18
	s_sub_i32 s13, 0, s0
	s_mul_i32 s13, s13, s1
	s_mov_b32 s9, 0
	s_mul_hi_u32 s4, s1, s13
	s_add_i32 s1, s1, s4
	s_lshl_b64 s[4:5], s[8:9], 2
	s_waitcnt lgkmcnt(0)
	s_add_u32 s4, s14, s4
	s_mul_hi_u32 s1, s8, s1
	s_addc_u32 s5, s15, s5
	s_load_dword s4, s[4:5], 0x0
	s_mul_i32 s5, s1, s0
	s_sub_i32 s5, s8, s5
	s_add_i32 s13, s1, 1
	s_sub_i32 s14, s5, s0
	s_cmp_ge_u32 s5, s0
	s_cselect_b32 s1, s13, s1
	s_cselect_b32 s5, s14, s5
	s_add_i32 s13, s1, 1
	s_cmp_ge_u32 s5, s0
	s_cselect_b32 s0, s13, s1
	s_mul_i32 s1, s12, s2
	s_waitcnt lgkmcnt(0)
	s_mul_i32 s1, s1, s4
	v_and_b32_e32 v3, 15, v11
	s_mul_hi_i32 s5, s1, 0x54
	s_mulk_i32 s1, 0x54
	v_cmp_lt_u32_e32 vcc, 7, v3
	s_add_u32 s14, s16, s1
	s_mul_i32 s0, s0, s3
	s_mov_b32 s1, s9
	v_cndmask_b32_e64 v0, 0, 1, vcc
	s_addc_u32 s15, s17, s5
	s_lshl_b64 s[0:1], s[0:1], 2
	v_lshlrev_b32_e32 v6, 2, v0
	v_add_u32_e32 v0, -8, v3
	v_cmp_gt_u32_e32 vcc, 8, v3
	s_add_u32 s0, s18, s0
	v_cndmask_b32_e32 v0, v0, v3, vcc
	s_addc_u32 s1, s19, s1
	v_lshlrev_b32_e32 v2, 2, v3
	v_mov_b32_e32 v1, 0
	v_sub_u32_e32 v3, v3, v0
	v_cmp_lt_u32_e32 vcc, 3, v0
	v_lshlrev_b64 v[4:5], 2, v[0:1]
	v_addc_co_u32_e32 v0, vcc, 0, v3, vcc
	v_mad_u64_u32 v[6:7], s[0:1], v6, 36, s[0:1]
	s_movk_i32 s4, 0x54
	v_mul_lo_u32 v13, v10, s12
	v_ashrrev_i32_e32 v3, 31, v0
	v_lshlrev_b32_e32 v14, 3, v12
	s_mov_b64 s[0:1], 0
	v_pk_mov_b32 v[8:9], s[14:15], s[14:15] op_sel:[0,1]
	s_movk_i32 s3, 0x48
	s_movk_i32 s5, 0x6c
	s_mov_b32 s9, 0x1010101
.LBB242_3:                              ; =>This Inner Loop Header: Depth=1
	v_mad_i64_i32 v[16:17], s[14:15], v14, 36, v[6:7]
	v_add_co_u32_e32 v20, vcc, v16, v4
	v_add_u32_e32 v15, v13, v12
	v_addc_co_u32_e32 v21, vcc, v17, v5, vcc
	v_mad_i64_i32 v[18:19], s[14:15], v15, s4, v[8:9]
	v_add_co_u32_e32 v15, vcc, 36, v16
	v_addc_co_u32_e32 v25, vcc, 0, v17, vcc
	v_add_co_u32_e32 v26, vcc, s3, v16
	v_addc_co_u32_e32 v27, vcc, 0, v17, vcc
	;; [unrolled: 2-line block ×6, first 2 shown]
	v_add_co_u32_e32 v28, vcc, v28, v4
	global_load_dword v32, v[16:17], off
	global_load_dword v33, v[16:17], off offset:36
	global_load_dword v34, v[16:17], off offset:72
	v_addc_co_u32_e32 v29, vcc, v29, v5, vcc
	v_add_co_u32_e32 v30, vcc, v18, v0
	v_addc_co_u32_e32 v31, vcc, v19, v3, vcc
	global_load_dword v15, v[20:21], off offset:4
	global_load_dword v35, v[24:25], off offset:4
	global_load_dword v36, v[26:27], off offset:4
	global_load_dword v37, v[28:29], off offset:4
	global_load_dword v38, v[16:17], off offset:108
	global_load_dword v39, v[22:23], off offset:16
	global_load_ubyte v40, v[30:31], off
	global_load_ubyte v41, v[30:31], off offset:2
	global_load_ubyte v42, v[30:31], off offset:4
	;; [unrolled: 1-line block ×3, first 2 shown]
	global_load_dword v44, v[18:19], off offset:80
	v_mov_b32_e32 v17, 0
	v_mov_b32_e32 v19, 0
	;; [unrolled: 1-line block ×8, first 2 shown]
	v_add_u32_e32 v12, 4, v12
	v_cmp_le_u32_e32 vcc, s12, v12
	v_add_u32_e32 v14, 32, v14
	s_or_b64 s[0:1], vcc, s[0:1]
	s_waitcnt vmcnt(13)
	v_cvt_f32_f16_e32 v16, v32
	s_waitcnt vmcnt(12)
	v_cvt_f32_f16_e32 v18, v33
	;; [unrolled: 2-line block ×4, first 2 shown]
	s_waitcnt vmcnt(5)
	v_and_b32_e32 v29, 0x3030303, v39
	s_waitcnt vmcnt(4)
	v_and_b32_e32 v31, 15, v40
	v_lshrrev_b32_e32 v32, 4, v40
	v_lshrrev_b32_e32 v33, 2, v39
	s_waitcnt vmcnt(3)
	v_lshrrev_b32_e32 v38, 4, v41
	v_lshrrev_b32_e32 v40, 4, v39
	;; [unrolled: 1-line block ×3, first 2 shown]
	v_and_b32_e32 v34, 15, v41
	s_waitcnt vmcnt(2)
	v_and_b32_e32 v41, 15, v42
	v_lshrrev_b32_e32 v42, 4, v42
	v_dot4c_i32_i8_e32 v17, v29, v15
	v_mul_lo_u32 v29, v32, s9
	v_and_b32_e32 v32, 0x3030303, v33
	v_mul_lo_u32 v33, v38, s9
	v_and_b32_e32 v38, 0x3030303, v40
	v_and_b32_e32 v39, 0x3030303, v39
	s_waitcnt vmcnt(1)
	v_and_b32_e32 v45, 15, v43
	v_lshrrev_b32_e32 v43, 4, v43
	v_mul_lo_u32 v40, v42, s9
	v_mul_lo_u32 v17, v31, v17
	v_dot4c_i32_i8_e32 v19, v29, v15
	v_dot4c_i32_i8_e32 v21, v32, v35
	;; [unrolled: 1-line block ×4, first 2 shown]
	v_mul_lo_u32 v42, v43, s9
	v_dot4c_i32_i8_e32 v23, v33, v35
	v_dot4c_i32_i8_e32 v28, v40, v36
	v_mul_lo_u32 v15, v34, v21
	v_mul_lo_u32 v21, v41, v26
	;; [unrolled: 1-line block ×3, first 2 shown]
	v_cvt_f32_i32_e32 v27, v19
	v_cvt_f32_i32_e32 v26, v17
	v_dot4c_i32_i8_e32 v30, v42, v37
	v_cvt_f32_i32_e32 v29, v23
	v_cvt_f32_i32_e32 v31, v28
	;; [unrolled: 1-line block ×6, first 2 shown]
	s_waitcnt vmcnt(0)
	v_cvt_f32_f16_e32 v24, v44
	v_cvt_f32_f16_sdwa v25, v44 dst_sel:DWORD dst_unused:UNUSED_PAD src0_sel:WORD_1
	v_pk_fma_f32 v[16:17], v[16:17], v[26:27], 0 op_sel_hi:[0,1,0]
	v_pk_fma_f32 v[16:17], v[18:19], v[28:29], v[16:17] op_sel_hi:[0,1,1]
	;; [unrolled: 1-line block ×4, first 2 shown]
	v_pk_mul_f32 v[16:17], v[16:17], v[24:25]
	v_sub_f32_e32 v15, v16, v17
	v_add_f32_e32 v1, v1, v15
	s_andn2_b64 exec, exec, s[0:1]
	s_cbranch_execnz .LBB242_3
; %bb.4:
	s_or_b64 exec, exec, s[0:1]
.LBB242_5:
	s_or_b64 exec, exec, s[10:11]
	v_mbcnt_lo_u32_b32 v0, -1, 0
	v_mbcnt_hi_u32_b32 v2, -1, v0
	v_and_b32_e32 v0, 64, v2
	v_add_u32_e32 v3, 64, v0
	v_xor_b32_e32 v0, 32, v2
	v_cmp_lt_i32_e32 vcc, v0, v3
	v_cndmask_b32_e32 v0, v2, v0, vcc
	v_lshlrev_b32_e32 v0, 2, v0
	ds_bpermute_b32 v0, v0, v1
	v_xor_b32_e32 v4, 16, v2
	v_cmp_lt_i32_e32 vcc, v4, v3
	s_waitcnt lgkmcnt(0)
	v_add_f32_e32 v0, v1, v0
	v_cndmask_b32_e32 v1, v2, v4, vcc
	v_lshlrev_b32_e32 v1, 2, v1
	ds_bpermute_b32 v1, v1, v0
	v_xor_b32_e32 v4, 8, v2
	v_cmp_lt_i32_e32 vcc, v4, v3
	s_waitcnt lgkmcnt(0)
	v_add_f32_e32 v0, v0, v1
	;; [unrolled: 7-line block ×5, first 2 shown]
	v_cndmask_b32_e32 v1, v2, v4, vcc
	v_lshlrev_b32_e32 v1, 2, v1
	ds_bpermute_b32 v1, v1, v0
	v_cmp_eq_u32_e32 vcc, 0, v11
	s_and_b64 exec, exec, vcc
	s_cbranch_execz .LBB242_7
; %bb.6:
	s_mul_i32 s0, s8, s2
	s_waitcnt lgkmcnt(0)
	v_add_f32_e32 v2, v0, v1
	v_add_u32_e32 v0, s0, v10
	v_mov_b32_e32 v1, 0
	v_lshlrev_b64 v[0:1], 2, v[0:1]
	v_mov_b32_e32 v3, s7
	v_add_co_u32_e32 v0, vcc, s6, v0
	v_addc_co_u32_e32 v1, vcc, v3, v1, vcc
	global_store_dword v[0:1], v2, off
.LBB242_7:
	s_endpgm
	.section	.rodata,"a",@progbits
	.p2align	6, 0x0
	.amdhsa_kernel _ZL9moe_vec_qIfLi256ELi16E10block_q2_KLi1EXadL_ZL17vec_dot_q2_K_q8_1PKvPK10block_q8_1RKiEEEvS2_S2_PT_PS6_iiii
		.amdhsa_group_segment_fixed_size 0
		.amdhsa_private_segment_fixed_size 0
		.amdhsa_kernarg_size 304
		.amdhsa_user_sgpr_count 6
		.amdhsa_user_sgpr_private_segment_buffer 1
		.amdhsa_user_sgpr_dispatch_ptr 0
		.amdhsa_user_sgpr_queue_ptr 0
		.amdhsa_user_sgpr_kernarg_segment_ptr 1
		.amdhsa_user_sgpr_dispatch_id 0
		.amdhsa_user_sgpr_flat_scratch_init 0
		.amdhsa_user_sgpr_kernarg_preload_length 0
		.amdhsa_user_sgpr_kernarg_preload_offset 0
		.amdhsa_user_sgpr_private_segment_size 0
		.amdhsa_uses_dynamic_stack 0
		.amdhsa_system_sgpr_private_segment_wavefront_offset 0
		.amdhsa_system_sgpr_workgroup_id_x 1
		.amdhsa_system_sgpr_workgroup_id_y 0
		.amdhsa_system_sgpr_workgroup_id_z 1
		.amdhsa_system_sgpr_workgroup_info 0
		.amdhsa_system_vgpr_workitem_id 1
		.amdhsa_next_free_vgpr 46
		.amdhsa_next_free_sgpr 20
		.amdhsa_accum_offset 48
		.amdhsa_reserve_vcc 1
		.amdhsa_reserve_flat_scratch 0
		.amdhsa_float_round_mode_32 0
		.amdhsa_float_round_mode_16_64 0
		.amdhsa_float_denorm_mode_32 3
		.amdhsa_float_denorm_mode_16_64 3
		.amdhsa_dx10_clamp 1
		.amdhsa_ieee_mode 1
		.amdhsa_fp16_overflow 0
		.amdhsa_tg_split 0
		.amdhsa_exception_fp_ieee_invalid_op 0
		.amdhsa_exception_fp_denorm_src 0
		.amdhsa_exception_fp_ieee_div_zero 0
		.amdhsa_exception_fp_ieee_overflow 0
		.amdhsa_exception_fp_ieee_underflow 0
		.amdhsa_exception_fp_ieee_inexact 0
		.amdhsa_exception_int_div_zero 0
	.end_amdhsa_kernel
	.section	.text._ZL9moe_vec_qIfLi256ELi16E10block_q2_KLi1EXadL_ZL17vec_dot_q2_K_q8_1PKvPK10block_q8_1RKiEEEvS2_S2_PT_PS6_iiii,"axG",@progbits,_ZL9moe_vec_qIfLi256ELi16E10block_q2_KLi1EXadL_ZL17vec_dot_q2_K_q8_1PKvPK10block_q8_1RKiEEEvS2_S2_PT_PS6_iiii,comdat
.Lfunc_end242:
	.size	_ZL9moe_vec_qIfLi256ELi16E10block_q2_KLi1EXadL_ZL17vec_dot_q2_K_q8_1PKvPK10block_q8_1RKiEEEvS2_S2_PT_PS6_iiii, .Lfunc_end242-_ZL9moe_vec_qIfLi256ELi16E10block_q2_KLi1EXadL_ZL17vec_dot_q2_K_q8_1PKvPK10block_q8_1RKiEEEvS2_S2_PT_PS6_iiii
                                        ; -- End function
	.section	.AMDGPU.csdata,"",@progbits
; Kernel info:
; codeLenInByte = 1264
; NumSgprs: 24
; NumVgprs: 46
; NumAgprs: 0
; TotalNumVgprs: 46
; ScratchSize: 0
; MemoryBound: 0
; FloatMode: 240
; IeeeMode: 1
; LDSByteSize: 0 bytes/workgroup (compile time only)
; SGPRBlocks: 2
; VGPRBlocks: 5
; NumSGPRsForWavesPerEU: 24
; NumVGPRsForWavesPerEU: 46
; AccumOffset: 48
; Occupancy: 8
; WaveLimiterHint : 1
; COMPUTE_PGM_RSRC2:SCRATCH_EN: 0
; COMPUTE_PGM_RSRC2:USER_SGPR: 6
; COMPUTE_PGM_RSRC2:TRAP_HANDLER: 0
; COMPUTE_PGM_RSRC2:TGID_X_EN: 1
; COMPUTE_PGM_RSRC2:TGID_Y_EN: 0
; COMPUTE_PGM_RSRC2:TGID_Z_EN: 1
; COMPUTE_PGM_RSRC2:TIDIG_COMP_CNT: 1
; COMPUTE_PGM_RSRC3_GFX90A:ACCUM_OFFSET: 11
; COMPUTE_PGM_RSRC3_GFX90A:TG_SPLIT: 0
	.section	.text._ZL9moe_vec_qIfLi256ELi16E10block_q3_KLi1EXadL_ZL17vec_dot_q3_K_q8_1PKvPK10block_q8_1RKiEEEvS2_S2_PT_PS6_iiii,"axG",@progbits,_ZL9moe_vec_qIfLi256ELi16E10block_q3_KLi1EXadL_ZL17vec_dot_q3_K_q8_1PKvPK10block_q8_1RKiEEEvS2_S2_PT_PS6_iiii,comdat
	.globl	_ZL9moe_vec_qIfLi256ELi16E10block_q3_KLi1EXadL_ZL17vec_dot_q3_K_q8_1PKvPK10block_q8_1RKiEEEvS2_S2_PT_PS6_iiii ; -- Begin function _ZL9moe_vec_qIfLi256ELi16E10block_q3_KLi1EXadL_ZL17vec_dot_q3_K_q8_1PKvPK10block_q8_1RKiEEEvS2_S2_PT_PS6_iiii
	.p2align	8
	.type	_ZL9moe_vec_qIfLi256ELi16E10block_q3_KLi1EXadL_ZL17vec_dot_q3_K_q8_1PKvPK10block_q8_1RKiEEEvS2_S2_PT_PS6_iiii,@function
_ZL9moe_vec_qIfLi256ELi16E10block_q3_KLi1EXadL_ZL17vec_dot_q3_K_q8_1PKvPK10block_q8_1RKiEEEvS2_S2_PT_PS6_iiii: ; @_ZL9moe_vec_qIfLi256ELi16E10block_q3_KLi1EXadL_ZL17vec_dot_q3_K_q8_1PKvPK10block_q8_1RKiEEEvS2_S2_PT_PS6_iiii
; %bb.0:
	s_mov_b32 s8, s7
	s_load_dword s7, s[4:5], 0x3c
	s_load_dwordx4 s[0:3], s[4:5], 0x20
	v_bfe_u32 v1, v0, 10, 10
	s_waitcnt lgkmcnt(0)
	s_lshr_b32 s7, s7, 16
	s_mul_i32 s6, s6, s7
	v_add_u32_e32 v26, s6, v1
	v_cmp_gt_u32_e32 vcc, s2, v26
	s_and_saveexec_b64 s[6:7], vcc
	s_cbranch_execz .LBB243_7
; %bb.1:
	v_cvt_f32_u32_e32 v1, s0
	v_and_b32_e32 v27, 0x3ff, v0
	s_load_dwordx2 s[6:7], s[4:5], 0x10
	s_ashr_i32 s9, s1, 31
	v_rcp_iflag_f32_e32 v1, v1
	s_lshr_b32 s9, s9, 24
	s_add_i32 s1, s1, s9
	v_lshrrev_b32_e32 v28, 4, v27
	v_mul_f32_e32 v0, 0x4f7ffffe, v1
	v_cvt_u32_f32_e32 v0, v0
	s_ashr_i32 s14, s1, 8
	v_cmp_gt_u32_e32 vcc, s14, v28
	v_mov_b32_e32 v1, 0
	v_readfirstlane_b32 s1, v0
	s_and_saveexec_b64 s[10:11], vcc
	s_cbranch_execz .LBB243_5
; %bb.2:
	s_sub_i32 s12, 0, s0
	v_and_b32_e32 v3, 15, v27
	s_mul_i32 s15, s12, s1
	s_load_dwordx4 s[16:19], s[4:5], 0x0
	s_load_dwordx2 s[12:13], s[4:5], 0x18
	v_cmp_lt_u32_e32 vcc, 7, v3
	v_cndmask_b32_e64 v0, 0, 1, vcc
	v_lshlrev_b32_e32 v30, 2, v0
	v_add_u32_e32 v0, -8, v3
	v_cmp_gt_u32_e32 vcc, 8, v3
	s_mov_b32 s9, 0
	s_mul_hi_u32 s4, s1, s15
	v_cndmask_b32_e32 v0, v0, v3, vcc
	s_add_i32 s1, s1, s4
	s_lshl_b64 s[4:5], s[8:9], 2
	v_lshlrev_b32_e32 v2, 2, v3
	v_sub_u32_e32 v3, v3, v0
	v_cmp_lt_u32_e32 vcc, 3, v0
	s_waitcnt lgkmcnt(0)
	s_add_u32 s4, s12, s4
	v_addc_co_u32_e32 v16, vcc, 0, v3, vcc
	s_mul_hi_u32 s1, s8, s1
	s_addc_u32 s5, s13, s5
	v_mov_b32_e32 v17, 7
	v_add_u16_e32 v10, 2, v16
	s_load_dword s4, s[4:5], 0x0
	s_mul_i32 s5, s1, s0
	v_mov_b32_e32 v18, 5
	v_mov_b32_e32 v21, 6
	v_lshrrev_b16_sdwa v11, v17, sext(v10) dst_sel:DWORD dst_unused:UNUSED_PAD src0_sel:DWORD src1_sel:BYTE_0
	s_sub_i32 s5, s8, s5
	v_lshrrev_b16_sdwa v8, v18, v11 dst_sel:DWORD dst_unused:UNUSED_PAD src0_sel:DWORD src1_sel:BYTE_0
	v_lshrrev_b16_sdwa v11, v21, v11 dst_sel:DWORD dst_unused:UNUSED_PAD src0_sel:DWORD src1_sel:BYTE_0
	s_add_i32 s12, s1, 1
	s_sub_i32 s13, s5, s0
	v_mov_b32_e32 v20, 2
	v_add_u16_e32 v11, v10, v11
	v_add_u16_e32 v14, 4, v16
	s_cmp_ge_u32 s5, s0
	v_mov_b32_e32 v22, 1
	v_ashrrev_i16_sdwa v12, v20, sext(v11) dst_sel:DWORD dst_unused:UNUSED_PAD src0_sel:DWORD src1_sel:BYTE_0
	v_lshrrev_b16_sdwa v15, v17, sext(v14) dst_sel:DWORD dst_unused:UNUSED_PAD src0_sel:DWORD src1_sel:BYTE_0
	s_cselect_b32 s1, s12, s1
	v_lshlrev_b32_sdwa v34, v22, sext(v12) dst_sel:DWORD dst_unused:UNUSED_PAD src0_sel:DWORD src1_sel:WORD_0
	v_lshrrev_b16_sdwa v12, v18, v15 dst_sel:DWORD dst_unused:UNUSED_PAD src0_sel:DWORD src1_sel:BYTE_0
	v_lshrrev_b16_sdwa v15, v21, v15 dst_sel:DWORD dst_unused:UNUSED_PAD src0_sel:DWORD src1_sel:BYTE_0
	s_cselect_b32 s5, s13, s5
	s_add_i32 s12, s1, 1
	v_mov_b32_e32 v1, 0
	v_lshrrev_b16_sdwa v6, v17, sext(v16) dst_sel:DWORD dst_unused:UNUSED_PAD src0_sel:DWORD src1_sel:BYTE_0
	v_add_u16_e32 v15, v14, v15
	s_cmp_ge_u32 s5, s0
	v_lshlrev_b64 v[4:5], 2, v[0:1]
	v_lshrrev_b16_sdwa v0, v18, v6 dst_sel:DWORD dst_unused:UNUSED_PAD src0_sel:DWORD src1_sel:BYTE_0
	v_lshrrev_b16_sdwa v6, v21, v6 dst_sel:DWORD dst_unused:UNUSED_PAD src0_sel:DWORD src1_sel:BYTE_0
	v_lshrrev_b16_sdwa v23, v20, sext(v15) dst_sel:DWORD dst_unused:UNUSED_PAD src0_sel:DWORD src1_sel:BYTE_0
	s_cselect_b32 s0, s12, s1
	s_mul_i32 s1, s14, s2
	v_add_u16_e32 v0, v16, v0
	v_mov_b32_e32 v19, 3
	v_add_u16_e32 v6, v16, v6
	v_lshlrev_b32_sdwa v36, v22, v23 dst_sel:DWORD dst_unused:UNUSED_PAD src0_sel:DWORD src1_sel:BYTE_0
	v_add_u16_e32 v23, 6, v16
	s_waitcnt lgkmcnt(0)
	s_mul_i32 s1, s1, s4
	v_lshrrev_b16_sdwa v3, v19, sext(v0) dst_sel:DWORD dst_unused:UNUSED_PAD src0_sel:DWORD src1_sel:BYTE_0
	v_and_b32_e32 v0, 0xf8, v0
	v_ashrrev_i16_sdwa v7, v20, sext(v6) dst_sel:DWORD dst_unused:UNUSED_PAD src0_sel:DWORD src1_sel:BYTE_0
	v_and_b32_e32 v6, 0xfc, v6
	v_lshrrev_b16_sdwa v24, v17, sext(v23) dst_sel:DWORD dst_unused:UNUSED_PAD src0_sel:DWORD src1_sel:BYTE_0
	s_mul_hi_i32 s5, s1, 0x6e
	s_mulk_i32 s1, 0x6e
	v_sub_u16_e32 v0, v16, v0
	v_sub_u16_e32 v6, v16, v6
	v_lshrrev_b16_sdwa v16, v18, v24 dst_sel:DWORD dst_unused:UNUSED_PAD src0_sel:DWORD src1_sel:BYTE_0
	v_lshrrev_b16_sdwa v18, v21, v24 dst_sel:DWORD dst_unused:UNUSED_PAD src0_sel:DWORD src1_sel:BYTE_0
	s_add_u32 s4, s16, s1
	s_mul_i32 s0, s0, s3
	s_mov_b32 s1, s9
	v_add_u16_e32 v8, v10, v8
	v_add_u16_e32 v12, v14, v12
	;; [unrolled: 1-line block ×4, first 2 shown]
	s_addc_u32 s5, s17, s5
	s_lshl_b64 s[0:1], s[0:1], 2
	v_lshrrev_b16_sdwa v9, v19, sext(v8) dst_sel:DWORD dst_unused:UNUSED_PAD src0_sel:DWORD src1_sel:BYTE_0
	v_and_b32_e32 v8, 0xf8, v8
	v_and_b32_e32 v11, 0xfc, v11
	v_lshrrev_b16_sdwa v13, v19, sext(v12) dst_sel:DWORD dst_unused:UNUSED_PAD src0_sel:DWORD src1_sel:BYTE_0
	v_and_b32_e32 v12, 0xf8, v12
	v_and_b32_e32 v15, 0xfc, v15
	v_lshrrev_b16_sdwa v17, v19, sext(v16) dst_sel:DWORD dst_unused:UNUSED_PAD src0_sel:DWORD src1_sel:BYTE_0
	v_and_b32_e32 v16, 0xf8, v16
	v_lshrrev_b16_sdwa v19, v20, sext(v18) dst_sel:DWORD dst_unused:UNUSED_PAD src0_sel:DWORD src1_sel:BYTE_0
	v_and_b32_e32 v18, 0xfc, v18
	s_add_u32 s0, s18, s0
	v_sub_u16_e32 v8, v10, v8
	v_sub_u16_e32 v10, v10, v11
	;; [unrolled: 1-line block ×6, first 2 shown]
	s_addc_u32 s1, s19, s1
	v_bfe_i32 v0, v0, 0, 8
	v_bfe_i32 v6, v6, 0, 8
	;; [unrolled: 1-line block ×8, first 2 shown]
	s_movk_i32 s15, 0x6e
	v_mul_lo_u32 v29, v26, s14
	v_lshlrev_b32_sdwa v31, v20, v3 dst_sel:DWORD dst_unused:UNUSED_PAD src0_sel:DWORD src1_sel:BYTE_0
	v_ashrrev_i32_e32 v3, 31, v0
	v_lshlrev_b32_sdwa v32, v22, sext(v7) dst_sel:DWORD dst_unused:UNUSED_PAD src0_sel:DWORD src1_sel:WORD_0
	v_ashrrev_i32_e32 v7, 31, v6
	v_lshlrev_b32_sdwa v33, v20, v9 dst_sel:DWORD dst_unused:UNUSED_PAD src0_sel:DWORD src1_sel:BYTE_0
	v_ashrrev_i32_e32 v9, 31, v8
	v_ashrrev_i32_e32 v11, 31, v10
	v_lshlrev_b32_sdwa v35, v20, v13 dst_sel:DWORD dst_unused:UNUSED_PAD src0_sel:DWORD src1_sel:BYTE_0
	v_ashrrev_i32_e32 v13, 31, v12
	;; [unrolled: 3-line block ×3, first 2 shown]
	v_lshlrev_b32_sdwa v38, v22, v19 dst_sel:DWORD dst_unused:UNUSED_PAD src0_sel:DWORD src1_sel:BYTE_0
	v_ashrrev_i32_e32 v19, 31, v18
	v_mad_u64_u32 v[20:21], s[0:1], v30, 36, s[0:1]
	v_lshlrev_b32_e32 v39, 3, v28
	s_mov_b64 s[12:13], 0
	s_movk_i32 s3, 0x48
	s_movk_i32 s9, 0x6c
.LBB243_3:                              ; =>This Inner Loop Header: Depth=1
	v_add_u32_e32 v40, v29, v28
	v_pk_mov_b32 v[24:25], s[4:5], s[4:5] op_sel:[0,1]
	v_mad_i64_i32 v[22:23], s[0:1], v39, 36, v[20:21]
	v_mad_i64_i32 v[24:25], s[0:1], v40, s15, v[24:25]
	v_add_co_u32_e32 v40, vcc, s3, v22
	v_addc_co_u32_e32 v41, vcc, 0, v23, vcc
	v_add_co_u32_e32 v42, vcc, s9, v22
	v_addc_co_u32_e32 v43, vcc, 0, v23, vcc
	;; [unrolled: 2-line block ×4, first 2 shown]
	global_load_dword v46, v[44:45], off
	v_add_co_u32_e32 v44, vcc, v24, v2
	v_add_co_u32_e64 v40, s[0:1], v40, v4
	v_addc_co_u32_e32 v45, vcc, 0, v25, vcc
	v_addc_co_u32_e64 v41, s[0:1], v41, v5, s[0:1]
	global_load_dword v47, v[44:45], off offset:32
	global_load_dword v48, v[40:41], off offset:4
	;; [unrolled: 1-line block ×3, first 2 shown]
	v_mov_b32_e32 v56, 0
	v_mov_b32_e32 v57, 0
	;; [unrolled: 1-line block ×4, first 2 shown]
	v_add_u32_e32 v28, 4, v28
	v_add_u32_e32 v39, 32, v39
	global_load_dword v58, v[22:23], off offset:108
	s_waitcnt vmcnt(4)
	v_ashrrev_i32_e32 v40, v30, v46
	v_not_b32_e32 v42, v40
	v_and_b32_e32 v43, 0x4040404, v42
	s_waitcnt vmcnt(3)
	v_lshrrev_b32_e32 v40, 4, v47
	v_and_b32_e32 v41, 0x3030303, v40
	v_bfe_u32 v40, v40, 24, 2
	v_sub_u16_sdwa v40, v40, v43 dst_sel:BYTE_1 dst_unused:UNUSED_PAD src0_sel:DWORD src1_sel:BYTE_3
	v_sub_u16_e32 v44, v41, v43
	v_sub_u16_sdwa v45, v41, v43 dst_sel:BYTE_1 dst_unused:UNUSED_PAD src0_sel:BYTE_1 src1_sel:BYTE_1
	v_sub_u16_sdwa v41, v41, v43 dst_sel:DWORD dst_unused:UNUSED_PAD src0_sel:WORD_1 src1_sel:WORD_1
	v_or_b32_sdwa v43, v44, v45 dst_sel:DWORD dst_unused:UNUSED_PAD src0_sel:BYTE_0 src1_sel:DWORD
	v_or_b32_sdwa v40, v41, v40 dst_sel:WORD_1 dst_unused:UNUSED_PAD src0_sel:BYTE_0 src1_sel:DWORD
	v_or_b32_sdwa v40, v43, v40 dst_sel:DWORD dst_unused:UNUSED_PAD src0_sel:WORD_0 src1_sel:DWORD
	s_waitcnt vmcnt(2)
	v_dot4c_i32_i8_e32 v56, v40, v48
	v_add_co_u32_e32 v40, vcc, v22, v4
	v_addc_co_u32_e32 v41, vcc, v23, v5, vcc
	global_load_dword v43, v[40:41], off offset:4
	v_add_co_u32_e32 v40, vcc, 36, v22
	v_addc_co_u32_e32 v41, vcc, 0, v23, vcc
	v_add_co_u32_e32 v40, vcc, v40, v4
	v_addc_co_u32_e32 v41, vcc, v41, v5, vcc
	global_load_dword v40, v[40:41], off offset:4
	v_lshlrev_b32_e32 v41, 2, v42
	v_and_b32_e32 v41, 0x4040404, v41
	v_bfe_u32 v44, v47, 24, 2
	v_and_b32_e32 v45, 0x3030303, v47
	v_sub_u16_sdwa v44, v44, v41 dst_sel:BYTE_1 dst_unused:UNUSED_PAD src0_sel:DWORD src1_sel:BYTE_3
	v_sub_u16_e32 v46, v45, v41
	v_sub_u16_sdwa v48, v45, v41 dst_sel:BYTE_1 dst_unused:UNUSED_PAD src0_sel:BYTE_1 src1_sel:BYTE_1
	v_sub_u16_sdwa v41, v45, v41 dst_sel:DWORD dst_unused:UNUSED_PAD src0_sel:WORD_1 src1_sel:WORD_1
	v_or_b32_sdwa v45, v46, v48 dst_sel:DWORD dst_unused:UNUSED_PAD src0_sel:BYTE_0 src1_sel:DWORD
	v_or_b32_sdwa v41, v41, v44 dst_sel:WORD_1 dst_unused:UNUSED_PAD src0_sel:BYTE_0 src1_sel:DWORD
	v_or_b32_sdwa v41, v45, v41 dst_sel:DWORD dst_unused:UNUSED_PAD src0_sel:WORD_0 src1_sel:DWORD
	v_lshlrev_b32_e32 v44, 1, v42
	v_and_b32_e32 v44, 0x4040404, v44
	v_lshrrev_b32_e32 v42, 1, v42
	v_and_b32_e32 v42, 0x4040404, v42
	s_waitcnt vmcnt(1)
	v_dot4c_i32_i8_e32 v57, v41, v43
	v_lshrrev_b32_e32 v41, 2, v47
	v_and_b32_e32 v43, 0x3030303, v41
	v_bfe_u32 v41, v41, 24, 2
	v_sub_u16_sdwa v41, v41, v44 dst_sel:BYTE_1 dst_unused:UNUSED_PAD src0_sel:DWORD src1_sel:BYTE_3
	v_sub_u16_e32 v45, v43, v44
	v_sub_u16_sdwa v46, v43, v44 dst_sel:BYTE_1 dst_unused:UNUSED_PAD src0_sel:BYTE_1 src1_sel:BYTE_1
	v_sub_u16_sdwa v43, v43, v44 dst_sel:DWORD dst_unused:UNUSED_PAD src0_sel:WORD_1 src1_sel:WORD_1
	v_or_b32_sdwa v44, v45, v46 dst_sel:DWORD dst_unused:UNUSED_PAD src0_sel:BYTE_0 src1_sel:DWORD
	v_or_b32_sdwa v41, v43, v41 dst_sel:WORD_1 dst_unused:UNUSED_PAD src0_sel:BYTE_0 src1_sel:DWORD
	v_or_b32_sdwa v41, v44, v41 dst_sel:DWORD dst_unused:UNUSED_PAD src0_sel:WORD_0 src1_sel:DWORD
	s_waitcnt vmcnt(0)
	v_dot4c_i32_i8_e32 v59, v41, v40
	v_lshrrev_b32_e32 v40, 6, v47
	v_lshrrev_b32_e32 v41, 30, v47
	v_and_b32_e32 v40, 0x3030303, v40
	v_sub_u16_sdwa v41, v41, v42 dst_sel:BYTE_1 dst_unused:UNUSED_PAD src0_sel:DWORD src1_sel:BYTE_3
	v_sub_u16_e32 v43, v40, v42
	v_sub_u16_sdwa v44, v40, v42 dst_sel:BYTE_1 dst_unused:UNUSED_PAD src0_sel:BYTE_1 src1_sel:BYTE_1
	v_sub_u16_sdwa v40, v40, v42 dst_sel:DWORD dst_unused:UNUSED_PAD src0_sel:WORD_1 src1_sel:WORD_1
	v_or_b32_sdwa v42, v43, v44 dst_sel:DWORD dst_unused:UNUSED_PAD src0_sel:BYTE_0 src1_sel:DWORD
	v_or_b32_sdwa v40, v40, v41 dst_sel:WORD_1 dst_unused:UNUSED_PAD src0_sel:BYTE_0 src1_sel:DWORD
	v_or_b32_sdwa v40, v42, v40 dst_sel:DWORD dst_unused:UNUSED_PAD src0_sel:WORD_0 src1_sel:DWORD
	v_dot4c_i32_i8_e32 v60, v40, v49
	v_add_co_u32_e32 v40, vcc, v24, v0
	v_addc_co_u32_e32 v41, vcc, v25, v3, vcc
	v_add_co_u32_e32 v42, vcc, v24, v6
	v_addc_co_u32_e32 v43, vcc, v25, v7, vcc
	;; [unrolled: 2-line block ×8, first 2 shown]
	global_load_ushort v61, v[24:25], off offset:108
	global_load_ubyte v62, v[40:41], off offset:96
	global_load_ubyte v63, v[42:43], off offset:104
                                        ; kill: killed $vgpr40 killed $vgpr41
                                        ; kill: killed $vgpr24 killed $vgpr25
                                        ; kill: killed $vgpr42 killed $vgpr43
	s_nop 0
	global_load_ubyte v24, v[44:45], off offset:96
	global_load_ubyte v25, v[46:47], off offset:104
	;; [unrolled: 1-line block ×6, first 2 shown]
                                        ; kill: killed $vgpr48 killed $vgpr49
                                        ; kill: killed $vgpr46 killed $vgpr47
                                        ; kill: killed $vgpr50 killed $vgpr51
                                        ; kill: killed $vgpr52 killed $vgpr53
                                        ; kill: killed $vgpr54 killed $vgpr55
                                        ; kill: killed $vgpr44 killed $vgpr45
	global_load_dword v44, v[22:23], off
	global_load_dword v45, v[22:23], off offset:36
	global_load_dword v46, v[22:23], off offset:72
	v_cmp_le_u32_e32 vcc, s14, v28
	s_or_b64 s[12:13], vcc, s[12:13]
	s_waitcnt vmcnt(10)
	v_bfe_u32 v22, v62, v31, 4
	s_waitcnt vmcnt(9)
	v_lshrrev_b32_e32 v23, v32, v63
	v_lshlrev_b32_e32 v23, 4, v23
	v_and_or_b32 v22, v23, 48, v22
	v_subrev_u32_e32 v22, 32, v22
	s_waitcnt vmcnt(8)
	v_bfe_u32 v23, v24, v33, 4
	s_waitcnt vmcnt(7)
	v_lshrrev_b32_e32 v24, v34, v25
	v_lshlrev_b32_e32 v24, 4, v24
	s_waitcnt vmcnt(5)
	v_lshrrev_b32_e32 v25, v36, v41
	v_and_or_b32 v23, v24, 48, v23
	v_bfe_u32 v24, v40, v35, 4
	v_lshlrev_b32_e32 v25, 4, v25
	s_waitcnt vmcnt(3)
	v_lshrrev_b32_e32 v40, v38, v43
	v_and_or_b32 v24, v25, 48, v24
	v_bfe_u32 v25, v42, v37, 4
	v_lshlrev_b32_e32 v40, 4, v40
	v_mul_lo_u32 v22, v22, v57
	v_subrev_u32_e32 v23, 32, v23
	v_and_or_b32 v25, v40, 48, v25
	v_subrev_u32_e32 v24, 32, v24
	v_mul_lo_u32 v23, v23, v59
	v_cvt_f32_i32_e32 v22, v22
	v_mul_lo_u32 v24, v24, v56
	v_subrev_u32_e32 v25, 32, v25
	v_cvt_f32_i32_e32 v23, v23
	v_mul_lo_u32 v25, v25, v60
	v_cvt_f32_i32_e32 v24, v24
	v_cvt_f32_i32_e32 v25, v25
	s_waitcnt vmcnt(2)
	v_fma_mix_f32 v22, v44, v22, 0 op_sel_hi:[1,0,0]
	s_waitcnt vmcnt(1)
	v_fma_mix_f32 v22, v45, v23, v22 op_sel_hi:[1,0,0]
	;; [unrolled: 2-line block ×3, first 2 shown]
	v_fma_mix_f32 v22, v58, v25, v22 op_sel_hi:[1,0,0]
	v_fma_mix_f32 v1, v22, v61, v1 op_sel_hi:[0,1,0]
	s_andn2_b64 exec, exec, s[12:13]
	s_cbranch_execnz .LBB243_3
; %bb.4:
	s_or_b64 exec, exec, s[12:13]
.LBB243_5:
	s_or_b64 exec, exec, s[10:11]
	v_mbcnt_lo_u32_b32 v0, -1, 0
	v_mbcnt_hi_u32_b32 v2, -1, v0
	v_and_b32_e32 v0, 64, v2
	v_add_u32_e32 v3, 64, v0
	v_xor_b32_e32 v0, 32, v2
	v_cmp_lt_i32_e32 vcc, v0, v3
	v_cndmask_b32_e32 v0, v2, v0, vcc
	v_lshlrev_b32_e32 v0, 2, v0
	ds_bpermute_b32 v0, v0, v1
	v_xor_b32_e32 v4, 16, v2
	v_cmp_lt_i32_e32 vcc, v4, v3
	s_waitcnt lgkmcnt(0)
	v_add_f32_e32 v0, v1, v0
	v_cndmask_b32_e32 v1, v2, v4, vcc
	v_lshlrev_b32_e32 v1, 2, v1
	ds_bpermute_b32 v1, v1, v0
	v_xor_b32_e32 v4, 8, v2
	v_cmp_lt_i32_e32 vcc, v4, v3
	s_waitcnt lgkmcnt(0)
	v_add_f32_e32 v0, v0, v1
	;; [unrolled: 7-line block ×5, first 2 shown]
	v_cndmask_b32_e32 v1, v2, v4, vcc
	v_lshlrev_b32_e32 v1, 2, v1
	ds_bpermute_b32 v1, v1, v0
	v_cmp_eq_u32_e32 vcc, 0, v27
	s_and_b64 exec, exec, vcc
	s_cbranch_execz .LBB243_7
; %bb.6:
	s_mul_i32 s0, s8, s2
	s_waitcnt lgkmcnt(0)
	v_add_f32_e32 v2, v0, v1
	v_add_u32_e32 v0, s0, v26
	v_mov_b32_e32 v1, 0
	v_lshlrev_b64 v[0:1], 2, v[0:1]
	v_mov_b32_e32 v3, s7
	v_add_co_u32_e32 v0, vcc, s6, v0
	v_addc_co_u32_e32 v1, vcc, v3, v1, vcc
	global_store_dword v[0:1], v2, off
.LBB243_7:
	s_endpgm
	.section	.rodata,"a",@progbits
	.p2align	6, 0x0
	.amdhsa_kernel _ZL9moe_vec_qIfLi256ELi16E10block_q3_KLi1EXadL_ZL17vec_dot_q3_K_q8_1PKvPK10block_q8_1RKiEEEvS2_S2_PT_PS6_iiii
		.amdhsa_group_segment_fixed_size 0
		.amdhsa_private_segment_fixed_size 0
		.amdhsa_kernarg_size 304
		.amdhsa_user_sgpr_count 6
		.amdhsa_user_sgpr_private_segment_buffer 1
		.amdhsa_user_sgpr_dispatch_ptr 0
		.amdhsa_user_sgpr_queue_ptr 0
		.amdhsa_user_sgpr_kernarg_segment_ptr 1
		.amdhsa_user_sgpr_dispatch_id 0
		.amdhsa_user_sgpr_flat_scratch_init 0
		.amdhsa_user_sgpr_kernarg_preload_length 0
		.amdhsa_user_sgpr_kernarg_preload_offset 0
		.amdhsa_user_sgpr_private_segment_size 0
		.amdhsa_uses_dynamic_stack 0
		.amdhsa_system_sgpr_private_segment_wavefront_offset 0
		.amdhsa_system_sgpr_workgroup_id_x 1
		.amdhsa_system_sgpr_workgroup_id_y 0
		.amdhsa_system_sgpr_workgroup_id_z 1
		.amdhsa_system_sgpr_workgroup_info 0
		.amdhsa_system_vgpr_workitem_id 1
		.amdhsa_next_free_vgpr 64
		.amdhsa_next_free_sgpr 20
		.amdhsa_accum_offset 64
		.amdhsa_reserve_vcc 1
		.amdhsa_reserve_flat_scratch 0
		.amdhsa_float_round_mode_32 0
		.amdhsa_float_round_mode_16_64 0
		.amdhsa_float_denorm_mode_32 3
		.amdhsa_float_denorm_mode_16_64 3
		.amdhsa_dx10_clamp 1
		.amdhsa_ieee_mode 1
		.amdhsa_fp16_overflow 0
		.amdhsa_tg_split 0
		.amdhsa_exception_fp_ieee_invalid_op 0
		.amdhsa_exception_fp_denorm_src 0
		.amdhsa_exception_fp_ieee_div_zero 0
		.amdhsa_exception_fp_ieee_overflow 0
		.amdhsa_exception_fp_ieee_underflow 0
		.amdhsa_exception_fp_ieee_inexact 0
		.amdhsa_exception_int_div_zero 0
	.end_amdhsa_kernel
	.section	.text._ZL9moe_vec_qIfLi256ELi16E10block_q3_KLi1EXadL_ZL17vec_dot_q3_K_q8_1PKvPK10block_q8_1RKiEEEvS2_S2_PT_PS6_iiii,"axG",@progbits,_ZL9moe_vec_qIfLi256ELi16E10block_q3_KLi1EXadL_ZL17vec_dot_q3_K_q8_1PKvPK10block_q8_1RKiEEEvS2_S2_PT_PS6_iiii,comdat
.Lfunc_end243:
	.size	_ZL9moe_vec_qIfLi256ELi16E10block_q3_KLi1EXadL_ZL17vec_dot_q3_K_q8_1PKvPK10block_q8_1RKiEEEvS2_S2_PT_PS6_iiii, .Lfunc_end243-_ZL9moe_vec_qIfLi256ELi16E10block_q3_KLi1EXadL_ZL17vec_dot_q3_K_q8_1PKvPK10block_q8_1RKiEEEvS2_S2_PT_PS6_iiii
                                        ; -- End function
	.section	.AMDGPU.csdata,"",@progbits
; Kernel info:
; codeLenInByte = 2120
; NumSgprs: 24
; NumVgprs: 64
; NumAgprs: 0
; TotalNumVgprs: 64
; ScratchSize: 0
; MemoryBound: 0
; FloatMode: 240
; IeeeMode: 1
; LDSByteSize: 0 bytes/workgroup (compile time only)
; SGPRBlocks: 2
; VGPRBlocks: 7
; NumSGPRsForWavesPerEU: 24
; NumVGPRsForWavesPerEU: 64
; AccumOffset: 64
; Occupancy: 8
; WaveLimiterHint : 1
; COMPUTE_PGM_RSRC2:SCRATCH_EN: 0
; COMPUTE_PGM_RSRC2:USER_SGPR: 6
; COMPUTE_PGM_RSRC2:TRAP_HANDLER: 0
; COMPUTE_PGM_RSRC2:TGID_X_EN: 1
; COMPUTE_PGM_RSRC2:TGID_Y_EN: 0
; COMPUTE_PGM_RSRC2:TGID_Z_EN: 1
; COMPUTE_PGM_RSRC2:TIDIG_COMP_CNT: 1
; COMPUTE_PGM_RSRC3_GFX90A:ACCUM_OFFSET: 15
; COMPUTE_PGM_RSRC3_GFX90A:TG_SPLIT: 0
	.section	.text._ZL9moe_vec_qIfLi256ELi32E10block_q4_KLi2EXadL_ZL17vec_dot_q4_K_q8_1PKvPK10block_q8_1RKiEEEvS2_S2_PT_PS6_iiii,"axG",@progbits,_ZL9moe_vec_qIfLi256ELi32E10block_q4_KLi2EXadL_ZL17vec_dot_q4_K_q8_1PKvPK10block_q8_1RKiEEEvS2_S2_PT_PS6_iiii,comdat
	.globl	_ZL9moe_vec_qIfLi256ELi32E10block_q4_KLi2EXadL_ZL17vec_dot_q4_K_q8_1PKvPK10block_q8_1RKiEEEvS2_S2_PT_PS6_iiii ; -- Begin function _ZL9moe_vec_qIfLi256ELi32E10block_q4_KLi2EXadL_ZL17vec_dot_q4_K_q8_1PKvPK10block_q8_1RKiEEEvS2_S2_PT_PS6_iiii
	.p2align	8
	.type	_ZL9moe_vec_qIfLi256ELi32E10block_q4_KLi2EXadL_ZL17vec_dot_q4_K_q8_1PKvPK10block_q8_1RKiEEEvS2_S2_PT_PS6_iiii,@function
_ZL9moe_vec_qIfLi256ELi32E10block_q4_KLi2EXadL_ZL17vec_dot_q4_K_q8_1PKvPK10block_q8_1RKiEEEvS2_S2_PT_PS6_iiii: ; @_ZL9moe_vec_qIfLi256ELi32E10block_q4_KLi2EXadL_ZL17vec_dot_q4_K_q8_1PKvPK10block_q8_1RKiEEEvS2_S2_PT_PS6_iiii
; %bb.0:
	s_mov_b32 s8, s7
	s_load_dword s7, s[4:5], 0x3c
	s_load_dwordx4 s[0:3], s[4:5], 0x20
	v_bfe_u32 v1, v0, 10, 10
	s_waitcnt lgkmcnt(0)
	s_lshr_b32 s7, s7, 16
	s_mul_i32 s6, s6, s7
	v_add_u32_e32 v1, s6, v1
	v_cmp_gt_u32_e32 vcc, s2, v1
	s_and_saveexec_b64 s[6:7], vcc
	s_cbranch_execz .LBB244_11
; %bb.1:
	s_load_dwordx2 s[6:7], s[4:5], 0x10
	s_ashr_i32 s9, s1, 31
	s_lshr_b32 s9, s9, 24
	s_add_i32 s1, s1, s9
	v_and_b32_e32 v3, 0x3ff, v0
	s_ashr_i32 s12, s1, 8
	v_lshrrev_b32_e32 v12, 4, v3
	v_cmp_gt_u32_e32 vcc, s12, v12
	v_mov_b32_e32 v13, 0
	s_and_saveexec_b64 s[10:11], vcc
	s_cbranch_execz .LBB244_9
; %bb.2:
	s_load_dwordx2 s[14:15], s[4:5], 0x18
	v_cvt_f32_u32_e32 v0, s0
	s_mov_b32 s9, 0
	s_lshl_b64 s[16:17], s[8:9], 2
	v_and_b32_e32 v10, 3, v3
	s_waitcnt lgkmcnt(0)
	s_add_u32 s14, s14, s16
	v_rcp_iflag_f32_e32 v0, v0
	s_addc_u32 s15, s15, s17
	s_load_dword s1, s[14:15], 0x0
	s_load_dwordx4 s[16:19], s[4:5], 0x0
	s_mul_i32 s4, s12, s2
	v_mul_f32_e32 v0, 0x4f7ffffe, v0
	v_cvt_u32_f32_e32 v0, v0
	s_waitcnt lgkmcnt(0)
	s_mul_i32 s1, s4, s1
	s_mul_hi_i32 s4, s1, 0x90
	s_mulk_i32 s1, 0x90
	s_add_u32 s14, s16, s1
	s_addc_u32 s15, s17, s4
	s_sub_i32 s1, 0, s0
	v_readfirstlane_b32 s4, v0
	s_mul_i32 s1, s1, s4
	s_mul_hi_u32 s1, s4, s1
	s_add_i32 s4, s4, s1
	s_mul_hi_u32 s1, s8, s4
	s_mul_i32 s4, s1, s0
	s_sub_i32 s4, s8, s4
	s_add_i32 s5, s1, 1
	s_sub_i32 s16, s4, s0
	s_cmp_ge_u32 s4, s0
	s_cselect_b32 s1, s5, s1
	s_cselect_b32 s4, s16, s4
	s_add_i32 s5, s1, 1
	s_cmp_ge_u32 s4, s0
	s_cselect_b32 s0, s5, s1
	s_mul_i32 s0, s0, s3
	s_mov_b32 s1, s9
	s_lshl_b64 s[0:1], s[0:1], 2
	v_lshlrev_b32_e32 v0, 1, v3
	s_add_u32 s0, s18, s0
	v_and_b32_e32 v4, 30, v0
	v_bfe_u32 v8, v0, 3, 2
	s_addc_u32 s1, s19, s1
	v_cmp_lt_u32_e32 vcc, 15, v4
	v_lshlrev_b32_e32 v4, 1, v8
	s_movk_i32 s13, 0x90
	v_mul_lo_u32 v14, v1, s12
	v_lshlrev_b32_e32 v0, 5, v8
	v_mov_b32_e32 v13, 0
	v_lshlrev_b32_e32 v2, 2, v10
	v_mad_u64_u32 v[4:5], s[0:1], v4, 36, s[0:1]
	v_lshlrev_b32_e32 v15, 3, v12
	s_mov_b64 s[4:5], 0
	v_pk_mov_b32 v[6:7], s[14:15], s[14:15] op_sel:[0,1]
	v_lshlrev_b32_e32 v16, 1, v8
	s_mov_b32 s3, 0x5040100
	s_mov_b32 s9, 0x30303030
	v_lshlrev_b32_e32 v17, 2, v10
	s_branch .LBB244_4
.LBB244_3:                              ;   in Loop: Header=BB244_4 Depth=1
	s_or_b64 exec, exec, s[0:1]
	v_mad_i64_i32 v[10:11], s[0:1], v15, 36, v[4:5]
	v_add_co_u32_e64 v22, s[0:1], v10, v17
	global_load_dword v21, v[10:11], off
	v_addc_co_u32_e64 v23, s[0:1], 0, v11, s[0:1]
	global_load_dword v24, v[8:9], off
	global_load_dword v25, v[22:23], off offset:20
	global_load_dword v26, v[22:23], off offset:40
	;; [unrolled: 1-line block ×5, first 2 shown]
	s_waitcnt vmcnt(8)
	v_and_b32_e32 v11, 0xf0f0f0f, v19
	v_mov_b32_e32 v23, 0
	v_mov_b32_e32 v30, 0
	v_lshrrev_b32_e32 v10, 4, v19
	v_pk_lshrrev_b16 v8, 8, v20 op_sel_hi:[0,1]
	s_waitcnt vmcnt(7)
	v_and_b32_e32 v22, 0xf0f0f0f, v18
	v_and_b32_e32 v9, 0xff00ff, v20
	v_lshrrev_b32_e32 v18, 4, v18
	v_mov_b32_e32 v19, 0
	v_mov_b32_e32 v20, 0
	v_and_b32_e32 v31, 0xf0f0f0f, v10
	v_and_b32_e32 v32, 0xf0f0f0f, v18
	v_lshrrev_b32_e32 v34, 16, v9
	v_and_b32_e32 v35, 0xff, v9
	v_lshrrev_b32_e32 v33, 16, v8
	v_and_b32_e32 v8, 0xff, v8
	v_add_u32_e32 v12, 4, v12
	v_cmp_le_u32_e64 s[0:1], s12, v12
	s_or_b64 s[4:5], s[0:1], s[4:5]
	v_add_u32_e32 v15, 32, v15
	s_waitcnt vmcnt(5)
	v_cvt_f32_f16_sdwa v9, v24 dst_sel:DWORD dst_unused:UNUSED_PAD src0_sel:WORD_1
	s_waitcnt vmcnt(3)
	v_dot4c_i32_i8_e32 v19, v31, v26
	v_dot4c_i32_i8_e32 v20, 0x1010101, v26
	v_cvt_f32_f16_e32 v10, v21
	s_waitcnt vmcnt(0)
	v_dot4c_i32_i8_e32 v23, v11, v29
	v_dot4c_i32_i8_e32 v30, 0x1010101, v29
	;; [unrolled: 1-line block ×6, first 2 shown]
	v_mul_lo_u32 v11, v23, v35
	v_mul_lo_u32 v21, v30, v34
	;; [unrolled: 1-line block ×4, first 2 shown]
	v_cvt_f32_i32_e32 v21, v21
	v_cvt_f32_i32_e32 v20, v11
	v_cvt_f32_f16_e32 v18, v28
	v_cvt_f32_i32_e32 v23, v19
	v_cvt_f32_i32_e32 v22, v8
	v_cvt_f32_f16_e32 v8, v24
	v_pk_fma_f32 v[10:11], v[10:11], v[20:21], 0 op_sel_hi:[0,1,0]
	v_pk_fma_f32 v[10:11], v[18:19], v[22:23], v[10:11] op_sel_hi:[0,1,1]
	v_pk_mul_f32 v[8:9], v[10:11], v[8:9]
	v_sub_f32_e32 v8, v8, v9
	v_add_f32_e32 v13, v13, v8
	s_andn2_b64 exec, exec, s[4:5]
	s_cbranch_execz .LBB244_8
.LBB244_4:                              ; =>This Inner Loop Header: Depth=1
	v_add_u32_e32 v8, v14, v12
	v_mad_i64_i32 v[8:9], s[0:1], v8, s13, v[6:7]
	v_add_co_u32_e64 v10, s[0:1], v8, v0
	v_addc_co_u32_e64 v11, s[0:1], 0, v9, s[0:1]
	v_add_co_u32_e64 v10, s[0:1], v10, v2
	v_addc_co_u32_e64 v11, s[0:1], 0, v11, s[0:1]
	global_load_dword v19, v[10:11], off offset:16
	global_load_dword v18, v[10:11], off offset:32
	v_add_co_u32_e64 v10, s[0:1], v8, v16
	v_addc_co_u32_e64 v11, s[0:1], 0, v9, s[0:1]
                                        ; implicit-def: $vgpr20
	s_and_saveexec_b64 s[0:1], vcc
	s_xor_b64 s[0:1], exec, s[0:1]
	s_cbranch_execz .LBB244_6
; %bb.5:                                ;   in Loop: Header=BB244_4 Depth=1
	global_load_ushort v20, v[10:11], off
	global_load_ushort v21, v[10:11], off offset:8
	global_load_ushort v22, v[10:11], off offset:4
	s_waitcnt vmcnt(1)
	v_lshrrev_b16_e32 v10, 4, v21
	s_waitcnt vmcnt(0)
	v_perm_b32 v11, v22, v20, s3
	v_perm_b32 v10, v10, v21, s3
	v_and_b32_e32 v10, 0xf0f0f0f, v10
	v_pk_lshrrev_b16 v11, 2, v11 op_sel_hi:[0,1]
	v_and_or_b32 v20, v11, s9, v10
                                        ; implicit-def: $vgpr10_vgpr11
.LBB244_6:                              ;   in Loop: Header=BB244_4 Depth=1
	s_andn2_saveexec_b64 s[0:1], s[0:1]
	s_cbranch_execz .LBB244_3
; %bb.7:                                ;   in Loop: Header=BB244_4 Depth=1
	global_load_ushort v20, v[10:11], off offset:4
	global_load_ushort v21, v[10:11], off offset:8
	s_waitcnt vmcnt(0)
	v_perm_b32 v10, v21, v20, s3
	v_and_b32_e32 v20, 0x3f3f3f3f, v10
	s_branch .LBB244_3
.LBB244_8:
	s_or_b64 exec, exec, s[4:5]
.LBB244_9:
	s_or_b64 exec, exec, s[10:11]
	v_mbcnt_lo_u32_b32 v0, -1, 0
	v_mbcnt_hi_u32_b32 v2, -1, v0
	v_and_b32_e32 v0, 64, v2
	v_add_u32_e32 v4, 64, v0
	v_xor_b32_e32 v0, 32, v2
	v_cmp_lt_i32_e32 vcc, v0, v4
	v_cndmask_b32_e32 v0, v2, v0, vcc
	v_lshlrev_b32_e32 v0, 2, v0
	ds_bpermute_b32 v0, v0, v13
	v_xor_b32_e32 v5, 16, v2
	v_cmp_lt_i32_e32 vcc, v5, v4
	v_cndmask_b32_e32 v5, v2, v5, vcc
	v_lshlrev_b32_e32 v5, 2, v5
	s_waitcnt lgkmcnt(0)
	v_add_f32_e32 v0, v13, v0
	ds_bpermute_b32 v5, v5, v0
	v_xor_b32_e32 v6, 8, v2
	v_cmp_lt_i32_e32 vcc, v6, v4
	s_waitcnt lgkmcnt(0)
	v_add_f32_e32 v0, v0, v5
	v_cndmask_b32_e32 v5, v2, v6, vcc
	v_lshlrev_b32_e32 v5, 2, v5
	ds_bpermute_b32 v5, v5, v0
	v_xor_b32_e32 v6, 4, v2
	v_cmp_lt_i32_e32 vcc, v6, v4
	s_waitcnt lgkmcnt(0)
	v_add_f32_e32 v0, v0, v5
	v_cndmask_b32_e32 v5, v2, v6, vcc
	v_lshlrev_b32_e32 v5, 2, v5
	;; [unrolled: 7-line block ×3, first 2 shown]
	ds_bpermute_b32 v5, v5, v0
	v_xor_b32_e32 v6, 1, v2
	v_cmp_lt_i32_e32 vcc, v6, v4
	v_cndmask_b32_e32 v2, v2, v6, vcc
	v_lshlrev_b32_e32 v2, 2, v2
	s_waitcnt lgkmcnt(0)
	v_add_f32_e32 v0, v0, v5
	ds_bpermute_b32 v2, v2, v0
	v_cmp_eq_u32_e32 vcc, 0, v3
	s_and_b64 exec, exec, vcc
	s_cbranch_execz .LBB244_11
; %bb.10:
	s_mul_i32 s0, s8, s2
	s_waitcnt lgkmcnt(0)
	v_add_f32_e32 v2, v0, v2
	v_add_u32_e32 v0, s0, v1
	v_mov_b32_e32 v1, 0
	v_lshlrev_b64 v[0:1], 2, v[0:1]
	v_mov_b32_e32 v3, s7
	v_add_co_u32_e32 v0, vcc, s6, v0
	v_addc_co_u32_e32 v1, vcc, v3, v1, vcc
	global_store_dword v[0:1], v2, off
.LBB244_11:
	s_endpgm
	.section	.rodata,"a",@progbits
	.p2align	6, 0x0
	.amdhsa_kernel _ZL9moe_vec_qIfLi256ELi32E10block_q4_KLi2EXadL_ZL17vec_dot_q4_K_q8_1PKvPK10block_q8_1RKiEEEvS2_S2_PT_PS6_iiii
		.amdhsa_group_segment_fixed_size 0
		.amdhsa_private_segment_fixed_size 0
		.amdhsa_kernarg_size 304
		.amdhsa_user_sgpr_count 6
		.amdhsa_user_sgpr_private_segment_buffer 1
		.amdhsa_user_sgpr_dispatch_ptr 0
		.amdhsa_user_sgpr_queue_ptr 0
		.amdhsa_user_sgpr_kernarg_segment_ptr 1
		.amdhsa_user_sgpr_dispatch_id 0
		.amdhsa_user_sgpr_flat_scratch_init 0
		.amdhsa_user_sgpr_kernarg_preload_length 0
		.amdhsa_user_sgpr_kernarg_preload_offset 0
		.amdhsa_user_sgpr_private_segment_size 0
		.amdhsa_uses_dynamic_stack 0
		.amdhsa_system_sgpr_private_segment_wavefront_offset 0
		.amdhsa_system_sgpr_workgroup_id_x 1
		.amdhsa_system_sgpr_workgroup_id_y 0
		.amdhsa_system_sgpr_workgroup_id_z 1
		.amdhsa_system_sgpr_workgroup_info 0
		.amdhsa_system_vgpr_workitem_id 1
		.amdhsa_next_free_vgpr 36
		.amdhsa_next_free_sgpr 20
		.amdhsa_accum_offset 36
		.amdhsa_reserve_vcc 1
		.amdhsa_reserve_flat_scratch 0
		.amdhsa_float_round_mode_32 0
		.amdhsa_float_round_mode_16_64 0
		.amdhsa_float_denorm_mode_32 3
		.amdhsa_float_denorm_mode_16_64 3
		.amdhsa_dx10_clamp 1
		.amdhsa_ieee_mode 1
		.amdhsa_fp16_overflow 0
		.amdhsa_tg_split 0
		.amdhsa_exception_fp_ieee_invalid_op 0
		.amdhsa_exception_fp_denorm_src 0
		.amdhsa_exception_fp_ieee_div_zero 0
		.amdhsa_exception_fp_ieee_overflow 0
		.amdhsa_exception_fp_ieee_underflow 0
		.amdhsa_exception_fp_ieee_inexact 0
		.amdhsa_exception_int_div_zero 0
	.end_amdhsa_kernel
	.section	.text._ZL9moe_vec_qIfLi256ELi32E10block_q4_KLi2EXadL_ZL17vec_dot_q4_K_q8_1PKvPK10block_q8_1RKiEEEvS2_S2_PT_PS6_iiii,"axG",@progbits,_ZL9moe_vec_qIfLi256ELi32E10block_q4_KLi2EXadL_ZL17vec_dot_q4_K_q8_1PKvPK10block_q8_1RKiEEEvS2_S2_PT_PS6_iiii,comdat
.Lfunc_end244:
	.size	_ZL9moe_vec_qIfLi256ELi32E10block_q4_KLi2EXadL_ZL17vec_dot_q4_K_q8_1PKvPK10block_q8_1RKiEEEvS2_S2_PT_PS6_iiii, .Lfunc_end244-_ZL9moe_vec_qIfLi256ELi32E10block_q4_KLi2EXadL_ZL17vec_dot_q4_K_q8_1PKvPK10block_q8_1RKiEEEvS2_S2_PT_PS6_iiii
                                        ; -- End function
	.section	.AMDGPU.csdata,"",@progbits
; Kernel info:
; codeLenInByte = 1260
; NumSgprs: 24
; NumVgprs: 36
; NumAgprs: 0
; TotalNumVgprs: 36
; ScratchSize: 0
; MemoryBound: 0
; FloatMode: 240
; IeeeMode: 1
; LDSByteSize: 0 bytes/workgroup (compile time only)
; SGPRBlocks: 2
; VGPRBlocks: 4
; NumSGPRsForWavesPerEU: 24
; NumVGPRsForWavesPerEU: 36
; AccumOffset: 36
; Occupancy: 8
; WaveLimiterHint : 1
; COMPUTE_PGM_RSRC2:SCRATCH_EN: 0
; COMPUTE_PGM_RSRC2:USER_SGPR: 6
; COMPUTE_PGM_RSRC2:TRAP_HANDLER: 0
; COMPUTE_PGM_RSRC2:TGID_X_EN: 1
; COMPUTE_PGM_RSRC2:TGID_Y_EN: 0
; COMPUTE_PGM_RSRC2:TGID_Z_EN: 1
; COMPUTE_PGM_RSRC2:TIDIG_COMP_CNT: 1
; COMPUTE_PGM_RSRC3_GFX90A:ACCUM_OFFSET: 8
; COMPUTE_PGM_RSRC3_GFX90A:TG_SPLIT: 0
	.section	.text._ZL9moe_vec_qIfLi256ELi32E10block_q5_KLi2EXadL_ZL17vec_dot_q5_K_q8_1PKvPK10block_q8_1RKiEEEvS2_S2_PT_PS6_iiii,"axG",@progbits,_ZL9moe_vec_qIfLi256ELi32E10block_q5_KLi2EXadL_ZL17vec_dot_q5_K_q8_1PKvPK10block_q8_1RKiEEEvS2_S2_PT_PS6_iiii,comdat
	.globl	_ZL9moe_vec_qIfLi256ELi32E10block_q5_KLi2EXadL_ZL17vec_dot_q5_K_q8_1PKvPK10block_q8_1RKiEEEvS2_S2_PT_PS6_iiii ; -- Begin function _ZL9moe_vec_qIfLi256ELi32E10block_q5_KLi2EXadL_ZL17vec_dot_q5_K_q8_1PKvPK10block_q8_1RKiEEEvS2_S2_PT_PS6_iiii
	.p2align	8
	.type	_ZL9moe_vec_qIfLi256ELi32E10block_q5_KLi2EXadL_ZL17vec_dot_q5_K_q8_1PKvPK10block_q8_1RKiEEEvS2_S2_PT_PS6_iiii,@function
_ZL9moe_vec_qIfLi256ELi32E10block_q5_KLi2EXadL_ZL17vec_dot_q5_K_q8_1PKvPK10block_q8_1RKiEEEvS2_S2_PT_PS6_iiii: ; @_ZL9moe_vec_qIfLi256ELi32E10block_q5_KLi2EXadL_ZL17vec_dot_q5_K_q8_1PKvPK10block_q8_1RKiEEEvS2_S2_PT_PS6_iiii
; %bb.0:
	s_mov_b32 s8, s7
	s_load_dword s7, s[4:5], 0x3c
	s_load_dwordx4 s[0:3], s[4:5], 0x20
	v_bfe_u32 v1, v0, 10, 10
	s_waitcnt lgkmcnt(0)
	s_lshr_b32 s7, s7, 16
	s_mul_i32 s6, s6, s7
	v_add_u32_e32 v1, s6, v1
	v_cmp_gt_u32_e32 vcc, s2, v1
	s_and_saveexec_b64 s[6:7], vcc
	s_cbranch_execz .LBB245_11
; %bb.1:
	s_load_dwordx2 s[6:7], s[4:5], 0x10
	s_ashr_i32 s9, s1, 31
	s_lshr_b32 s9, s9, 24
	s_add_i32 s1, s1, s9
	v_and_b32_e32 v3, 0x3ff, v0
	s_ashr_i32 s12, s1, 8
	v_lshrrev_b32_e32 v12, 4, v3
	v_cmp_gt_u32_e32 vcc, s12, v12
	v_mov_b32_e32 v13, 0
	s_and_saveexec_b64 s[10:11], vcc
	s_cbranch_execz .LBB245_9
; %bb.2:
	s_load_dwordx2 s[14:15], s[4:5], 0x18
	v_cvt_f32_u32_e32 v0, s0
	s_mov_b32 s9, 0
	s_lshl_b64 s[16:17], s[8:9], 2
	v_and_b32_e32 v10, 3, v3
	s_waitcnt lgkmcnt(0)
	s_add_u32 s14, s14, s16
	v_rcp_iflag_f32_e32 v0, v0
	s_addc_u32 s15, s15, s17
	s_load_dword s1, s[14:15], 0x0
	s_load_dwordx4 s[16:19], s[4:5], 0x0
	s_mul_i32 s4, s12, s2
	v_mul_f32_e32 v0, 0x4f7ffffe, v0
	v_cvt_u32_f32_e32 v0, v0
	s_waitcnt lgkmcnt(0)
	s_mul_i32 s1, s4, s1
	s_mul_hi_i32 s4, s1, 0xb0
	s_mulk_i32 s1, 0xb0
	s_add_u32 s14, s16, s1
	s_addc_u32 s15, s17, s4
	s_sub_i32 s1, 0, s0
	v_readfirstlane_b32 s4, v0
	s_mul_i32 s1, s1, s4
	s_mul_hi_u32 s1, s4, s1
	s_add_i32 s4, s4, s1
	s_mul_hi_u32 s1, s8, s4
	s_mul_i32 s4, s1, s0
	s_sub_i32 s4, s8, s4
	s_add_i32 s5, s1, 1
	s_sub_i32 s16, s4, s0
	s_cmp_ge_u32 s4, s0
	s_cselect_b32 s1, s5, s1
	s_cselect_b32 s4, s16, s4
	s_add_i32 s5, s1, 1
	s_cmp_ge_u32 s4, s0
	s_cselect_b32 s0, s5, s1
	s_mul_i32 s0, s0, s3
	s_mov_b32 s1, s9
	s_lshl_b64 s[0:1], s[0:1], 2
	v_lshlrev_b32_e32 v0, 1, v3
	s_add_u32 s0, s18, s0
	v_bfe_u32 v8, v0, 3, 2
	s_addc_u32 s1, s19, s1
	v_and_b32_e32 v4, 30, v0
	v_lshlrev_b32_e32 v15, 1, v8
	s_movk_i32 s13, 0xb0
	v_mul_lo_u32 v14, v1, s12
	v_lshlrev_b32_e32 v0, 5, v8
	v_mov_b32_e32 v13, 0
	v_lshlrev_b32_e32 v2, 2, v10
	v_cmp_lt_u32_e32 vcc, 15, v4
	v_mad_u64_u32 v[4:5], s[0:1], v15, 36, s[0:1]
	v_lshlrev_b32_e32 v16, 3, v12
	s_mov_b64 s[4:5], 0
	v_pk_mov_b32 v[6:7], s[14:15], s[14:15] op_sel:[0,1]
	v_lshlrev_b32_e32 v17, 1, v8
	s_mov_b32 s3, 0x5040100
	s_mov_b32 s9, 0x30303030
	v_lshlrev_b32_e32 v18, 2, v10
	s_mov_b32 s14, 0x10101010
	s_branch .LBB245_4
.LBB245_3:                              ;   in Loop: Header=BB245_4 Depth=1
	s_or_b64 exec, exec, s[0:1]
	v_mad_i64_i32 v[10:11], s[0:1], v16, 36, v[4:5]
	v_add_co_u32_e64 v24, s[0:1], v10, v18
	global_load_dword v26, v[10:11], off
	v_addc_co_u32_e64 v25, s[0:1], 0, v11, s[0:1]
	global_load_dword v27, v[8:9], off
	global_load_dword v28, v[24:25], off offset:20
	global_load_dword v29, v[24:25], off offset:40
	;; [unrolled: 1-line block ×5, first 2 shown]
	s_waitcnt vmcnt(7)
	v_ashrrev_i32_e32 v9, v15, v22
	v_ashrrev_i32_e32 v10, v15, v21
	v_and_b32_e32 v21, 0xf0f0f0f, v19
	v_lshrrev_b32_e32 v19, 4, v19
	v_lshlrev_b32_e32 v35, 4, v9
	v_and_b32_e32 v11, 0xf0f0f0f, v20
	v_mov_b32_e32 v22, 0
	v_mov_b32_e32 v24, 0
	v_lshrrev_b32_e32 v20, 4, v20
	v_lshlrev_b32_e32 v34, 4, v10
	v_and_b32_e32 v19, 0xf0f0f0f, v19
	v_lshlrev_b32_e32 v9, 3, v9
	v_and_or_b32 v21, v35, s14, v21
	v_pk_lshrrev_b16 v8, 8, v23 op_sel_hi:[0,1]
	v_and_b32_e32 v23, 0xff00ff, v23
	v_mov_b32_e32 v25, 0
	v_mov_b32_e32 v33, 0
	v_and_b32_e32 v20, 0xf0f0f0f, v20
	v_lshlrev_b32_e32 v10, 3, v10
	v_and_or_b32 v11, v34, s14, v11
	v_and_or_b32 v19, v9, s14, v19
	v_lshrrev_b32_e32 v37, 16, v23
	v_and_b32_e32 v23, 0xff, v23
	v_and_or_b32 v34, v10, s14, v20
	v_lshrrev_b32_e32 v36, 16, v8
	v_and_b32_e32 v8, 0xff, v8
	v_add_u32_e32 v12, 4, v12
	v_cmp_le_u32_e64 s[0:1], s12, v12
	s_or_b64 s[4:5], s[0:1], s[4:5]
	v_add_u32_e32 v16, 32, v16
	s_waitcnt vmcnt(5)
	v_cvt_f32_f16_sdwa v9, v27 dst_sel:DWORD dst_unused:UNUSED_PAD src0_sel:WORD_1
	s_waitcnt vmcnt(4)
	v_dot4c_i32_i8_e32 v22, v21, v28
	v_dot4c_i32_i8_e32 v24, 0x1010101, v28
	s_waitcnt vmcnt(2)
	v_dot4c_i32_i8_e32 v25, v19, v30
	v_dot4c_i32_i8_e32 v33, 0x1010101, v30
	;; [unrolled: 3-line block ×3, first 2 shown]
	v_dot4c_i32_i8_e32 v25, v34, v29
	v_dot4c_i32_i8_e32 v33, 0x1010101, v29
	v_mul_lo_u32 v11, v22, v23
	v_mul_lo_u32 v19, v24, v37
	v_cvt_f32_f16_e32 v10, v26
	v_mul_lo_u32 v8, v25, v8
	v_mul_lo_u32 v21, v33, v36
	v_cvt_f32_i32_e32 v23, v19
	v_cvt_f32_i32_e32 v22, v11
	v_cvt_f32_f16_e32 v20, v31
	v_cvt_f32_i32_e32 v25, v21
	v_cvt_f32_i32_e32 v24, v8
	v_cvt_f32_f16_e32 v8, v27
	v_pk_fma_f32 v[10:11], v[10:11], v[22:23], 0 op_sel_hi:[0,1,0]
	v_pk_fma_f32 v[10:11], v[20:21], v[24:25], v[10:11] op_sel_hi:[0,1,1]
	v_pk_mul_f32 v[8:9], v[10:11], v[8:9]
	v_sub_f32_e32 v8, v8, v9
	v_add_f32_e32 v13, v13, v8
	s_andn2_b64 exec, exec, s[4:5]
	s_cbranch_execz .LBB245_8
.LBB245_4:                              ; =>This Inner Loop Header: Depth=1
	v_add_u32_e32 v8, v14, v12
	v_mad_i64_i32 v[8:9], s[0:1], v8, s13, v[6:7]
	v_add_co_u32_e64 v10, s[0:1], v8, v2
	v_addc_co_u32_e64 v11, s[0:1], 0, v9, s[0:1]
	v_add_co_u32_e64 v24, s[0:1], v10, v0
	v_addc_co_u32_e64 v25, s[0:1], 0, v11, s[0:1]
	global_load_dword v19, v[24:25], off offset:64
	global_load_dword v21, v[10:11], off offset:16
	global_load_dword v20, v[24:25], off offset:48
	global_load_dword v22, v[10:11], off offset:32
	v_add_co_u32_e64 v10, s[0:1], v8, v17
	v_addc_co_u32_e64 v11, s[0:1], 0, v9, s[0:1]
                                        ; implicit-def: $vgpr23
	s_and_saveexec_b64 s[0:1], vcc
	s_xor_b64 s[0:1], exec, s[0:1]
	s_cbranch_execz .LBB245_6
; %bb.5:                                ;   in Loop: Header=BB245_4 Depth=1
	global_load_ushort v23, v[10:11], off
	global_load_ushort v24, v[10:11], off offset:8
	global_load_ushort v25, v[10:11], off offset:4
	s_waitcnt vmcnt(1)
	v_lshrrev_b16_e32 v10, 4, v24
	s_waitcnt vmcnt(0)
	v_perm_b32 v11, v25, v23, s3
	v_perm_b32 v10, v10, v24, s3
	v_and_b32_e32 v10, 0xf0f0f0f, v10
	v_pk_lshrrev_b16 v11, 2, v11 op_sel_hi:[0,1]
	v_and_or_b32 v23, v11, s9, v10
                                        ; implicit-def: $vgpr10_vgpr11
.LBB245_6:                              ;   in Loop: Header=BB245_4 Depth=1
	s_andn2_saveexec_b64 s[0:1], s[0:1]
	s_cbranch_execz .LBB245_3
; %bb.7:                                ;   in Loop: Header=BB245_4 Depth=1
	global_load_ushort v23, v[10:11], off offset:4
	global_load_ushort v24, v[10:11], off offset:8
	s_waitcnt vmcnt(0)
	v_perm_b32 v10, v24, v23, s3
	v_and_b32_e32 v23, 0x3f3f3f3f, v10
	s_branch .LBB245_3
.LBB245_8:
	s_or_b64 exec, exec, s[4:5]
.LBB245_9:
	s_or_b64 exec, exec, s[10:11]
	v_mbcnt_lo_u32_b32 v0, -1, 0
	v_mbcnt_hi_u32_b32 v2, -1, v0
	v_and_b32_e32 v0, 64, v2
	v_add_u32_e32 v4, 64, v0
	v_xor_b32_e32 v0, 32, v2
	v_cmp_lt_i32_e32 vcc, v0, v4
	v_cndmask_b32_e32 v0, v2, v0, vcc
	v_lshlrev_b32_e32 v0, 2, v0
	ds_bpermute_b32 v0, v0, v13
	v_xor_b32_e32 v5, 16, v2
	v_cmp_lt_i32_e32 vcc, v5, v4
	v_cndmask_b32_e32 v5, v2, v5, vcc
	v_lshlrev_b32_e32 v5, 2, v5
	s_waitcnt lgkmcnt(0)
	v_add_f32_e32 v0, v13, v0
	ds_bpermute_b32 v5, v5, v0
	v_xor_b32_e32 v6, 8, v2
	v_cmp_lt_i32_e32 vcc, v6, v4
	s_waitcnt lgkmcnt(0)
	v_add_f32_e32 v0, v0, v5
	v_cndmask_b32_e32 v5, v2, v6, vcc
	v_lshlrev_b32_e32 v5, 2, v5
	ds_bpermute_b32 v5, v5, v0
	v_xor_b32_e32 v6, 4, v2
	v_cmp_lt_i32_e32 vcc, v6, v4
	s_waitcnt lgkmcnt(0)
	v_add_f32_e32 v0, v0, v5
	v_cndmask_b32_e32 v5, v2, v6, vcc
	v_lshlrev_b32_e32 v5, 2, v5
	;; [unrolled: 7-line block ×3, first 2 shown]
	ds_bpermute_b32 v5, v5, v0
	v_xor_b32_e32 v6, 1, v2
	v_cmp_lt_i32_e32 vcc, v6, v4
	v_cndmask_b32_e32 v2, v2, v6, vcc
	v_lshlrev_b32_e32 v2, 2, v2
	s_waitcnt lgkmcnt(0)
	v_add_f32_e32 v0, v0, v5
	ds_bpermute_b32 v2, v2, v0
	v_cmp_eq_u32_e32 vcc, 0, v3
	s_and_b64 exec, exec, vcc
	s_cbranch_execz .LBB245_11
; %bb.10:
	s_mul_i32 s0, s8, s2
	s_waitcnt lgkmcnt(0)
	v_add_f32_e32 v2, v0, v2
	v_add_u32_e32 v0, s0, v1
	v_mov_b32_e32 v1, 0
	v_lshlrev_b64 v[0:1], 2, v[0:1]
	v_mov_b32_e32 v3, s7
	v_add_co_u32_e32 v0, vcc, s6, v0
	v_addc_co_u32_e32 v1, vcc, v3, v1, vcc
	global_store_dword v[0:1], v2, off
.LBB245_11:
	s_endpgm
	.section	.rodata,"a",@progbits
	.p2align	6, 0x0
	.amdhsa_kernel _ZL9moe_vec_qIfLi256ELi32E10block_q5_KLi2EXadL_ZL17vec_dot_q5_K_q8_1PKvPK10block_q8_1RKiEEEvS2_S2_PT_PS6_iiii
		.amdhsa_group_segment_fixed_size 0
		.amdhsa_private_segment_fixed_size 0
		.amdhsa_kernarg_size 304
		.amdhsa_user_sgpr_count 6
		.amdhsa_user_sgpr_private_segment_buffer 1
		.amdhsa_user_sgpr_dispatch_ptr 0
		.amdhsa_user_sgpr_queue_ptr 0
		.amdhsa_user_sgpr_kernarg_segment_ptr 1
		.amdhsa_user_sgpr_dispatch_id 0
		.amdhsa_user_sgpr_flat_scratch_init 0
		.amdhsa_user_sgpr_kernarg_preload_length 0
		.amdhsa_user_sgpr_kernarg_preload_offset 0
		.amdhsa_user_sgpr_private_segment_size 0
		.amdhsa_uses_dynamic_stack 0
		.amdhsa_system_sgpr_private_segment_wavefront_offset 0
		.amdhsa_system_sgpr_workgroup_id_x 1
		.amdhsa_system_sgpr_workgroup_id_y 0
		.amdhsa_system_sgpr_workgroup_id_z 1
		.amdhsa_system_sgpr_workgroup_info 0
		.amdhsa_system_vgpr_workitem_id 1
		.amdhsa_next_free_vgpr 38
		.amdhsa_next_free_sgpr 20
		.amdhsa_accum_offset 40
		.amdhsa_reserve_vcc 1
		.amdhsa_reserve_flat_scratch 0
		.amdhsa_float_round_mode_32 0
		.amdhsa_float_round_mode_16_64 0
		.amdhsa_float_denorm_mode_32 3
		.amdhsa_float_denorm_mode_16_64 3
		.amdhsa_dx10_clamp 1
		.amdhsa_ieee_mode 1
		.amdhsa_fp16_overflow 0
		.amdhsa_tg_split 0
		.amdhsa_exception_fp_ieee_invalid_op 0
		.amdhsa_exception_fp_denorm_src 0
		.amdhsa_exception_fp_ieee_div_zero 0
		.amdhsa_exception_fp_ieee_overflow 0
		.amdhsa_exception_fp_ieee_underflow 0
		.amdhsa_exception_fp_ieee_inexact 0
		.amdhsa_exception_int_div_zero 0
	.end_amdhsa_kernel
	.section	.text._ZL9moe_vec_qIfLi256ELi32E10block_q5_KLi2EXadL_ZL17vec_dot_q5_K_q8_1PKvPK10block_q8_1RKiEEEvS2_S2_PT_PS6_iiii,"axG",@progbits,_ZL9moe_vec_qIfLi256ELi32E10block_q5_KLi2EXadL_ZL17vec_dot_q5_K_q8_1PKvPK10block_q8_1RKiEEEvS2_S2_PT_PS6_iiii,comdat
.Lfunc_end245:
	.size	_ZL9moe_vec_qIfLi256ELi32E10block_q5_KLi2EXadL_ZL17vec_dot_q5_K_q8_1PKvPK10block_q8_1RKiEEEvS2_S2_PT_PS6_iiii, .Lfunc_end245-_ZL9moe_vec_qIfLi256ELi32E10block_q5_KLi2EXadL_ZL17vec_dot_q5_K_q8_1PKvPK10block_q8_1RKiEEEvS2_S2_PT_PS6_iiii
                                        ; -- End function
	.section	.AMDGPU.csdata,"",@progbits
; Kernel info:
; codeLenInByte = 1340
; NumSgprs: 24
; NumVgprs: 38
; NumAgprs: 0
; TotalNumVgprs: 38
; ScratchSize: 0
; MemoryBound: 0
; FloatMode: 240
; IeeeMode: 1
; LDSByteSize: 0 bytes/workgroup (compile time only)
; SGPRBlocks: 2
; VGPRBlocks: 4
; NumSGPRsForWavesPerEU: 24
; NumVGPRsForWavesPerEU: 38
; AccumOffset: 40
; Occupancy: 8
; WaveLimiterHint : 1
; COMPUTE_PGM_RSRC2:SCRATCH_EN: 0
; COMPUTE_PGM_RSRC2:USER_SGPR: 6
; COMPUTE_PGM_RSRC2:TRAP_HANDLER: 0
; COMPUTE_PGM_RSRC2:TGID_X_EN: 1
; COMPUTE_PGM_RSRC2:TGID_Y_EN: 0
; COMPUTE_PGM_RSRC2:TGID_Z_EN: 1
; COMPUTE_PGM_RSRC2:TIDIG_COMP_CNT: 1
; COMPUTE_PGM_RSRC3_GFX90A:ACCUM_OFFSET: 9
; COMPUTE_PGM_RSRC3_GFX90A:TG_SPLIT: 0
	.section	.text._ZL9moe_vec_qIfLi256ELi32E10block_q6_KLi1EXadL_ZL17vec_dot_q6_K_q8_1PKvPK10block_q8_1RKiEEEvS2_S2_PT_PS6_iiii,"axG",@progbits,_ZL9moe_vec_qIfLi256ELi32E10block_q6_KLi1EXadL_ZL17vec_dot_q6_K_q8_1PKvPK10block_q8_1RKiEEEvS2_S2_PT_PS6_iiii,comdat
	.globl	_ZL9moe_vec_qIfLi256ELi32E10block_q6_KLi1EXadL_ZL17vec_dot_q6_K_q8_1PKvPK10block_q8_1RKiEEEvS2_S2_PT_PS6_iiii ; -- Begin function _ZL9moe_vec_qIfLi256ELi32E10block_q6_KLi1EXadL_ZL17vec_dot_q6_K_q8_1PKvPK10block_q8_1RKiEEEvS2_S2_PT_PS6_iiii
	.p2align	8
	.type	_ZL9moe_vec_qIfLi256ELi32E10block_q6_KLi1EXadL_ZL17vec_dot_q6_K_q8_1PKvPK10block_q8_1RKiEEEvS2_S2_PT_PS6_iiii,@function
_ZL9moe_vec_qIfLi256ELi32E10block_q6_KLi1EXadL_ZL17vec_dot_q6_K_q8_1PKvPK10block_q8_1RKiEEEvS2_S2_PT_PS6_iiii: ; @_ZL9moe_vec_qIfLi256ELi32E10block_q6_KLi1EXadL_ZL17vec_dot_q6_K_q8_1PKvPK10block_q8_1RKiEEEvS2_S2_PT_PS6_iiii
; %bb.0:
	s_mov_b32 s8, s7
	s_load_dword s7, s[4:5], 0x3c
	s_load_dwordx4 s[0:3], s[4:5], 0x20
	v_bfe_u32 v1, v0, 10, 10
	s_waitcnt lgkmcnt(0)
	s_lshr_b32 s7, s7, 16
	s_mul_i32 s6, s6, s7
	v_add_u32_e32 v1, s6, v1
	v_cmp_gt_u32_e32 vcc, s2, v1
	s_and_saveexec_b64 s[6:7], vcc
	s_cbranch_execz .LBB246_7
; %bb.1:
	s_load_dwordx2 s[6:7], s[4:5], 0x10
	s_ashr_i32 s9, s1, 31
	s_lshr_b32 s9, s9, 24
	s_add_i32 s1, s1, s9
	v_and_b32_e32 v3, 0x3ff, v0
	s_ashr_i32 s12, s1, 8
	v_lshrrev_b32_e32 v5, 5, v3
	v_cmp_gt_u32_e32 vcc, s12, v5
	v_mov_b32_e32 v9, 0
	s_and_saveexec_b64 s[10:11], vcc
	s_cbranch_execz .LBB246_5
; %bb.2:
	s_load_dwordx2 s[14:15], s[4:5], 0x18
	v_cvt_f32_u32_e32 v0, s0
	s_mov_b32 s9, 0
	s_lshl_b64 s[16:17], s[8:9], 2
	v_and_b32_e32 v4, 7, v3
	s_waitcnt lgkmcnt(0)
	s_add_u32 s14, s14, s16
	v_rcp_iflag_f32_e32 v0, v0
	s_addc_u32 s15, s15, s17
	s_load_dword s1, s[14:15], 0x0
	s_load_dwordx4 s[16:19], s[4:5], 0x0
	s_mul_i32 s5, s12, s2
	v_mul_f32_e32 v0, 0x4f7ffffe, v0
	v_cvt_u32_f32_e32 v0, v0
	s_waitcnt lgkmcnt(0)
	s_mul_i32 s1, s5, s1
	s_mul_hi_i32 s5, s1, 0xd2
	s_mulk_i32 s1, 0xd2
	s_add_u32 s14, s16, s1
	s_addc_u32 s15, s17, s5
	s_sub_i32 s1, 0, s0
	v_readfirstlane_b32 s5, v0
	s_mul_i32 s1, s1, s5
	s_mul_hi_u32 s1, s5, s1
	s_add_i32 s5, s5, s1
	s_mul_hi_u32 s1, s8, s5
	s_mul_i32 s5, s1, s0
	s_sub_i32 s5, s8, s5
	s_add_i32 s13, s1, 1
	s_sub_i32 s16, s5, s0
	s_cmp_ge_u32 s5, s0
	s_cselect_b32 s1, s13, s1
	v_and_b32_e32 v0, 31, v3
	s_cselect_b32 s5, s16, s5
	s_add_i32 s13, s1, 1
	v_add_u32_e32 v2, 0xf0, v0
	v_cmp_gt_u32_e32 vcc, 16, v0
	s_cmp_ge_u32 s5, s0
	v_cndmask_b32_e32 v8, v2, v0, vcc
	s_cselect_b32 s0, s13, s1
	v_and_b32_e32 v2, 0xf8, v8
	s_mul_i32 s0, s0, s3
	s_mov_b32 s1, s9
	v_cmp_ne_u32_e32 vcc, 0, v2
	s_lshl_b64 s[0:1], s[0:1], 2
	v_cndmask_b32_e64 v10, 0, 1, vcc
	v_cmp_lt_u32_e32 vcc, 15, v0
	s_add_u32 s0, s18, s0
	v_cndmask_b32_e64 v2, 0, 1, vcc
	s_addc_u32 s1, s19, s1
	v_lshl_or_b32 v6, v2, 2, v10
	v_lshlrev_b32_e32 v11, 3, v2
	v_or_b32_e32 v2, v11, v4
	v_mad_u64_u32 v[6:7], s[0:1], v6, 36, s[0:1]
	v_bfe_u32 v8, v8, 2, 6
	s_movk_i32 s4, 0xd2
	v_mul_lo_u32 v12, v1, s12
	v_lshlrev_b32_e32 v0, 2, v0
	v_mov_b32_e32 v9, 0
	v_lshlrev_b32_e32 v2, 2, v2
	v_lshlrev_b32_e32 v4, 2, v4
	v_lshlrev_b32_e32 v13, 1, v10
	v_add_u32_e32 v8, v8, v11
	v_lshlrev_b32_e32 v14, 3, v5
	s_mov_b64 s[0:1], 0
	v_pk_mov_b32 v[10:11], s[14:15], s[14:15] op_sel:[0,1]
	s_mov_b32 s3, 0xf0f0f0f
	s_mov_b32 s5, 0x30303030
	s_movk_i32 s9, 0x3f00
	s_movk_i32 s13, 0xe000
	v_mov_b32_e32 v15, 8
.LBB246_3:                              ; =>This Inner Loop Header: Depth=1
	v_mad_i64_i32 v[16:17], s[14:15], v14, 36, v[6:7]
	v_add_u32_e32 v18, v12, v5
	v_add_co_u32_e32 v20, vcc, v16, v4
	v_mad_i64_i32 v[18:19], s[14:15], v18, s4, v[10:11]
	v_addc_co_u32_e32 v21, vcc, 0, v17, vcc
	v_add_co_u32_e32 v22, vcc, v18, v0
	v_addc_co_u32_e32 v23, vcc, 0, v19, vcc
	v_add_co_u32_e32 v24, vcc, v18, v2
	v_addc_co_u32_e32 v25, vcc, 0, v19, vcc
	global_load_dword v26, v[24:25], off offset:128
	global_load_dword v27, v[22:23], off
	global_load_dword v28, v[20:21], off offset:4
	global_load_dword v29, v[20:21], off offset:76
	v_add_co_u32_e32 v20, vcc, v18, v8
	v_addc_co_u32_e32 v21, vcc, 0, v19, vcc
	global_load_sbyte v22, v[20:21], off offset:192
	global_load_sbyte v23, v[20:21], off offset:196
	global_load_dword v24, v[16:17], off
	global_load_dword v25, v[16:17], off offset:72
	global_load_ushort v30, v[18:19], off offset:208
	v_mov_b32_e32 v16, 0
	v_mov_b32_e32 v17, 0
	v_add_u32_e32 v5, 2, v5
	v_cmp_le_u32_e32 vcc, s12, v5
	v_add_u32_e32 v14, 16, v14
	s_or_b64 s[0:1], vcc, s[0:1]
	s_waitcnt vmcnt(8)
	v_ashrrev_i32_e32 v18, v13, v26
	s_waitcnt vmcnt(7)
	v_and_b32_e32 v19, 0xf0f0f0f, v27
	v_lshlrev_b32_e32 v21, 4, v18
	v_lshrrev_b32_e32 v20, 4, v27
	v_and_b32_e32 v18, 0x30303030, v18
	v_and_or_b32 v19, v21, s5, v19
	v_and_or_b32 v18, v20, s3, v18
	v_and_b32_e32 v20, 0x3f00, v19
	v_lshlrev_b16_e32 v21, 8, v19
	v_and_b32_sdwa v26, v19, s9 dst_sel:DWORD dst_unused:UNUSED_PAD src0_sel:WORD_1 src1_sel:DWORD
	v_lshlrev_b16_sdwa v19, v15, v19 dst_sel:DWORD dst_unused:UNUSED_PAD src0_sel:DWORD src1_sel:WORD_1
	v_and_b32_e32 v27, 0x3f00, v18
	v_lshlrev_b16_e32 v31, 8, v18
	v_and_b32_sdwa v32, v18, s9 dst_sel:DWORD dst_unused:UNUSED_PAD src0_sel:WORD_1 src1_sel:DWORD
	v_lshlrev_b16_sdwa v18, v15, v18 dst_sel:DWORD dst_unused:UNUSED_PAD src0_sel:DWORD src1_sel:WORD_1
	v_add_u16_e32 v21, 0xe000, v21
	v_add_u16_e32 v19, 0xe000, v19
	;; [unrolled: 1-line block ×4, first 2 shown]
	v_or_b32_sdwa v20, v20, v21 dst_sel:DWORD dst_unused:UNUSED_PAD src0_sel:DWORD src1_sel:BYTE_1
	v_or_b32_sdwa v19, v26, v19 dst_sel:DWORD dst_unused:UNUSED_PAD src0_sel:DWORD src1_sel:BYTE_1
	;; [unrolled: 1-line block ×4, first 2 shown]
	v_add_u16_e32 v20, 0xe000, v20
	v_add_u16_sdwa v19, v19, s13 dst_sel:WORD_1 dst_unused:UNUSED_PAD src0_sel:DWORD src1_sel:DWORD
	v_add_u16_e32 v21, 0xe000, v21
	v_add_u16_sdwa v18, v18, s13 dst_sel:WORD_1 dst_unused:UNUSED_PAD src0_sel:DWORD src1_sel:DWORD
	v_or_b32_e32 v19, v20, v19
	v_or_b32_e32 v18, v21, v18
	s_waitcnt vmcnt(6)
	v_dot4c_i32_i8_e32 v16, v19, v28
	s_waitcnt vmcnt(5)
	v_dot4c_i32_i8_e32 v17, v18, v29
	s_waitcnt vmcnt(4)
	v_mul_lo_u32 v16, v16, v22
	s_waitcnt vmcnt(3)
	v_mul_lo_u32 v17, v17, v23
	v_cvt_f32_i32_e32 v16, v16
	v_cvt_f32_i32_e32 v17, v17
	s_waitcnt vmcnt(2)
	v_fma_mix_f32 v16, v24, v16, 0 op_sel_hi:[1,0,0]
	s_waitcnt vmcnt(1)
	v_fma_mix_f32 v16, v25, v17, v16 op_sel_hi:[1,0,0]
	;; [unrolled: 2-line block ×3, first 2 shown]
	s_andn2_b64 exec, exec, s[0:1]
	s_cbranch_execnz .LBB246_3
; %bb.4:
	s_or_b64 exec, exec, s[0:1]
.LBB246_5:
	s_or_b64 exec, exec, s[10:11]
	v_mbcnt_lo_u32_b32 v0, -1, 0
	v_mbcnt_hi_u32_b32 v2, -1, v0
	v_and_b32_e32 v0, 64, v2
	v_add_u32_e32 v4, 64, v0
	v_xor_b32_e32 v0, 32, v2
	v_cmp_lt_i32_e32 vcc, v0, v4
	v_cndmask_b32_e32 v0, v2, v0, vcc
	v_lshlrev_b32_e32 v0, 2, v0
	ds_bpermute_b32 v0, v0, v9
	v_xor_b32_e32 v5, 16, v2
	v_cmp_lt_i32_e32 vcc, v5, v4
	v_cndmask_b32_e32 v5, v2, v5, vcc
	v_lshlrev_b32_e32 v5, 2, v5
	s_waitcnt lgkmcnt(0)
	v_add_f32_e32 v0, v9, v0
	ds_bpermute_b32 v5, v5, v0
	v_xor_b32_e32 v6, 8, v2
	v_cmp_lt_i32_e32 vcc, v6, v4
	s_waitcnt lgkmcnt(0)
	v_add_f32_e32 v0, v0, v5
	v_cndmask_b32_e32 v5, v2, v6, vcc
	v_lshlrev_b32_e32 v5, 2, v5
	ds_bpermute_b32 v5, v5, v0
	v_xor_b32_e32 v6, 4, v2
	v_cmp_lt_i32_e32 vcc, v6, v4
	s_waitcnt lgkmcnt(0)
	v_add_f32_e32 v0, v0, v5
	v_cndmask_b32_e32 v5, v2, v6, vcc
	v_lshlrev_b32_e32 v5, 2, v5
	;; [unrolled: 7-line block ×3, first 2 shown]
	ds_bpermute_b32 v5, v5, v0
	v_xor_b32_e32 v6, 1, v2
	v_cmp_lt_i32_e32 vcc, v6, v4
	v_cndmask_b32_e32 v2, v2, v6, vcc
	v_lshlrev_b32_e32 v2, 2, v2
	s_waitcnt lgkmcnt(0)
	v_add_f32_e32 v0, v0, v5
	ds_bpermute_b32 v2, v2, v0
	v_cmp_eq_u32_e32 vcc, 0, v3
	s_and_b64 exec, exec, vcc
	s_cbranch_execz .LBB246_7
; %bb.6:
	s_mul_i32 s0, s8, s2
	s_waitcnt lgkmcnt(0)
	v_add_f32_e32 v2, v0, v2
	v_add_u32_e32 v0, s0, v1
	v_mov_b32_e32 v1, 0
	v_lshlrev_b64 v[0:1], 2, v[0:1]
	v_mov_b32_e32 v3, s7
	v_add_co_u32_e32 v0, vcc, s6, v0
	v_addc_co_u32_e32 v1, vcc, v3, v1, vcc
	global_store_dword v[0:1], v2, off
.LBB246_7:
	s_endpgm
	.section	.rodata,"a",@progbits
	.p2align	6, 0x0
	.amdhsa_kernel _ZL9moe_vec_qIfLi256ELi32E10block_q6_KLi1EXadL_ZL17vec_dot_q6_K_q8_1PKvPK10block_q8_1RKiEEEvS2_S2_PT_PS6_iiii
		.amdhsa_group_segment_fixed_size 0
		.amdhsa_private_segment_fixed_size 0
		.amdhsa_kernarg_size 304
		.amdhsa_user_sgpr_count 6
		.amdhsa_user_sgpr_private_segment_buffer 1
		.amdhsa_user_sgpr_dispatch_ptr 0
		.amdhsa_user_sgpr_queue_ptr 0
		.amdhsa_user_sgpr_kernarg_segment_ptr 1
		.amdhsa_user_sgpr_dispatch_id 0
		.amdhsa_user_sgpr_flat_scratch_init 0
		.amdhsa_user_sgpr_kernarg_preload_length 0
		.amdhsa_user_sgpr_kernarg_preload_offset 0
		.amdhsa_user_sgpr_private_segment_size 0
		.amdhsa_uses_dynamic_stack 0
		.amdhsa_system_sgpr_private_segment_wavefront_offset 0
		.amdhsa_system_sgpr_workgroup_id_x 1
		.amdhsa_system_sgpr_workgroup_id_y 0
		.amdhsa_system_sgpr_workgroup_id_z 1
		.amdhsa_system_sgpr_workgroup_info 0
		.amdhsa_system_vgpr_workitem_id 1
		.amdhsa_next_free_vgpr 33
		.amdhsa_next_free_sgpr 20
		.amdhsa_accum_offset 36
		.amdhsa_reserve_vcc 1
		.amdhsa_reserve_flat_scratch 0
		.amdhsa_float_round_mode_32 0
		.amdhsa_float_round_mode_16_64 0
		.amdhsa_float_denorm_mode_32 3
		.amdhsa_float_denorm_mode_16_64 3
		.amdhsa_dx10_clamp 1
		.amdhsa_ieee_mode 1
		.amdhsa_fp16_overflow 0
		.amdhsa_tg_split 0
		.amdhsa_exception_fp_ieee_invalid_op 0
		.amdhsa_exception_fp_denorm_src 0
		.amdhsa_exception_fp_ieee_div_zero 0
		.amdhsa_exception_fp_ieee_overflow 0
		.amdhsa_exception_fp_ieee_underflow 0
		.amdhsa_exception_fp_ieee_inexact 0
		.amdhsa_exception_int_div_zero 0
	.end_amdhsa_kernel
	.section	.text._ZL9moe_vec_qIfLi256ELi32E10block_q6_KLi1EXadL_ZL17vec_dot_q6_K_q8_1PKvPK10block_q8_1RKiEEEvS2_S2_PT_PS6_iiii,"axG",@progbits,_ZL9moe_vec_qIfLi256ELi32E10block_q6_KLi1EXadL_ZL17vec_dot_q6_K_q8_1PKvPK10block_q8_1RKiEEEvS2_S2_PT_PS6_iiii,comdat
.Lfunc_end246:
	.size	_ZL9moe_vec_qIfLi256ELi32E10block_q6_KLi1EXadL_ZL17vec_dot_q6_K_q8_1PKvPK10block_q8_1RKiEEEvS2_S2_PT_PS6_iiii, .Lfunc_end246-_ZL9moe_vec_qIfLi256ELi32E10block_q6_KLi1EXadL_ZL17vec_dot_q6_K_q8_1PKvPK10block_q8_1RKiEEEvS2_S2_PT_PS6_iiii
                                        ; -- End function
	.section	.AMDGPU.csdata,"",@progbits
; Kernel info:
; codeLenInByte = 1188
; NumSgprs: 24
; NumVgprs: 33
; NumAgprs: 0
; TotalNumVgprs: 33
; ScratchSize: 0
; MemoryBound: 0
; FloatMode: 240
; IeeeMode: 1
; LDSByteSize: 0 bytes/workgroup (compile time only)
; SGPRBlocks: 2
; VGPRBlocks: 4
; NumSGPRsForWavesPerEU: 24
; NumVGPRsForWavesPerEU: 33
; AccumOffset: 36
; Occupancy: 8
; WaveLimiterHint : 1
; COMPUTE_PGM_RSRC2:SCRATCH_EN: 0
; COMPUTE_PGM_RSRC2:USER_SGPR: 6
; COMPUTE_PGM_RSRC2:TRAP_HANDLER: 0
; COMPUTE_PGM_RSRC2:TGID_X_EN: 1
; COMPUTE_PGM_RSRC2:TGID_Y_EN: 0
; COMPUTE_PGM_RSRC2:TGID_Z_EN: 1
; COMPUTE_PGM_RSRC2:TIDIG_COMP_CNT: 1
; COMPUTE_PGM_RSRC3_GFX90A:ACCUM_OFFSET: 8
; COMPUTE_PGM_RSRC3_GFX90A:TG_SPLIT: 0
	.section	.text._ZL9moe_vec_qIfLi256ELi8E13block_iq2_xxsLi1EXadL_ZL20vec_dot_iq2_xxs_q8_1PKvPK10block_q8_1RKiEEEvS2_S2_PT_PS6_iiii,"axG",@progbits,_ZL9moe_vec_qIfLi256ELi8E13block_iq2_xxsLi1EXadL_ZL20vec_dot_iq2_xxs_q8_1PKvPK10block_q8_1RKiEEEvS2_S2_PT_PS6_iiii,comdat
	.globl	_ZL9moe_vec_qIfLi256ELi8E13block_iq2_xxsLi1EXadL_ZL20vec_dot_iq2_xxs_q8_1PKvPK10block_q8_1RKiEEEvS2_S2_PT_PS6_iiii ; -- Begin function _ZL9moe_vec_qIfLi256ELi8E13block_iq2_xxsLi1EXadL_ZL20vec_dot_iq2_xxs_q8_1PKvPK10block_q8_1RKiEEEvS2_S2_PT_PS6_iiii
	.p2align	8
	.type	_ZL9moe_vec_qIfLi256ELi8E13block_iq2_xxsLi1EXadL_ZL20vec_dot_iq2_xxs_q8_1PKvPK10block_q8_1RKiEEEvS2_S2_PT_PS6_iiii,@function
_ZL9moe_vec_qIfLi256ELi8E13block_iq2_xxsLi1EXadL_ZL20vec_dot_iq2_xxs_q8_1PKvPK10block_q8_1RKiEEEvS2_S2_PT_PS6_iiii: ; @_ZL9moe_vec_qIfLi256ELi8E13block_iq2_xxsLi1EXadL_ZL20vec_dot_iq2_xxs_q8_1PKvPK10block_q8_1RKiEEEvS2_S2_PT_PS6_iiii
; %bb.0:
	s_load_dword s0, s[4:5], 0x3c
	s_load_dwordx4 s[48:51], s[4:5], 0x20
	v_bfe_u32 v1, v0, 10, 10
	s_waitcnt lgkmcnt(0)
	s_lshr_b32 s0, s0, 16
	s_mul_i32 s6, s6, s0
	v_add_u32_e32 v6, s6, v1
	v_cmp_gt_u32_e32 vcc, s50, v6
	s_and_saveexec_b64 s[0:1], vcc
	s_cbranch_execz .LBB247_7
; %bb.1:
	s_load_dwordx2 s[54:55], s[4:5], 0x10
	s_ashr_i32 s0, s49, 31
	s_lshr_b32 s0, s0, 24
	s_add_i32 s0, s49, s0
	v_and_b32_e32 v7, 0x3ff, v0
	s_ashr_i32 s33, s0, 8
	v_lshrrev_b32_e32 v8, 3, v7
	s_mov_b32 s52, s7
	v_cmp_gt_u32_e32 vcc, s33, v8
	v_mov_b32_e32 v9, 0
	s_and_saveexec_b64 s[56:57], vcc
	s_cbranch_execz .LBB247_5
; %bb.2:
	s_load_dwordx2 s[0:1], s[4:5], 0x18
	v_cvt_f32_u32_e32 v0, s48
	s_mov_b32 s53, 0
	s_lshl_b64 s[2:3], s[52:53], 2
	s_movk_i32 s60, 0x42
	s_waitcnt lgkmcnt(0)
	s_add_u32 s6, s0, s2
	v_rcp_iflag_f32_e32 v0, v0
	s_addc_u32 s7, s1, s3
	s_load_dword s8, s[6:7], 0x0
	s_load_dwordx4 s[0:3], s[4:5], 0x0
	s_mul_i32 s4, s33, s50
	v_mul_f32_e32 v0, 0x4f7ffffe, v0
	v_cvt_u32_f32_e32 v0, v0
	s_waitcnt lgkmcnt(0)
	s_mul_i32 s4, s4, s8
	s_mul_hi_i32 s5, s4, 0x42
	s_mulk_i32 s4, 0x42
	s_add_u32 s0, s0, s4
	s_addc_u32 s1, s1, s5
	s_sub_i32 s4, 0, s48
	v_readfirstlane_b32 s5, v0
	s_mul_i32 s4, s4, s5
	s_mul_hi_u32 s4, s5, s4
	s_add_i32 s5, s5, s4
	s_mul_hi_u32 s4, s52, s5
	s_mul_i32 s5, s4, s48
	s_sub_i32 s5, s52, s5
	s_add_i32 s6, s4, 1
	s_sub_i32 s7, s5, s48
	s_cmp_ge_u32 s5, s48
	s_cselect_b32 s4, s6, s4
	s_cselect_b32 s5, s7, s5
	s_add_i32 s6, s4, 1
	s_cmp_ge_u32 s5, s48
	s_cselect_b32 s4, s6, s4
	s_mul_i32 s4, s4, s51
	s_mov_b32 s5, s53
	s_lshl_b64 s[4:5], s[4:5], 2
	s_add_u32 s2, s2, s4
	v_and_b32_e32 v0, 7, v7
	s_addc_u32 s3, s3, s5
	v_lshlrev_b32_e32 v4, 2, v0
	v_mul_lo_u32 v10, v6, s33
	v_mov_b32_e32 v9, 0
	v_mad_u64_u32 v[0:1], s[2:3], v0, 36, s[2:3]
	v_lshlrev_b32_e32 v11, 3, v8
	s_mov_b64 s[58:59], 0
	v_pk_mov_b32 v[2:3], s[0:1], s[0:1] op_sel:[0,1]
	v_lshlrev_b32_e32 v12, 1, v4
	s_mov_b32 s51, 0xffff
	v_mov_b32_e32 v13, 3
.LBB247_3:                              ; =>This Inner Loop Header: Depth=1
	v_add_u32_e32 v14, v10, v8
	v_mad_i64_i32 v[4:5], s[0:1], v11, 36, v[0:1]
	s_getpc_b64 s[2:3]
	s_add_u32 s2, s2, _ZL11iq2xxs_grid@rel32@lo+4
	s_addc_u32 s3, s3, _ZL11iq2xxs_grid@rel32@hi+12
	v_add_u32_e32 v8, 8, v8
	v_mad_i64_i32 v[22:23], s[0:1], v14, s60, v[2:3]
	s_getpc_b64 s[6:7]
	s_add_u32 s6, s6, _ZL12ksigns_iq2xs@rel32@lo+4
	s_addc_u32 s7, s7, _ZL12ksigns_iq2xs@rel32@hi+12
	global_load_dwordx4 v[14:17], v[4:5], off offset:20
	global_load_dwordx4 v[18:21], v[4:5], off offset:4
	global_load_ushort v24, v[4:5], off
	v_cmp_le_u32_e32 vcc, s33, v8
	v_add_co_u32_e64 v4, s[0:1], v22, v12
	s_or_b64 s[58:59], vcc, s[58:59]
	v_addc_co_u32_e64 v5, vcc, 0, v23, s[0:1]
	global_load_ushort v22, v[22:23], off
	s_nop 0
	global_load_dword v23, v[4:5], off offset:2
	global_load_dword v28, v[4:5], off offset:6
	v_add_u32_e32 v11, 64, v11
	s_waitcnt vmcnt(3)
	v_cvt_f32_f16_e32 v29, v24
	s_waitcnt vmcnt(1)
	v_lshlrev_b32_sdwa v31, v13, v23 dst_sel:DWORD dst_unused:UNUSED_PAD src0_sel:DWORD src1_sel:BYTE_0
	v_cvt_f32_f16_e32 v30, v22
	v_lshlrev_b32_sdwa v33, v13, v23 dst_sel:DWORD dst_unused:UNUSED_PAD src0_sel:DWORD src1_sel:BYTE_1
	v_lshlrev_b32_sdwa v35, v13, v23 dst_sel:DWORD dst_unused:UNUSED_PAD src0_sel:DWORD src1_sel:BYTE_2
	v_lshlrev_b32_sdwa v36, v13, v23 dst_sel:DWORD dst_unused:UNUSED_PAD src0_sel:DWORD src1_sel:BYTE_3
	global_load_dwordx2 v[4:5], v31, s[2:3]
	global_load_dwordx2 v[22:23], v33, s[2:3]
	;; [unrolled: 1-line block ×4, first 2 shown]
	s_waitcnt vmcnt(4)
	v_and_b32_e32 v32, 0x7f, v28
	v_bfe_u32 v34, v28, 7, 7
	v_bfe_u32 v37, v28, 21, 7
	global_load_sbyte v52, v32, s[6:7]
	global_load_sbyte v53, v34, s[6:7]
	;; [unrolled: 1-line block ×3, first 2 shown]
	v_lshrrev_b32_e32 v51, 28, v28
	v_cmp_gt_u32_e64 s[0:1], 64, v32
	v_cmp_gt_u32_e32 vcc, 64, v37
	v_cmp_gt_u32_e64 s[2:3], 64, v34
	s_waitcnt vmcnt(6)
	v_mul_i32_i24_sdwa v31, v4, sext(v18) dst_sel:DWORD dst_unused:UNUSED_PAD src0_sel:BYTE_0 src1_sel:BYTE_0
	v_mul_i32_i24_sdwa v33, v4, sext(v18) dst_sel:DWORD dst_unused:UNUSED_PAD src0_sel:BYTE_1 src1_sel:BYTE_1
	v_mul_i32_i24_sdwa v35, v4, sext(v18) dst_sel:DWORD dst_unused:UNUSED_PAD src0_sel:BYTE_2 src1_sel:BYTE_2
	v_mul_i32_i24_sdwa v4, v4, sext(v18) dst_sel:DWORD dst_unused:UNUSED_PAD src0_sel:BYTE_3 src1_sel:BYTE_3
	v_mul_i32_i24_sdwa v18, v5, sext(v19) dst_sel:DWORD dst_unused:UNUSED_PAD src0_sel:BYTE_0 src1_sel:BYTE_0
	v_mul_i32_i24_sdwa v36, v5, sext(v19) dst_sel:DWORD dst_unused:UNUSED_PAD src0_sel:BYTE_1 src1_sel:BYTE_1
	v_mul_i32_i24_sdwa v38, v5, sext(v19) dst_sel:DWORD dst_unused:UNUSED_PAD src0_sel:BYTE_2 src1_sel:BYTE_2
	v_mul_i32_i24_sdwa v5, v5, sext(v19) dst_sel:DWORD dst_unused:UNUSED_PAD src0_sel:BYTE_3 src1_sel:BYTE_3
	s_waitcnt vmcnt(5)
	v_mul_i32_i24_sdwa v19, v22, sext(v20) dst_sel:DWORD dst_unused:UNUSED_PAD src0_sel:BYTE_0 src1_sel:BYTE_0
	v_mul_i32_i24_sdwa v39, v22, sext(v20) dst_sel:DWORD dst_unused:UNUSED_PAD src0_sel:BYTE_1 src1_sel:BYTE_1
	v_mul_i32_i24_sdwa v40, v22, sext(v20) dst_sel:DWORD dst_unused:UNUSED_PAD src0_sel:BYTE_2 src1_sel:BYTE_2
	v_mul_i32_i24_sdwa v20, v22, sext(v20) dst_sel:DWORD dst_unused:UNUSED_PAD src0_sel:BYTE_3 src1_sel:BYTE_3
	v_mul_i32_i24_sdwa v22, v23, sext(v21) dst_sel:DWORD dst_unused:UNUSED_PAD src0_sel:BYTE_0 src1_sel:BYTE_0
	v_mul_i32_i24_sdwa v41, v23, sext(v21) dst_sel:DWORD dst_unused:UNUSED_PAD src0_sel:BYTE_1 src1_sel:BYTE_1
	v_mul_i32_i24_sdwa v42, v23, sext(v21) dst_sel:DWORD dst_unused:UNUSED_PAD src0_sel:BYTE_2 src1_sel:BYTE_2
	v_mul_i32_i24_sdwa v21, v23, sext(v21) dst_sel:DWORD dst_unused:UNUSED_PAD src0_sel:BYTE_3 src1_sel:BYTE_3
	;; [unrolled: 9-line block ×4, first 2 shown]
	v_and_b32_e32 v27, 0xffff0000, v28
	v_and_or_b32 v27, v28, s51, v27
	v_bfe_u32 v27, v27, 14, 7
	v_cmp_gt_u32_e64 s[4:5], 64, v27
	global_load_sbyte v27, v27, s[6:7]
	s_waitcnt vmcnt(3)
	v_and_b32_e32 v32, 2, v52
	v_and_b32_e32 v37, 8, v52
	v_cvt_f32_ubyte0_e32 v28, v51
	v_and_b32_e32 v34, 4, v52
	v_and_b32_e32 v51, 16, v52
	v_cmp_eq_u16_e64 s[6:7], 0, v32
	v_and_b32_e32 v32, 32, v52
	v_cmp_eq_u16_e64 s[10:11], 0, v37
	s_waitcnt vmcnt(2)
	v_and_b32_e32 v37, 2, v53
	v_cmp_eq_u16_e64 s[8:9], 0, v34
	v_and_b32_e32 v34, 1, v53
	v_cmp_eq_u16_e64 s[12:13], 0, v51
	;; [unrolled: 2-line block ×4, first 2 shown]
	s_waitcnt vmcnt(1)
	v_and_b32_e32 v37, 1, v54
	v_cmp_gt_i16_e64 s[34:35], 0, v52
	v_and_b32_e32 v52, 1, v52
	v_cmp_eq_u16_e64 s[16:17], 0, v34
	v_and_b32_e32 v34, 16, v53
	v_cmp_gt_i16_e64 s[18:19], 0, v53
	v_and_b32_e32 v53, 32, v53
	v_cmp_eq_u16_e64 s[22:23], 0, v51
	v_and_b32_e32 v51, 2, v54
	v_cmp_eq_u16_e64 s[24:25], 0, v32
	;; [unrolled: 2-line block ×3, first 2 shown]
	v_sub_u32_e32 v37, 0, v33
	v_cmp_eq_u16_e64 s[48:49], 0, v52
	v_sub_u32_e32 v52, 0, v31
	v_cmp_eq_u16_e64 s[26:27], 0, v34
	v_and_b32_e32 v34, 8, v54
	v_cmp_eq_u16_e64 s[28:29], 0, v53
	v_and_b32_e32 v53, 16, v54
	v_cmp_gt_i16_e64 s[30:31], 0, v54
	v_and_b32_e32 v54, 32, v54
	v_cmp_eq_u16_e64 s[38:39], 0, v51
	v_sub_u32_e32 v51, 0, v35
	v_cmp_eq_u16_e64 s[40:41], 0, v32
	v_sub_u32_e32 v32, 0, v4
	v_cndmask_b32_e64 v31, v52, v31, s[48:49]
	v_sub_u32_e32 v52, 0, v19
	v_cndmask_b32_e64 v33, v37, v33, s[6:7]
	v_cmp_eq_u16_e64 s[42:43], 0, v34
	v_sub_u32_e32 v34, 0, v18
	v_cmp_eq_u16_e64 s[44:45], 0, v53
	v_sub_u32_e32 v53, 0, v36
	;; [unrolled: 2-line block ×3, first 2 shown]
	v_cndmask_b32_e64 v35, v51, v35, s[8:9]
	v_cndmask_b32_e64 v4, v32, v4, s[10:11]
	v_cndmask_b32_e64 v19, v52, v19, s[16:17]
	v_sub_u32_e32 v52, 0, v21
	v_add_u32_e32 v31, v33, v31
	v_cndmask_b32_e64 v18, v34, v18, s[12:13]
	v_cndmask_b32_e64 v36, v53, v36, s[14:15]
	;; [unrolled: 1-line block ×3, first 2 shown]
	v_sub_u32_e32 v54, 0, v5
	v_cndmask_b32_e64 v21, v21, v52, s[18:19]
	v_sub_u32_e32 v52, 0, v46
	v_add3_u32 v4, v31, v35, v4
	v_sub_u32_e32 v37, 0, v39
	v_cndmask_b32_e64 v5, v5, v54, s[34:35]
	v_cndmask_b32_e64 v46, v52, v46, s[4:5]
	v_sub_u32_e32 v52, 0, v50
	v_add3_u32 v4, v4, v18, v36
	v_sub_u32_e32 v51, 0, v40
	v_sub_u32_e32 v32, 0, v20
	v_cndmask_b32_e64 v37, v37, v39, s[20:21]
	v_cndmask_b32_e32 v50, v52, v50, vcc
	v_sub_u32_e32 v52, 0, v15
	v_add3_u32 v4, v4, v38, v5
	v_sub_u32_e32 v34, 0, v22
	v_sub_u32_e32 v53, 0, v41
	v_cndmask_b32_e64 v40, v51, v40, s[22:23]
	v_cndmask_b32_e64 v20, v32, v20, s[24:25]
	v_add3_u32 v4, v4, v19, v37
	v_sub_u32_e32 v54, 0, v42
	s_waitcnt vmcnt(0)
	v_cmp_gt_i16_e32 vcc, 0, v27
	v_cndmask_b32_e32 v15, v15, v52, vcc
	v_and_b32_e32 v52, 1, v27
	v_sub_u32_e32 v51, 0, v47
	v_sub_u32_e32 v32, 0, v48
	v_cndmask_b32_e64 v22, v34, v22, s[26:27]
	v_cndmask_b32_e64 v41, v53, v41, s[28:29]
	v_and_b32_e32 v33, 2, v27
	v_cmp_eq_u16_e32 vcc, 0, v52
	v_and_b32_e32 v52, 4, v27
	v_add3_u32 v4, v4, v40, v20
	v_sub_u32_e32 v39, 0, v25
	v_sub_u32_e32 v34, 0, v16
	;; [unrolled: 1-line block ×3, first 2 shown]
	v_cndmask_b32_e64 v42, v54, v42, s[2:3]
	v_cndmask_b32_e64 v47, v51, v47, s[38:39]
	v_sub_u32_e32 v51, 0, v23
	v_cndmask_b32_e64 v32, v32, v48, s[40:41]
	v_sub_u32_e32 v48, 0, v43
	v_cmp_eq_u16_e64 s[0:1], 0, v33
	v_and_b32_e32 v33, 8, v27
	v_cmp_eq_u16_e64 s[2:3], 0, v52
	v_and_b32_e32 v52, 16, v27
	v_and_b32_e32 v27, 32, v27
	v_add3_u32 v4, v4, v22, v41
	v_sub_u32_e32 v54, 0, v49
	v_cndmask_b32_e64 v25, v39, v25, s[36:37]
	v_sub_u32_e32 v39, 0, v17
	v_cndmask_b32_e64 v16, v34, v16, s[42:43]
	v_sub_u32_e32 v34, 0, v44
	v_cndmask_b32_e64 v26, v53, v26, s[44:45]
	v_sub_u32_e32 v53, 0, v14
	v_cmp_eq_u16_e64 s[4:5], 0, v33
	v_cmp_eq_u16_e64 s[8:9], 0, v27
	v_cndmask_b32_e32 v23, v51, v23, vcc
	v_cndmask_b32_e64 v27, v48, v43, s[0:1]
	v_add3_u32 v4, v4, v42, v21
	v_cndmask_b32_e64 v49, v54, v49, s[46:47]
	v_sub_u32_e32 v54, 0, v24
	v_cndmask_b32_e64 v17, v17, v39, s[30:31]
	v_sub_u32_e32 v39, 0, v45
	v_cmp_eq_u16_e64 s[6:7], 0, v52
	v_cndmask_b32_e64 v33, v34, v44, s[2:3]
	v_cndmask_b32_e64 v14, v53, v14, s[4:5]
	v_add3_u32 v4, v4, v23, v27
	v_cndmask_b32_e64 v24, v54, v24, s[6:7]
	v_cndmask_b32_e64 v34, v39, v45, s[8:9]
	v_add3_u32 v4, v4, v33, v14
	v_add3_u32 v4, v4, v24, v34
	;; [unrolled: 1-line block ×7, first 2 shown]
	v_add_f32_e32 v28, 0.5, v28
	v_cvt_f32_i32_e32 v4, v4
	v_mul_f32_e32 v5, v28, v30
	v_mul_f32_e32 v5, v5, v29
	;; [unrolled: 1-line block ×3, first 2 shown]
	v_fmac_f32_e32 v9, v5, v4
	s_andn2_b64 exec, exec, s[58:59]
	s_cbranch_execnz .LBB247_3
; %bb.4:
	s_or_b64 exec, exec, s[58:59]
.LBB247_5:
	s_or_b64 exec, exec, s[56:57]
	v_mbcnt_lo_u32_b32 v0, -1, 0
	v_mbcnt_hi_u32_b32 v1, -1, v0
	v_and_b32_e32 v0, 64, v1
	v_add_u32_e32 v2, 64, v0
	v_xor_b32_e32 v0, 32, v1
	v_cmp_lt_i32_e32 vcc, v0, v2
	v_cndmask_b32_e32 v0, v1, v0, vcc
	v_lshlrev_b32_e32 v0, 2, v0
	ds_bpermute_b32 v0, v0, v9
	v_xor_b32_e32 v3, 16, v1
	v_cmp_lt_i32_e32 vcc, v3, v2
	v_cndmask_b32_e32 v3, v1, v3, vcc
	v_lshlrev_b32_e32 v3, 2, v3
	s_waitcnt lgkmcnt(0)
	v_add_f32_e32 v0, v9, v0
	ds_bpermute_b32 v3, v3, v0
	v_xor_b32_e32 v4, 8, v1
	v_cmp_lt_i32_e32 vcc, v4, v2
	s_waitcnt lgkmcnt(0)
	v_add_f32_e32 v0, v0, v3
	v_cndmask_b32_e32 v3, v1, v4, vcc
	v_lshlrev_b32_e32 v3, 2, v3
	ds_bpermute_b32 v3, v3, v0
	v_xor_b32_e32 v4, 4, v1
	v_cmp_lt_i32_e32 vcc, v4, v2
	s_waitcnt lgkmcnt(0)
	v_add_f32_e32 v0, v0, v3
	v_cndmask_b32_e32 v3, v1, v4, vcc
	v_lshlrev_b32_e32 v3, 2, v3
	;; [unrolled: 7-line block ×3, first 2 shown]
	ds_bpermute_b32 v3, v3, v0
	v_xor_b32_e32 v4, 1, v1
	v_cmp_lt_i32_e32 vcc, v4, v2
	v_cndmask_b32_e32 v1, v1, v4, vcc
	v_lshlrev_b32_e32 v1, 2, v1
	s_waitcnt lgkmcnt(0)
	v_add_f32_e32 v0, v0, v3
	ds_bpermute_b32 v1, v1, v0
	v_cmp_eq_u32_e32 vcc, 0, v7
	s_and_b64 exec, exec, vcc
	s_cbranch_execz .LBB247_7
; %bb.6:
	s_mul_i32 s0, s52, s50
	s_waitcnt lgkmcnt(0)
	v_add_f32_e32 v2, v0, v1
	v_add_u32_e32 v0, s0, v6
	v_mov_b32_e32 v1, 0
	v_lshlrev_b64 v[0:1], 2, v[0:1]
	v_mov_b32_e32 v3, s55
	v_add_co_u32_e32 v0, vcc, s54, v0
	v_addc_co_u32_e32 v1, vcc, v3, v1, vcc
	global_store_dword v[0:1], v2, off
.LBB247_7:
	s_endpgm
	.section	.rodata,"a",@progbits
	.p2align	6, 0x0
	.amdhsa_kernel _ZL9moe_vec_qIfLi256ELi8E13block_iq2_xxsLi1EXadL_ZL20vec_dot_iq2_xxs_q8_1PKvPK10block_q8_1RKiEEEvS2_S2_PT_PS6_iiii
		.amdhsa_group_segment_fixed_size 0
		.amdhsa_private_segment_fixed_size 0
		.amdhsa_kernarg_size 304
		.amdhsa_user_sgpr_count 6
		.amdhsa_user_sgpr_private_segment_buffer 1
		.amdhsa_user_sgpr_dispatch_ptr 0
		.amdhsa_user_sgpr_queue_ptr 0
		.amdhsa_user_sgpr_kernarg_segment_ptr 1
		.amdhsa_user_sgpr_dispatch_id 0
		.amdhsa_user_sgpr_flat_scratch_init 0
		.amdhsa_user_sgpr_kernarg_preload_length 0
		.amdhsa_user_sgpr_kernarg_preload_offset 0
		.amdhsa_user_sgpr_private_segment_size 0
		.amdhsa_uses_dynamic_stack 0
		.amdhsa_system_sgpr_private_segment_wavefront_offset 0
		.amdhsa_system_sgpr_workgroup_id_x 1
		.amdhsa_system_sgpr_workgroup_id_y 0
		.amdhsa_system_sgpr_workgroup_id_z 1
		.amdhsa_system_sgpr_workgroup_info 0
		.amdhsa_system_vgpr_workitem_id 1
		.amdhsa_next_free_vgpr 55
		.amdhsa_next_free_sgpr 61
		.amdhsa_accum_offset 56
		.amdhsa_reserve_vcc 1
		.amdhsa_reserve_flat_scratch 0
		.amdhsa_float_round_mode_32 0
		.amdhsa_float_round_mode_16_64 0
		.amdhsa_float_denorm_mode_32 3
		.amdhsa_float_denorm_mode_16_64 3
		.amdhsa_dx10_clamp 1
		.amdhsa_ieee_mode 1
		.amdhsa_fp16_overflow 0
		.amdhsa_tg_split 0
		.amdhsa_exception_fp_ieee_invalid_op 0
		.amdhsa_exception_fp_denorm_src 0
		.amdhsa_exception_fp_ieee_div_zero 0
		.amdhsa_exception_fp_ieee_overflow 0
		.amdhsa_exception_fp_ieee_underflow 0
		.amdhsa_exception_fp_ieee_inexact 0
		.amdhsa_exception_int_div_zero 0
	.end_amdhsa_kernel
	.section	.text._ZL9moe_vec_qIfLi256ELi8E13block_iq2_xxsLi1EXadL_ZL20vec_dot_iq2_xxs_q8_1PKvPK10block_q8_1RKiEEEvS2_S2_PT_PS6_iiii,"axG",@progbits,_ZL9moe_vec_qIfLi256ELi8E13block_iq2_xxsLi1EXadL_ZL20vec_dot_iq2_xxs_q8_1PKvPK10block_q8_1RKiEEEvS2_S2_PT_PS6_iiii,comdat
.Lfunc_end247:
	.size	_ZL9moe_vec_qIfLi256ELi8E13block_iq2_xxsLi1EXadL_ZL20vec_dot_iq2_xxs_q8_1PKvPK10block_q8_1RKiEEEvS2_S2_PT_PS6_iiii, .Lfunc_end247-_ZL9moe_vec_qIfLi256ELi8E13block_iq2_xxsLi1EXadL_ZL20vec_dot_iq2_xxs_q8_1PKvPK10block_q8_1RKiEEEvS2_S2_PT_PS6_iiii
                                        ; -- End function
	.section	.AMDGPU.csdata,"",@progbits
; Kernel info:
; codeLenInByte = 2108
; NumSgprs: 65
; NumVgprs: 55
; NumAgprs: 0
; TotalNumVgprs: 55
; ScratchSize: 0
; MemoryBound: 0
; FloatMode: 240
; IeeeMode: 1
; LDSByteSize: 0 bytes/workgroup (compile time only)
; SGPRBlocks: 8
; VGPRBlocks: 6
; NumSGPRsForWavesPerEU: 65
; NumVGPRsForWavesPerEU: 55
; AccumOffset: 56
; Occupancy: 8
; WaveLimiterHint : 1
; COMPUTE_PGM_RSRC2:SCRATCH_EN: 0
; COMPUTE_PGM_RSRC2:USER_SGPR: 6
; COMPUTE_PGM_RSRC2:TRAP_HANDLER: 0
; COMPUTE_PGM_RSRC2:TGID_X_EN: 1
; COMPUTE_PGM_RSRC2:TGID_Y_EN: 0
; COMPUTE_PGM_RSRC2:TGID_Z_EN: 1
; COMPUTE_PGM_RSRC2:TIDIG_COMP_CNT: 1
; COMPUTE_PGM_RSRC3_GFX90A:ACCUM_OFFSET: 13
; COMPUTE_PGM_RSRC3_GFX90A:TG_SPLIT: 0
	.section	.text._ZL9moe_vec_qIfLi256ELi8E12block_iq2_xsLi1EXadL_ZL19vec_dot_iq2_xs_q8_1PKvPK10block_q8_1RKiEEEvS2_S2_PT_PS6_iiii,"axG",@progbits,_ZL9moe_vec_qIfLi256ELi8E12block_iq2_xsLi1EXadL_ZL19vec_dot_iq2_xs_q8_1PKvPK10block_q8_1RKiEEEvS2_S2_PT_PS6_iiii,comdat
	.globl	_ZL9moe_vec_qIfLi256ELi8E12block_iq2_xsLi1EXadL_ZL19vec_dot_iq2_xs_q8_1PKvPK10block_q8_1RKiEEEvS2_S2_PT_PS6_iiii ; -- Begin function _ZL9moe_vec_qIfLi256ELi8E12block_iq2_xsLi1EXadL_ZL19vec_dot_iq2_xs_q8_1PKvPK10block_q8_1RKiEEEvS2_S2_PT_PS6_iiii
	.p2align	8
	.type	_ZL9moe_vec_qIfLi256ELi8E12block_iq2_xsLi1EXadL_ZL19vec_dot_iq2_xs_q8_1PKvPK10block_q8_1RKiEEEvS2_S2_PT_PS6_iiii,@function
_ZL9moe_vec_qIfLi256ELi8E12block_iq2_xsLi1EXadL_ZL19vec_dot_iq2_xs_q8_1PKvPK10block_q8_1RKiEEEvS2_S2_PT_PS6_iiii: ; @_ZL9moe_vec_qIfLi256ELi8E12block_iq2_xsLi1EXadL_ZL19vec_dot_iq2_xs_q8_1PKvPK10block_q8_1RKiEEEvS2_S2_PT_PS6_iiii
; %bb.0:
	s_load_dword s0, s[4:5], 0x3c
	s_load_dwordx4 s[64:67], s[4:5], 0x20
	v_bfe_u32 v1, v0, 10, 10
	s_waitcnt lgkmcnt(0)
	s_lshr_b32 s0, s0, 16
	s_mul_i32 s6, s6, s0
	v_add_u32_e32 v9, s6, v1
	v_cmp_gt_u32_e32 vcc, s66, v9
	s_and_saveexec_b64 s[0:1], vcc
	s_cbranch_execz .LBB248_7
; %bb.1:
	s_load_dwordx2 s[70:71], s[4:5], 0x10
	s_ashr_i32 s0, s65, 31
	s_lshr_b32 s0, s0, 24
	s_add_i32 s0, s65, s0
	v_and_b32_e32 v16, 0x3ff, v0
	s_ashr_i32 s33, s0, 8
	v_lshrrev_b32_e32 v17, 3, v16
	s_mov_b32 s68, s7
	v_cmp_gt_u32_e32 vcc, s33, v17
	v_mov_b32_e32 v18, 0
	s_and_saveexec_b64 s[72:73], vcc
	s_cbranch_execz .LBB248_5
; %bb.2:
	s_load_dwordx2 s[0:1], s[4:5], 0x18
	v_cvt_f32_u32_e32 v0, s64
	s_mov_b32 s69, 0
	s_lshl_b64 s[2:3], s[68:69], 2
	v_and_b32_e32 v8, 7, v16
	s_waitcnt lgkmcnt(0)
	s_add_u32 s6, s0, s2
	v_rcp_iflag_f32_e32 v0, v0
	s_addc_u32 s7, s1, s3
	s_load_dword s8, s[6:7], 0x0
	s_load_dwordx4 s[0:3], s[4:5], 0x0
	s_mul_i32 s4, s33, s66
	v_mul_f32_e32 v0, 0x4f7ffffe, v0
	v_cvt_u32_f32_e32 v0, v0
	s_waitcnt lgkmcnt(0)
	s_mul_i32 s4, s4, s8
	s_mul_hi_i32 s5, s4, 0x4a
	s_mulk_i32 s4, 0x4a
	s_add_u32 s0, s0, s4
	s_addc_u32 s1, s1, s5
	s_sub_i32 s4, 0, s64
	v_readfirstlane_b32 s5, v0
	s_mul_i32 s4, s4, s5
	s_mul_hi_u32 s4, s5, s4
	s_add_i32 s5, s5, s4
	s_mul_hi_u32 s4, s68, s5
	s_mul_i32 s5, s4, s64
	s_sub_i32 s5, s68, s5
	s_add_i32 s6, s4, 1
	s_sub_i32 s7, s5, s64
	s_cmp_ge_u32 s5, s64
	s_cselect_b32 s4, s6, s4
	s_cselect_b32 s5, s7, s5
	s_add_i32 s6, s4, 1
	s_cmp_ge_u32 s5, s64
	s_cselect_b32 s4, s6, s4
	s_mul_i32 s4, s4, s67
	s_mov_b32 s5, s69
	s_lshl_b64 s[4:5], s[4:5], 2
	s_add_u32 s2, s2, s4
	s_addc_u32 s3, s3, s5
	v_lshlrev_b32_e32 v0, 2, v8
	s_movk_i32 s74, 0x4a
	v_mul_lo_u32 v19, v9, s33
	v_mov_b32_e32 v20, 0
	v_mad_u64_u32 v[10:11], s[2:3], v8, 36, s[2:3]
	v_lshlrev_b32_e32 v21, 3, v17
	s_mov_b64 s[64:65], 0
	v_pk_mov_b32 v[12:13], s[0:1], s[0:1] op_sel:[0,1]
	v_lshlrev_b32_e32 v22, 1, v0
	v_mov_b32_e32 v18, 0
.LBB248_3:                              ; =>This Inner Loop Header: Depth=1
	v_add_u32_e32 v0, v19, v17
	v_mad_i64_i32 v[26:27], s[4:5], v0, s74, v[12:13]
	v_add_co_u32_e32 v28, vcc, v26, v22
	v_addc_co_u32_e32 v29, vcc, 0, v27, vcc
	v_mad_i64_i32 v[14:15], s[0:1], v21, 36, v[10:11]
	v_add_co_u32_e32 v30, vcc, v26, v8
	global_load_dwordx4 v[0:3], v[14:15], off offset:20
	global_load_dwordx4 v[4:7], v[14:15], off offset:4
	global_load_ushort v23, v[14:15], off
	v_addc_co_u32_e32 v31, vcc, 0, v27, vcc
	global_load_ushort v25, v[26:27], off
	global_load_dwordx2 v[14:15], v[28:29], off offset:2
	global_load_ubyte v24, v[30:31], off offset:66
	s_getpc_b64 s[0:1]
	s_add_u32 s0, s0, _ZL10iq2xs_grid@rel32@lo+4
	s_addc_u32 s1, s1, _ZL10iq2xs_grid@rel32@hi+12
	s_getpc_b64 s[2:3]
	s_add_u32 s2, s2, _ZL12ksigns_iq2xs@rel32@lo+4
	s_addc_u32 s3, s3, _ZL12ksigns_iq2xs@rel32@hi+12
	v_add_u32_e32 v17, 8, v17
	v_add_u32_e32 v21, 64, v21
	s_waitcnt vmcnt(3)
	v_cvt_f32_f16_e32 v23, v23
	s_waitcnt vmcnt(2)
	v_cvt_f32_f16_e32 v25, v25
	s_waitcnt vmcnt(1)
	v_bfe_u32 v27, v14, 9, 7
	v_and_b32_e32 v26, 0x1ff, v14
	v_lshrrev_b32_e32 v28, 13, v14
	v_lshrrev_b32_e32 v29, 25, v14
	v_and_b32_e32 v30, 0x1ff, v15
	v_bfe_u32 v31, v15, 9, 7
	v_lshrrev_b32_e32 v32, 13, v15
	v_lshrrev_b32_e32 v34, 25, v15
	global_load_sbyte v35, v27, s[2:3]
	global_load_sbyte v36, v29, s[2:3]
	;; [unrolled: 1-line block ×3, first 2 shown]
	v_lshlrev_b32_e32 v38, 3, v26
	v_and_b32_e32 v39, 0xff8, v28
	v_lshlrev_b32_e32 v40, 3, v30
	v_and_b32_e32 v41, 0xff8, v32
	global_load_sbyte v42, v34, s[2:3]
	global_load_dwordx2 v[26:27], v38, s[0:1]
	global_load_dwordx2 v[28:29], v39, s[0:1]
	;; [unrolled: 1-line block ×4, first 2 shown]
	v_cmp_gt_i16_e64 s[0:1], 0, v15
	v_cmp_lt_i16_sdwa vcc, v15, v20 src0_sel:WORD_1 src1_sel:DWORD
	v_cmp_gt_i16_e64 s[4:5], 0, v14
	v_cmp_lt_i16_sdwa s[2:3], v14, v20 src0_sel:WORD_1 src1_sel:DWORD
	s_waitcnt vmcnt(7)
	v_and_b32_e32 v34, 2, v35
	s_waitcnt vmcnt(6)
	v_and_b32_e32 v45, 4, v36
	v_and_b32_e32 v46, 8, v36
	;; [unrolled: 1-line block ×3, first 2 shown]
	s_waitcnt vmcnt(5)
	v_and_b32_e32 v49, 1, v37
	v_and_b32_e32 v50, 2, v37
	s_waitcnt vmcnt(3)
	v_mul_i32_i24_sdwa v56, v26, sext(v4) dst_sel:DWORD dst_unused:UNUSED_PAD src0_sel:BYTE_0 src1_sel:BYTE_0
	v_mul_i32_i24_sdwa v57, v26, sext(v4) dst_sel:DWORD dst_unused:UNUSED_PAD src0_sel:BYTE_1 src1_sel:BYTE_1
	v_mul_i32_i24_sdwa v58, v26, sext(v4) dst_sel:DWORD dst_unused:UNUSED_PAD src0_sel:BYTE_2 src1_sel:BYTE_2
	v_mul_i32_i24_sdwa v4, v26, sext(v4) dst_sel:DWORD dst_unused:UNUSED_PAD src0_sel:BYTE_3 src1_sel:BYTE_3
	v_mul_i32_i24_sdwa v26, v27, sext(v5) dst_sel:DWORD dst_unused:UNUSED_PAD src0_sel:BYTE_0 src1_sel:BYTE_0
	v_mul_i32_i24_sdwa v59, v27, sext(v5) dst_sel:DWORD dst_unused:UNUSED_PAD src0_sel:BYTE_1 src1_sel:BYTE_1
	v_mul_i32_i24_sdwa v60, v27, sext(v5) dst_sel:DWORD dst_unused:UNUSED_PAD src0_sel:BYTE_2 src1_sel:BYTE_2
	v_mul_i32_i24_sdwa v5, v27, sext(v5) dst_sel:DWORD dst_unused:UNUSED_PAD src0_sel:BYTE_3 src1_sel:BYTE_3
	s_waitcnt vmcnt(2)
	v_mul_i32_i24_sdwa v27, v28, sext(v6) dst_sel:DWORD dst_unused:UNUSED_PAD src0_sel:BYTE_0 src1_sel:BYTE_0
	v_mul_i32_i24_sdwa v61, v28, sext(v6) dst_sel:DWORD dst_unused:UNUSED_PAD src0_sel:BYTE_1 src1_sel:BYTE_1
	v_mul_i32_i24_sdwa v62, v28, sext(v6) dst_sel:DWORD dst_unused:UNUSED_PAD src0_sel:BYTE_2 src1_sel:BYTE_2
	v_mul_i32_i24_sdwa v6, v28, sext(v6) dst_sel:DWORD dst_unused:UNUSED_PAD src0_sel:BYTE_3 src1_sel:BYTE_3
	v_mul_i32_i24_sdwa v28, v29, sext(v7) dst_sel:DWORD dst_unused:UNUSED_PAD src0_sel:BYTE_0 src1_sel:BYTE_0
	v_mul_i32_i24_sdwa v63, v29, sext(v7) dst_sel:DWORD dst_unused:UNUSED_PAD src0_sel:BYTE_1 src1_sel:BYTE_1
	v_mul_i32_i24_sdwa v64, v29, sext(v7) dst_sel:DWORD dst_unused:UNUSED_PAD src0_sel:BYTE_2 src1_sel:BYTE_2
	v_mul_i32_i24_sdwa v7, v29, sext(v7) dst_sel:DWORD dst_unused:UNUSED_PAD src0_sel:BYTE_3 src1_sel:BYTE_3
	s_waitcnt vmcnt(1)
	v_mul_i32_i24_sdwa v29, v30, sext(v0) dst_sel:DWORD dst_unused:UNUSED_PAD src0_sel:BYTE_0 src1_sel:BYTE_0
	v_mul_i32_i24_sdwa v65, v30, sext(v0) dst_sel:DWORD dst_unused:UNUSED_PAD src0_sel:BYTE_1 src1_sel:BYTE_1
	v_and_b32_e32 v15, 4, v42
	v_and_b32_e32 v38, 4, v35
	;; [unrolled: 1-line block ×8, first 2 shown]
	v_mul_i32_i24_sdwa v66, v30, sext(v0) dst_sel:DWORD dst_unused:UNUSED_PAD src0_sel:BYTE_2 src1_sel:BYTE_2
	v_mul_i32_i24_sdwa v0, v30, sext(v0) dst_sel:DWORD dst_unused:UNUSED_PAD src0_sel:BYTE_3 src1_sel:BYTE_3
	v_cmp_eq_u16_e64 s[24:25], 0, v45
	v_sub_u32_e32 v45, 0, v6
	v_cmp_eq_u16_e64 s[26:27], 0, v46
	v_cmp_eq_u16_e64 s[30:31], 0, v48
	v_sub_u32_e32 v48, 0, v29
	v_cmp_eq_u16_e64 s[34:35], 0, v49
	v_sub_u32_e32 v49, 0, v65
	v_cmp_eq_u16_e64 s[36:37], 0, v50
	v_cmp_eq_u16_e64 s[50:51], 0, v15
	v_and_b32_e32 v15, 8, v42
	v_cmp_gt_i16_e64 s[60:61], 0, v35
	v_and_b32_e32 v35, 1, v35
	v_and_b32_e32 v43, 1, v36
	;; [unrolled: 1-line block ×5, first 2 shown]
	v_mul_i32_i24_sdwa v30, v31, sext(v1) dst_sel:DWORD dst_unused:UNUSED_PAD src0_sel:BYTE_0 src1_sel:BYTE_0
	v_mul_i32_i24_sdwa v67, v31, sext(v1) dst_sel:DWORD dst_unused:UNUSED_PAD src0_sel:BYTE_1 src1_sel:BYTE_1
	v_mul_i32_i24_sdwa v68, v31, sext(v1) dst_sel:DWORD dst_unused:UNUSED_PAD src0_sel:BYTE_2 src1_sel:BYTE_2
	v_mul_i32_i24_sdwa v1, v31, sext(v1) dst_sel:DWORD dst_unused:UNUSED_PAD src0_sel:BYTE_3 src1_sel:BYTE_3
	s_waitcnt vmcnt(0)
	v_mul_i32_i24_sdwa v31, v32, sext(v2) dst_sel:DWORD dst_unused:UNUSED_PAD src0_sel:BYTE_0 src1_sel:BYTE_0
	v_mul_i32_i24_sdwa v69, v32, sext(v2) dst_sel:DWORD dst_unused:UNUSED_PAD src0_sel:BYTE_1 src1_sel:BYTE_1
	v_mul_i32_i24_sdwa v70, v32, sext(v2) dst_sel:DWORD dst_unused:UNUSED_PAD src0_sel:BYTE_2 src1_sel:BYTE_2
	v_mul_i32_i24_sdwa v2, v32, sext(v2) dst_sel:DWORD dst_unused:UNUSED_PAD src0_sel:BYTE_3 src1_sel:BYTE_3
	v_mul_i32_i24_sdwa v32, v33, sext(v3) dst_sel:DWORD dst_unused:UNUSED_PAD src0_sel:BYTE_0 src1_sel:BYTE_0
	v_mul_i32_i24_sdwa v71, v33, sext(v3) dst_sel:DWORD dst_unused:UNUSED_PAD src0_sel:BYTE_1 src1_sel:BYTE_1
	v_mul_i32_i24_sdwa v72, v33, sext(v3) dst_sel:DWORD dst_unused:UNUSED_PAD src0_sel:BYTE_2 src1_sel:BYTE_2
	v_mul_i32_i24_sdwa v3, v33, sext(v3) dst_sel:DWORD dst_unused:UNUSED_PAD src0_sel:BYTE_3 src1_sel:BYTE_3
	v_cmp_gt_i16_e64 s[8:9], 0, v37
	v_sub_u32_e32 v37, 0, v57
	v_cmp_eq_u16_e64 s[10:11], 0, v34
	v_sub_u32_e32 v46, 0, v28
	v_cmp_eq_u16_e64 s[28:29], 0, v47
	v_sub_u32_e32 v50, 0, v66
	v_cmp_eq_u16_e64 s[38:39], 0, v51
	v_sub_u32_e32 v51, 0, v0
	v_cmp_eq_u16_e64 s[40:41], 0, v52
	v_cmp_eq_u16_e64 s[52:53], 0, v15
	v_and_b32_e32 v15, 16, v42
	v_sub_u32_e32 v80, 0, v56
	v_cmp_eq_u16_e64 s[62:63], 0, v35
	v_cndmask_b32_e64 v6, v45, v6, s[26:27]
	v_cndmask_b32_e64 v29, v48, v29, s[34:35]
	;; [unrolled: 1-line block ×3, first 2 shown]
	v_sub_u32_e32 v34, 0, v58
	v_cmp_eq_u16_e64 s[12:13], 0, v38
	v_sub_u32_e32 v38, 0, v4
	v_cmp_eq_u16_e64 s[14:15], 0, v39
	v_cmp_eq_u16_e64 s[18:19], 0, v41
	v_sub_u32_e32 v41, 0, v27
	v_cmp_eq_u16_e64 s[20:21], 0, v43
	v_sub_u32_e32 v43, 0, v61
	;; [unrolled: 2-line block ×3, first 2 shown]
	v_sub_u32_e32 v52, 0, v30
	v_cmp_eq_u16_e64 s[42:43], 0, v53
	v_sub_u32_e32 v53, 0, v67
	v_cmp_eq_u16_e64 s[44:45], 0, v54
	v_cmp_eq_u16_e64 s[54:55], 0, v15
	v_sub_u32_e32 v15, 0, v3
	v_cmp_gt_i16_e64 s[56:57], 0, v42
	v_cndmask_b32_e64 v35, v80, v56, s[62:63]
	v_cndmask_b32_e64 v37, v37, v57, s[10:11]
	;; [unrolled: 1-line block ×5, first 2 shown]
	v_add_u32_e32 v29, v45, v29
	v_and_b32_e32 v55, 1, v42
	v_and_b32_e32 v33, 2, v42
	v_sub_u32_e32 v14, 0, v68
	v_cmp_gt_i16_e64 s[6:7], 0, v36
	v_sub_u32_e32 v36, 0, v1
	v_sub_u32_e32 v39, 0, v26
	v_cmp_eq_u16_e64 s[16:17], 0, v40
	v_sub_u32_e32 v40, 0, v59
	v_and_b32_e32 v42, 32, v42
	v_cndmask_b32_e64 v34, v34, v58, s[12:13]
	v_cndmask_b32_e64 v4, v38, v4, s[14:15]
	;; [unrolled: 1-line block ×8, first 2 shown]
	v_add_u32_e32 v15, v37, v35
	v_add3_u32 v0, v29, v46, v0
	v_sub_u32_e32 v73, 0, v60
	v_sub_u32_e32 v54, 0, v31
	v_cmp_eq_u16_e64 s[46:47], 0, v55
	v_sub_u32_e32 v55, 0, v69
	v_cmp_eq_u16_e64 s[48:49], 0, v33
	v_cmp_eq_u16_e64 s[58:59], 0, v42
	v_sub_u32_e32 v42, 0, v5
	v_cndmask_b32_e64 v26, v39, v26, s[16:17]
	v_cndmask_b32_e64 v39, v40, v59, s[18:19]
	;; [unrolled: 1-line block ×4, first 2 shown]
	v_add3_u32 v4, v15, v34, v4
	v_add3_u32 v0, v0, v30, v47
	v_sub_u32_e32 v33, 0, v70
	v_sub_u32_e32 v77, 0, v2
	v_cndmask_b32_e64 v40, v60, v73, s[4:5]
	v_cndmask_b32_e64 v5, v5, v42, s[60:61]
	;; [unrolled: 1-line block ×4, first 2 shown]
	v_add3_u32 v4, v4, v26, v39
	v_add3_u32 v0, v0, v14, v1
	v_sub_u32_e32 v44, 0, v62
	v_sub_u32_e32 v78, 0, v32
	;; [unrolled: 1-line block ×3, first 2 shown]
	v_cndmask_b32_e64 v33, v33, v70, s[50:51]
	v_cndmask_b32_e64 v2, v77, v2, s[52:53]
	v_add3_u32 v4, v4, v40, v5
	v_add3_u32 v0, v0, v31, v36
	v_sub_u32_e32 v75, 0, v72
	v_cndmask_b32_e64 v42, v44, v62, s[24:25]
	v_cndmask_b32_e64 v32, v78, v32, s[54:55]
	;; [unrolled: 1-line block ×3, first 2 shown]
	v_add3_u32 v1, v4, v27, v41
	v_add3_u32 v0, v0, v33, v2
	v_sub_u32_e32 v74, 0, v64
	v_sub_u32_e32 v76, 0, v7
	v_cndmask_b32_e32 v49, v72, v75, vcc
	v_add3_u32 v1, v1, v42, v6
	v_add3_u32 v0, v0, v32, v48
	v_cndmask_b32_e64 v44, v64, v74, s[2:3]
	v_cndmask_b32_e64 v7, v7, v76, s[6:7]
	v_add3_u32 v1, v1, v28, v43
	v_add3_u32 v0, v0, v49, v3
	;; [unrolled: 1-line block ×3, first 2 shown]
	v_cvt_f32_i32_e32 v0, v0
	v_lshrrev_b16_e32 v38, 4, v24
	v_cvt_f32_i32_e32 v1, v1
	v_and_b32_e32 v24, 15, v24
	v_cvt_f32_ubyte0_e32 v38, v38
	v_cvt_f32_ubyte0_e32 v24, v24
	v_add_f32_e32 v38, 0.5, v38
	v_add_f32_e32 v24, 0.5, v24
	v_mul_f32_e32 v2, v25, v23
	v_mul_f32_e32 v0, v38, v0
	v_cmp_le_u32_e64 s[10:11], s33, v17
	v_mul_f32_e32 v2, 0x3e800000, v2
	v_fmac_f32_e32 v0, v24, v1
	s_or_b64 s[64:65], s[10:11], s[64:65]
	v_fmac_f32_e32 v18, v2, v0
	s_andn2_b64 exec, exec, s[64:65]
	s_cbranch_execnz .LBB248_3
; %bb.4:
	s_or_b64 exec, exec, s[64:65]
.LBB248_5:
	s_or_b64 exec, exec, s[72:73]
	v_mbcnt_lo_u32_b32 v0, -1, 0
	v_mbcnt_hi_u32_b32 v1, -1, v0
	v_and_b32_e32 v0, 64, v1
	v_add_u32_e32 v2, 64, v0
	v_xor_b32_e32 v0, 32, v1
	v_cmp_lt_i32_e32 vcc, v0, v2
	v_cndmask_b32_e32 v0, v1, v0, vcc
	v_lshlrev_b32_e32 v0, 2, v0
	ds_bpermute_b32 v0, v0, v18
	v_xor_b32_e32 v3, 16, v1
	v_cmp_lt_i32_e32 vcc, v3, v2
	v_cndmask_b32_e32 v3, v1, v3, vcc
	v_lshlrev_b32_e32 v3, 2, v3
	s_waitcnt lgkmcnt(0)
	v_add_f32_e32 v0, v18, v0
	ds_bpermute_b32 v3, v3, v0
	v_xor_b32_e32 v4, 8, v1
	v_cmp_lt_i32_e32 vcc, v4, v2
	s_waitcnt lgkmcnt(0)
	v_add_f32_e32 v0, v0, v3
	v_cndmask_b32_e32 v3, v1, v4, vcc
	v_lshlrev_b32_e32 v3, 2, v3
	ds_bpermute_b32 v3, v3, v0
	v_xor_b32_e32 v4, 4, v1
	v_cmp_lt_i32_e32 vcc, v4, v2
	s_waitcnt lgkmcnt(0)
	v_add_f32_e32 v0, v0, v3
	v_cndmask_b32_e32 v3, v1, v4, vcc
	v_lshlrev_b32_e32 v3, 2, v3
	;; [unrolled: 7-line block ×3, first 2 shown]
	ds_bpermute_b32 v3, v3, v0
	v_xor_b32_e32 v4, 1, v1
	v_cmp_lt_i32_e32 vcc, v4, v2
	v_cndmask_b32_e32 v1, v1, v4, vcc
	v_lshlrev_b32_e32 v1, 2, v1
	s_waitcnt lgkmcnt(0)
	v_add_f32_e32 v0, v0, v3
	ds_bpermute_b32 v1, v1, v0
	v_cmp_eq_u32_e32 vcc, 0, v16
	s_and_b64 exec, exec, vcc
	s_cbranch_execz .LBB248_7
; %bb.6:
	s_mul_i32 s0, s68, s66
	s_waitcnt lgkmcnt(0)
	v_add_f32_e32 v2, v0, v1
	v_add_u32_e32 v0, s0, v9
	v_mov_b32_e32 v1, 0
	v_lshlrev_b64 v[0:1], 2, v[0:1]
	v_mov_b32_e32 v3, s71
	v_add_co_u32_e32 v0, vcc, s70, v0
	v_addc_co_u32_e32 v1, vcc, v3, v1, vcc
	global_store_dword v[0:1], v2, off
.LBB248_7:
	s_endpgm
	.section	.rodata,"a",@progbits
	.p2align	6, 0x0
	.amdhsa_kernel _ZL9moe_vec_qIfLi256ELi8E12block_iq2_xsLi1EXadL_ZL19vec_dot_iq2_xs_q8_1PKvPK10block_q8_1RKiEEEvS2_S2_PT_PS6_iiii
		.amdhsa_group_segment_fixed_size 0
		.amdhsa_private_segment_fixed_size 0
		.amdhsa_kernarg_size 304
		.amdhsa_user_sgpr_count 6
		.amdhsa_user_sgpr_private_segment_buffer 1
		.amdhsa_user_sgpr_dispatch_ptr 0
		.amdhsa_user_sgpr_queue_ptr 0
		.amdhsa_user_sgpr_kernarg_segment_ptr 1
		.amdhsa_user_sgpr_dispatch_id 0
		.amdhsa_user_sgpr_flat_scratch_init 0
		.amdhsa_user_sgpr_kernarg_preload_length 0
		.amdhsa_user_sgpr_kernarg_preload_offset 0
		.amdhsa_user_sgpr_private_segment_size 0
		.amdhsa_uses_dynamic_stack 0
		.amdhsa_system_sgpr_private_segment_wavefront_offset 0
		.amdhsa_system_sgpr_workgroup_id_x 1
		.amdhsa_system_sgpr_workgroup_id_y 0
		.amdhsa_system_sgpr_workgroup_id_z 1
		.amdhsa_system_sgpr_workgroup_info 0
		.amdhsa_system_vgpr_workitem_id 1
		.amdhsa_next_free_vgpr 81
		.amdhsa_next_free_sgpr 75
		.amdhsa_accum_offset 84
		.amdhsa_reserve_vcc 1
		.amdhsa_reserve_flat_scratch 0
		.amdhsa_float_round_mode_32 0
		.amdhsa_float_round_mode_16_64 0
		.amdhsa_float_denorm_mode_32 3
		.amdhsa_float_denorm_mode_16_64 3
		.amdhsa_dx10_clamp 1
		.amdhsa_ieee_mode 1
		.amdhsa_fp16_overflow 0
		.amdhsa_tg_split 0
		.amdhsa_exception_fp_ieee_invalid_op 0
		.amdhsa_exception_fp_denorm_src 0
		.amdhsa_exception_fp_ieee_div_zero 0
		.amdhsa_exception_fp_ieee_overflow 0
		.amdhsa_exception_fp_ieee_underflow 0
		.amdhsa_exception_fp_ieee_inexact 0
		.amdhsa_exception_int_div_zero 0
	.end_amdhsa_kernel
	.section	.text._ZL9moe_vec_qIfLi256ELi8E12block_iq2_xsLi1EXadL_ZL19vec_dot_iq2_xs_q8_1PKvPK10block_q8_1RKiEEEvS2_S2_PT_PS6_iiii,"axG",@progbits,_ZL9moe_vec_qIfLi256ELi8E12block_iq2_xsLi1EXadL_ZL19vec_dot_iq2_xs_q8_1PKvPK10block_q8_1RKiEEEvS2_S2_PT_PS6_iiii,comdat
.Lfunc_end248:
	.size	_ZL9moe_vec_qIfLi256ELi8E12block_iq2_xsLi1EXadL_ZL19vec_dot_iq2_xs_q8_1PKvPK10block_q8_1RKiEEEvS2_S2_PT_PS6_iiii, .Lfunc_end248-_ZL9moe_vec_qIfLi256ELi8E12block_iq2_xsLi1EXadL_ZL19vec_dot_iq2_xs_q8_1PKvPK10block_q8_1RKiEEEvS2_S2_PT_PS6_iiii
                                        ; -- End function
	.section	.AMDGPU.csdata,"",@progbits
; Kernel info:
; codeLenInByte = 2124
; NumSgprs: 79
; NumVgprs: 81
; NumAgprs: 0
; TotalNumVgprs: 81
; ScratchSize: 0
; MemoryBound: 0
; FloatMode: 240
; IeeeMode: 1
; LDSByteSize: 0 bytes/workgroup (compile time only)
; SGPRBlocks: 9
; VGPRBlocks: 10
; NumSGPRsForWavesPerEU: 79
; NumVGPRsForWavesPerEU: 81
; AccumOffset: 84
; Occupancy: 5
; WaveLimiterHint : 1
; COMPUTE_PGM_RSRC2:SCRATCH_EN: 0
; COMPUTE_PGM_RSRC2:USER_SGPR: 6
; COMPUTE_PGM_RSRC2:TRAP_HANDLER: 0
; COMPUTE_PGM_RSRC2:TGID_X_EN: 1
; COMPUTE_PGM_RSRC2:TGID_Y_EN: 0
; COMPUTE_PGM_RSRC2:TGID_Z_EN: 1
; COMPUTE_PGM_RSRC2:TIDIG_COMP_CNT: 1
; COMPUTE_PGM_RSRC3_GFX90A:ACCUM_OFFSET: 20
; COMPUTE_PGM_RSRC3_GFX90A:TG_SPLIT: 0
	.section	.text._ZL9moe_vec_qIfLi256ELi8E13block_iq3_xxsLi1EXadL_ZL20vec_dot_iq3_xxs_q8_1PKvPK10block_q8_1RKiEEEvS2_S2_PT_PS6_iiii,"axG",@progbits,_ZL9moe_vec_qIfLi256ELi8E13block_iq3_xxsLi1EXadL_ZL20vec_dot_iq3_xxs_q8_1PKvPK10block_q8_1RKiEEEvS2_S2_PT_PS6_iiii,comdat
	.globl	_ZL9moe_vec_qIfLi256ELi8E13block_iq3_xxsLi1EXadL_ZL20vec_dot_iq3_xxs_q8_1PKvPK10block_q8_1RKiEEEvS2_S2_PT_PS6_iiii ; -- Begin function _ZL9moe_vec_qIfLi256ELi8E13block_iq3_xxsLi1EXadL_ZL20vec_dot_iq3_xxs_q8_1PKvPK10block_q8_1RKiEEEvS2_S2_PT_PS6_iiii
	.p2align	8
	.type	_ZL9moe_vec_qIfLi256ELi8E13block_iq3_xxsLi1EXadL_ZL20vec_dot_iq3_xxs_q8_1PKvPK10block_q8_1RKiEEEvS2_S2_PT_PS6_iiii,@function
_ZL9moe_vec_qIfLi256ELi8E13block_iq3_xxsLi1EXadL_ZL20vec_dot_iq3_xxs_q8_1PKvPK10block_q8_1RKiEEEvS2_S2_PT_PS6_iiii: ; @_ZL9moe_vec_qIfLi256ELi8E13block_iq3_xxsLi1EXadL_ZL20vec_dot_iq3_xxs_q8_1PKvPK10block_q8_1RKiEEEvS2_S2_PT_PS6_iiii
; %bb.0:
	s_mov_b32 s8, s7
	s_load_dword s7, s[4:5], 0x3c
	s_load_dwordx4 s[0:3], s[4:5], 0x20
	v_bfe_u32 v1, v0, 10, 10
	s_waitcnt lgkmcnt(0)
	s_lshr_b32 s7, s7, 16
	s_mul_i32 s6, s6, s7
	v_add_u32_e32 v9, s6, v1
	v_cmp_gt_u32_e32 vcc, s2, v9
	s_and_saveexec_b64 s[6:7], vcc
	s_cbranch_execz .LBB249_7
; %bb.1:
	s_load_dwordx2 s[6:7], s[4:5], 0x10
	s_ashr_i32 s9, s1, 31
	s_lshr_b32 s9, s9, 24
	s_add_i32 s1, s1, s9
	v_and_b32_e32 v16, 0x3ff, v0
	s_ashr_i32 s16, s1, 8
	v_lshrrev_b32_e32 v17, 3, v16
	v_cmp_gt_u32_e32 vcc, s16, v17
	v_mov_b32_e32 v18, 0
	s_and_saveexec_b64 s[10:11], vcc
	s_cbranch_execz .LBB249_5
; %bb.2:
	s_load_dwordx2 s[12:13], s[4:5], 0x18
	v_cvt_f32_u32_e32 v0, s0
	s_mov_b32 s9, 0
	s_lshl_b64 s[14:15], s[8:9], 2
	v_and_b32_e32 v1, 7, v16
	s_waitcnt lgkmcnt(0)
	s_add_u32 s18, s12, s14
	v_rcp_iflag_f32_e32 v0, v0
	s_addc_u32 s19, s13, s15
	s_load_dword s1, s[18:19], 0x0
	s_load_dwordx4 s[12:15], s[4:5], 0x0
	s_mul_i32 s4, s16, s2
	v_mul_f32_e32 v0, 0x4f7ffffe, v0
	v_cvt_u32_f32_e32 v0, v0
	s_waitcnt lgkmcnt(0)
	s_mul_i32 s1, s4, s1
	s_mul_hi_i32 s4, s1, 0x62
	s_mulk_i32 s1, 0x62
	s_add_u32 s12, s12, s1
	s_addc_u32 s13, s13, s4
	s_sub_i32 s1, 0, s0
	v_readfirstlane_b32 s4, v0
	s_mul_i32 s1, s1, s4
	s_mul_hi_u32 s1, s4, s1
	s_add_i32 s4, s4, s1
	s_mul_hi_u32 s1, s8, s4
	s_mul_i32 s4, s1, s0
	s_sub_i32 s4, s8, s4
	s_add_i32 s5, s1, 1
	s_sub_i32 s18, s4, s0
	s_cmp_ge_u32 s4, s0
	s_cselect_b32 s1, s5, s1
	s_cselect_b32 s4, s18, s4
	s_add_i32 s5, s1, 1
	s_cmp_ge_u32 s4, s0
	s_cselect_b32 s0, s5, s1
	s_mul_i32 s0, s0, s3
	s_mov_b32 s1, s9
	s_lshl_b64 s[0:1], s[0:1], 2
	s_add_u32 s0, s14, s0
	s_addc_u32 s1, s15, s1
	v_lshlrev_b32_e32 v0, 1, v1
	s_movk_i32 s17, 0x62
	v_mul_lo_u32 v19, v9, s16
	v_lshlrev_b32_e32 v8, 3, v1
	v_mov_b32_e32 v18, 0
	v_mad_u64_u32 v[10:11], s[0:1], v1, 36, s[0:1]
	v_lshlrev_b32_e32 v20, 3, v17
	s_mov_b64 s[4:5], 0
	v_pk_mov_b32 v[12:13], s[12:13], s[12:13] op_sel:[0,1]
	v_lshlrev_b32_e32 v21, 1, v0
	s_mov_b32 s3, 0xffff
	s_mov_b32 s9, 0xc060c00
	v_mov_b32_e32 v22, 2
	s_getpc_b64 s[14:15]
	s_add_u32 s14, s14, _ZL11iq3xxs_grid@rel32@lo+4
	s_addc_u32 s15, s15, _ZL11iq3xxs_grid@rel32@hi+12
	s_getpc_b64 s[12:13]
	s_add_u32 s12, s12, _ZL8ksigns64@rel32@lo+4
	s_addc_u32 s13, s13, _ZL8ksigns64@rel32@hi+12
.LBB249_3:                              ; =>This Inner Loop Header: Depth=1
	v_add_u32_e32 v0, v19, v17
	v_mad_i64_i32 v[14:15], s[0:1], v20, 36, v[10:11]
	v_mad_i64_i32 v[24:25], s[0:1], v0, s17, v[12:13]
	global_load_dword v30, v[14:15], off offset:32
	global_load_dwordx4 v[4:7], v[14:15], off
	global_load_dwordx4 v[0:3], v[14:15], off offset:16
	v_add_co_u32_e64 v14, s[0:1], v24, v8
	v_addc_co_u32_e64 v15, s[0:1], 0, v25, s[0:1]
	v_add_co_u32_e64 v26, s[0:1], v24, v21
	v_addc_co_u32_e64 v27, s[0:1], 0, v25, s[0:1]
	global_load_dword v31, v[26:27], off offset:66
	global_load_dwordx2 v[28:29], v[14:15], off offset:2
	global_load_ushort v32, v[24:25], off
	v_mov_b32_e32 v23, 0
	v_add_u32_e32 v17, 8, v17
	v_cmp_le_u32_e32 vcc, s16, v17
	v_add_u32_e32 v20, 64, v20
	s_or_b64 s[4:5], vcc, s[4:5]
	s_waitcnt vmcnt(4)
	v_cvt_f32_f16_e32 v4, v4
	s_waitcnt vmcnt(2)
	v_and_b32_e32 v25, 0x7f, v31
	v_and_b32_e32 v14, 0xffff0000, v31
	s_waitcnt vmcnt(1)
	v_lshlrev_b32_sdwa v15, v22, v28 dst_sel:DWORD dst_unused:UNUSED_PAD src0_sel:DWORD src1_sel:BYTE_0
	v_lshlrev_b32_sdwa v24, v22, v28 dst_sel:DWORD dst_unused:UNUSED_PAD src0_sel:DWORD src1_sel:BYTE_1
	v_lshlrev_b32_sdwa v26, v22, v28 dst_sel:DWORD dst_unused:UNUSED_PAD src0_sel:DWORD src1_sel:BYTE_2
	v_lshlrev_b32_sdwa v27, v22, v28 dst_sel:DWORD dst_unused:UNUSED_PAD src0_sel:DWORD src1_sel:BYTE_3
	v_lshrrev_b32_e32 v28, 4, v31
	v_lshlrev_b32_sdwa v33, v22, v29 dst_sel:DWORD dst_unused:UNUSED_PAD src0_sel:DWORD src1_sel:BYTE_0
	v_lshlrev_b32_sdwa v34, v22, v29 dst_sel:DWORD dst_unused:UNUSED_PAD src0_sel:DWORD src1_sel:BYTE_1
	v_lshlrev_b32_sdwa v35, v22, v29 dst_sel:DWORD dst_unused:UNUSED_PAD src0_sel:DWORD src1_sel:BYTE_2
	v_lshrrev_b32_e32 v36, 18, v31
	v_lshlrev_b32_e32 v38, 3, v25
	v_lshlrev_b32_sdwa v29, v22, v29 dst_sel:DWORD dst_unused:UNUSED_PAD src0_sel:DWORD src1_sel:BYTE_3
	v_lshrrev_b32_e32 v37, 28, v31
	v_and_or_b32 v31, v31, s3, v14
	global_load_dword v39, v15, s[14:15]
	global_load_dword v40, v24, s[14:15]
	v_and_b32_e32 v28, 0x3f8, v28
	global_load_dword v41, v26, s[14:15]
	global_load_dword v42, v27, s[14:15]
	;; [unrolled: 1-line block ×4, first 2 shown]
	v_and_b32_e32 v33, 0x3f8, v36
	global_load_dword v34, v35, s[14:15]
	global_load_dword v36, v29, s[14:15]
	global_load_dwordx2 v[14:15], v38, s[12:13]
	global_load_dwordx2 v[24:25], v28, s[12:13]
	;; [unrolled: 1-line block ×3, first 2 shown]
	v_lshrrev_b32_e32 v28, 11, v31
	v_cvt_f32_ubyte0_e32 v29, v37
	v_and_b32_e32 v28, 0x3f8, v28
	v_add_f32_e32 v31, 0.5, v29
	global_load_dwordx2 v[28:29], v28, s[12:13]
	s_waitcnt vmcnt(12)
	v_cvt_f32_f16_e32 v32, v32
	s_waitcnt vmcnt(3)
	v_and_b32_e32 v35, 0xff000000, v14
	v_xor_b32_e32 v33, v14, v39
	v_and_b32_e32 v37, 0xff0000, v14
	v_and_b32_e32 v38, 0xff00, v14
	v_xor_b32_e32 v39, v15, v40
	v_and_b32_e32 v40, 0xff000000, v15
	v_and_b32_e32 v45, 0xff0000, v15
	;; [unrolled: 1-line block ×3, first 2 shown]
	s_waitcnt vmcnt(2)
	v_xor_b32_e32 v41, v24, v41
	v_and_b32_e32 v47, 0xff000000, v24
	v_and_b32_e32 v48, 0xff0000, v24
	;; [unrolled: 1-line block ×3, first 2 shown]
	v_xor_b32_e32 v42, v25, v42
	v_and_b32_e32 v50, 0xff000000, v25
	v_and_b32_e32 v51, 0xff0000, v25
	v_and_b32_e32 v52, 0xff00, v25
	s_waitcnt vmcnt(1)
	v_xor_b32_e32 v34, v26, v34
	v_and_b32_e32 v53, 0xff000000, v26
	v_and_b32_e32 v54, 0xff0000, v26
	;; [unrolled: 1-line block ×3, first 2 shown]
	v_xor_b32_e32 v36, v27, v36
	v_and_b32_e32 v56, 0xff000000, v27
	v_and_b32_e32 v57, 0xff0000, v27
	;; [unrolled: 1-line block ×3, first 2 shown]
	v_sub_u32_e32 v35, v33, v35
	v_sub_u32_e32 v37, v33, v37
	;; [unrolled: 1-line block ×24, first 2 shown]
	v_and_b32_e32 v35, 0xff000000, v35
	v_and_b32_e32 v36, 0xff00, v38
	v_perm_b32 v14, v37, v14, s9
	v_and_b32_e32 v33, 0xff000000, v33
	v_and_b32_e32 v37, 0xff00, v45
	v_perm_b32 v15, v40, v15, s9
	v_or3_b32 v14, v14, v35, v36
	v_and_b32_e32 v38, 0xff000000, v39
	v_and_b32_e32 v39, 0xff00, v47
	v_perm_b32 v24, v46, v24, s9
	s_waitcnt vmcnt(0)
	v_xor_b32_e32 v43, v28, v43
	v_and_b32_e32 v45, 0xff000000, v28
	v_and_b32_e32 v46, 0xff0000, v28
	;; [unrolled: 1-line block ×3, first 2 shown]
	v_or3_b32 v15, v15, v33, v37
	v_dot4c_i32_i8_e32 v23, v14, v5
	v_and_b32_e32 v40, 0xff000000, v41
	v_and_b32_e32 v41, 0xff00, v49
	v_perm_b32 v25, v48, v25, s9
	v_xor_b32_e32 v44, v29, v44
	v_and_b32_e32 v48, 0xff000000, v29
	v_and_b32_e32 v49, 0xff0000, v29
	v_and_b32_e32 v54, 0xff00, v29
	v_or3_b32 v24, v24, v38, v39
	v_sub_u32_e32 v33, v43, v45
	v_sub_u32_e32 v35, v43, v46
	;; [unrolled: 1-line block ×4, first 2 shown]
	v_dot4c_i32_i8_e32 v23, v15, v6
	v_perm_b32 v26, v50, v26, s9
	v_and_b32_e32 v34, 0xff000000, v34
	v_and_b32_e32 v50, 0xff00, v53
	v_perm_b32 v27, v52, v27, s9
	v_or3_b32 v25, v25, v40, v41
	v_sub_u32_e32 v37, v44, v48
	v_sub_u32_e32 v38, v44, v49
	;; [unrolled: 1-line block ×4, first 2 shown]
	v_and_b32_e32 v5, 0xff000000, v33
	v_and_b32_e32 v14, 0xff00, v36
	v_perm_b32 v28, v35, v28, s9
	v_dot4c_i32_i8_e32 v23, v24, v7
	v_or3_b32 v27, v27, v34, v50
	v_and_b32_e32 v33, 0xff000000, v37
	v_and_b32_e32 v34, 0xff00, v39
	v_perm_b32 v29, v38, v29, s9
	v_or3_b32 v5, v28, v5, v14
	v_dot4c_i32_i8_e32 v23, v25, v0
	v_and_b32_e32 v42, 0xff000000, v42
	v_and_b32_e32 v51, 0xff00, v51
	v_or3_b32 v6, v29, v33, v34
	v_dot4c_i32_i8_e32 v23, v5, v1
	v_or3_b32 v26, v26, v42, v51
	v_dot4c_i32_i8_e32 v23, v6, v2
	v_dot4c_i32_i8_e32 v23, v26, v3
	;; [unrolled: 1-line block ×3, first 2 shown]
	v_mul_f32_e32 v1, v31, v32
	v_mul_f32_e32 v1, v1, v4
	v_mul_f32_e32 v1, 0.5, v1
	v_cvt_f32_i32_e32 v0, v23
	v_fmac_f32_e32 v18, v1, v0
	s_andn2_b64 exec, exec, s[4:5]
	s_cbranch_execnz .LBB249_3
; %bb.4:
	s_or_b64 exec, exec, s[4:5]
.LBB249_5:
	s_or_b64 exec, exec, s[10:11]
	v_mbcnt_lo_u32_b32 v0, -1, 0
	v_mbcnt_hi_u32_b32 v1, -1, v0
	v_and_b32_e32 v0, 64, v1
	v_add_u32_e32 v2, 64, v0
	v_xor_b32_e32 v0, 32, v1
	v_cmp_lt_i32_e32 vcc, v0, v2
	v_cndmask_b32_e32 v0, v1, v0, vcc
	v_lshlrev_b32_e32 v0, 2, v0
	ds_bpermute_b32 v0, v0, v18
	v_xor_b32_e32 v3, 16, v1
	v_cmp_lt_i32_e32 vcc, v3, v2
	v_cndmask_b32_e32 v3, v1, v3, vcc
	v_lshlrev_b32_e32 v3, 2, v3
	s_waitcnt lgkmcnt(0)
	v_add_f32_e32 v0, v18, v0
	ds_bpermute_b32 v3, v3, v0
	v_xor_b32_e32 v4, 8, v1
	v_cmp_lt_i32_e32 vcc, v4, v2
	s_waitcnt lgkmcnt(0)
	v_add_f32_e32 v0, v0, v3
	v_cndmask_b32_e32 v3, v1, v4, vcc
	v_lshlrev_b32_e32 v3, 2, v3
	ds_bpermute_b32 v3, v3, v0
	v_xor_b32_e32 v4, 4, v1
	v_cmp_lt_i32_e32 vcc, v4, v2
	s_waitcnt lgkmcnt(0)
	v_add_f32_e32 v0, v0, v3
	v_cndmask_b32_e32 v3, v1, v4, vcc
	v_lshlrev_b32_e32 v3, 2, v3
	;; [unrolled: 7-line block ×3, first 2 shown]
	ds_bpermute_b32 v3, v3, v0
	v_xor_b32_e32 v4, 1, v1
	v_cmp_lt_i32_e32 vcc, v4, v2
	v_cndmask_b32_e32 v1, v1, v4, vcc
	v_lshlrev_b32_e32 v1, 2, v1
	s_waitcnt lgkmcnt(0)
	v_add_f32_e32 v0, v0, v3
	ds_bpermute_b32 v1, v1, v0
	v_cmp_eq_u32_e32 vcc, 0, v16
	s_and_b64 exec, exec, vcc
	s_cbranch_execz .LBB249_7
; %bb.6:
	s_mul_i32 s0, s8, s2
	s_waitcnt lgkmcnt(0)
	v_add_f32_e32 v2, v0, v1
	v_add_u32_e32 v0, s0, v9
	v_mov_b32_e32 v1, 0
	v_lshlrev_b64 v[0:1], 2, v[0:1]
	v_mov_b32_e32 v3, s7
	v_add_co_u32_e32 v0, vcc, s6, v0
	v_addc_co_u32_e32 v1, vcc, v3, v1, vcc
	global_store_dword v[0:1], v2, off
.LBB249_7:
	s_endpgm
	.section	.rodata,"a",@progbits
	.p2align	6, 0x0
	.amdhsa_kernel _ZL9moe_vec_qIfLi256ELi8E13block_iq3_xxsLi1EXadL_ZL20vec_dot_iq3_xxs_q8_1PKvPK10block_q8_1RKiEEEvS2_S2_PT_PS6_iiii
		.amdhsa_group_segment_fixed_size 0
		.amdhsa_private_segment_fixed_size 0
		.amdhsa_kernarg_size 304
		.amdhsa_user_sgpr_count 6
		.amdhsa_user_sgpr_private_segment_buffer 1
		.amdhsa_user_sgpr_dispatch_ptr 0
		.amdhsa_user_sgpr_queue_ptr 0
		.amdhsa_user_sgpr_kernarg_segment_ptr 1
		.amdhsa_user_sgpr_dispatch_id 0
		.amdhsa_user_sgpr_flat_scratch_init 0
		.amdhsa_user_sgpr_kernarg_preload_length 0
		.amdhsa_user_sgpr_kernarg_preload_offset 0
		.amdhsa_user_sgpr_private_segment_size 0
		.amdhsa_uses_dynamic_stack 0
		.amdhsa_system_sgpr_private_segment_wavefront_offset 0
		.amdhsa_system_sgpr_workgroup_id_x 1
		.amdhsa_system_sgpr_workgroup_id_y 0
		.amdhsa_system_sgpr_workgroup_id_z 1
		.amdhsa_system_sgpr_workgroup_info 0
		.amdhsa_system_vgpr_workitem_id 1
		.amdhsa_next_free_vgpr 59
		.amdhsa_next_free_sgpr 20
		.amdhsa_accum_offset 60
		.amdhsa_reserve_vcc 1
		.amdhsa_reserve_flat_scratch 0
		.amdhsa_float_round_mode_32 0
		.amdhsa_float_round_mode_16_64 0
		.amdhsa_float_denorm_mode_32 3
		.amdhsa_float_denorm_mode_16_64 3
		.amdhsa_dx10_clamp 1
		.amdhsa_ieee_mode 1
		.amdhsa_fp16_overflow 0
		.amdhsa_tg_split 0
		.amdhsa_exception_fp_ieee_invalid_op 0
		.amdhsa_exception_fp_denorm_src 0
		.amdhsa_exception_fp_ieee_div_zero 0
		.amdhsa_exception_fp_ieee_overflow 0
		.amdhsa_exception_fp_ieee_underflow 0
		.amdhsa_exception_fp_ieee_inexact 0
		.amdhsa_exception_int_div_zero 0
	.end_amdhsa_kernel
	.section	.text._ZL9moe_vec_qIfLi256ELi8E13block_iq3_xxsLi1EXadL_ZL20vec_dot_iq3_xxs_q8_1PKvPK10block_q8_1RKiEEEvS2_S2_PT_PS6_iiii,"axG",@progbits,_ZL9moe_vec_qIfLi256ELi8E13block_iq3_xxsLi1EXadL_ZL20vec_dot_iq3_xxs_q8_1PKvPK10block_q8_1RKiEEEvS2_S2_PT_PS6_iiii,comdat
.Lfunc_end249:
	.size	_ZL9moe_vec_qIfLi256ELi8E13block_iq3_xxsLi1EXadL_ZL20vec_dot_iq3_xxs_q8_1PKvPK10block_q8_1RKiEEEvS2_S2_PT_PS6_iiii, .Lfunc_end249-_ZL9moe_vec_qIfLi256ELi8E13block_iq3_xxsLi1EXadL_ZL20vec_dot_iq3_xxs_q8_1PKvPK10block_q8_1RKiEEEvS2_S2_PT_PS6_iiii
                                        ; -- End function
	.section	.AMDGPU.csdata,"",@progbits
; Kernel info:
; codeLenInByte = 1748
; NumSgprs: 24
; NumVgprs: 59
; NumAgprs: 0
; TotalNumVgprs: 59
; ScratchSize: 0
; MemoryBound: 0
; FloatMode: 240
; IeeeMode: 1
; LDSByteSize: 0 bytes/workgroup (compile time only)
; SGPRBlocks: 2
; VGPRBlocks: 7
; NumSGPRsForWavesPerEU: 24
; NumVGPRsForWavesPerEU: 59
; AccumOffset: 60
; Occupancy: 8
; WaveLimiterHint : 1
; COMPUTE_PGM_RSRC2:SCRATCH_EN: 0
; COMPUTE_PGM_RSRC2:USER_SGPR: 6
; COMPUTE_PGM_RSRC2:TRAP_HANDLER: 0
; COMPUTE_PGM_RSRC2:TGID_X_EN: 1
; COMPUTE_PGM_RSRC2:TGID_Y_EN: 0
; COMPUTE_PGM_RSRC2:TGID_Z_EN: 1
; COMPUTE_PGM_RSRC2:TIDIG_COMP_CNT: 1
; COMPUTE_PGM_RSRC3_GFX90A:ACCUM_OFFSET: 14
; COMPUTE_PGM_RSRC3_GFX90A:TG_SPLIT: 0
	.section	.text._ZL9moe_vec_qIfLi256ELi8E11block_iq1_sLi1EXadL_ZL18vec_dot_iq1_s_q8_1PKvPK10block_q8_1RKiEEEvS2_S2_PT_PS6_iiii,"axG",@progbits,_ZL9moe_vec_qIfLi256ELi8E11block_iq1_sLi1EXadL_ZL18vec_dot_iq1_s_q8_1PKvPK10block_q8_1RKiEEEvS2_S2_PT_PS6_iiii,comdat
	.globl	_ZL9moe_vec_qIfLi256ELi8E11block_iq1_sLi1EXadL_ZL18vec_dot_iq1_s_q8_1PKvPK10block_q8_1RKiEEEvS2_S2_PT_PS6_iiii ; -- Begin function _ZL9moe_vec_qIfLi256ELi8E11block_iq1_sLi1EXadL_ZL18vec_dot_iq1_s_q8_1PKvPK10block_q8_1RKiEEEvS2_S2_PT_PS6_iiii
	.p2align	8
	.type	_ZL9moe_vec_qIfLi256ELi8E11block_iq1_sLi1EXadL_ZL18vec_dot_iq1_s_q8_1PKvPK10block_q8_1RKiEEEvS2_S2_PT_PS6_iiii,@function
_ZL9moe_vec_qIfLi256ELi8E11block_iq1_sLi1EXadL_ZL18vec_dot_iq1_s_q8_1PKvPK10block_q8_1RKiEEEvS2_S2_PT_PS6_iiii: ; @_ZL9moe_vec_qIfLi256ELi8E11block_iq1_sLi1EXadL_ZL18vec_dot_iq1_s_q8_1PKvPK10block_q8_1RKiEEEvS2_S2_PT_PS6_iiii
; %bb.0:
	s_mov_b32 s8, s7
	s_load_dword s7, s[4:5], 0x3c
	s_load_dwordx4 s[0:3], s[4:5], 0x20
	v_bfe_u32 v1, v0, 10, 10
	s_waitcnt lgkmcnt(0)
	s_lshr_b32 s7, s7, 16
	s_mul_i32 s6, s6, s7
	v_add_u32_e32 v1, s6, v1
	v_cmp_gt_u32_e32 vcc, s2, v1
	s_and_saveexec_b64 s[6:7], vcc
	s_cbranch_execz .LBB250_7
; %bb.1:
	v_cvt_f32_u32_e32 v2, s0
	s_load_dwordx2 s[6:7], s[4:5], 0x10
	s_ashr_i32 s9, s1, 31
	s_lshr_b32 s9, s9, 24
	v_rcp_iflag_f32_e32 v4, v2
	v_and_b32_e32 v2, 0x3ff, v0
	s_add_i32 s1, s1, s9
	v_lshrrev_b32_e32 v3, 3, v2
	v_mul_f32_e32 v0, 0x4f7ffffe, v4
	v_cvt_u32_f32_e32 v0, v0
	s_ashr_i32 s14, s1, 8
	v_cmp_gt_u32_e32 vcc, s14, v3
	v_mov_b32_e32 v4, 0
	v_readfirstlane_b32 s1, v0
	s_and_saveexec_b64 s[10:11], vcc
	s_cbranch_execz .LBB250_5
; %bb.2:
	s_sub_i32 s12, 0, s0
	s_mul_i32 s15, s12, s1
	s_load_dwordx4 s[16:19], s[4:5], 0x0
	s_load_dwordx2 s[12:13], s[4:5], 0x18
	s_mov_b32 s9, 0
	s_mul_hi_u32 s4, s1, s15
	s_add_i32 s1, s1, s4
	s_lshl_b64 s[4:5], s[8:9], 2
	s_waitcnt lgkmcnt(0)
	s_add_u32 s4, s12, s4
	s_mul_hi_u32 s1, s8, s1
	s_addc_u32 s5, s13, s5
	s_load_dword s4, s[4:5], 0x0
	s_mul_i32 s5, s1, s0
	s_sub_i32 s5, s8, s5
	s_add_i32 s12, s1, 1
	s_sub_i32 s13, s5, s0
	s_cmp_ge_u32 s5, s0
	s_cselect_b32 s1, s12, s1
	s_cselect_b32 s5, s13, s5
	s_add_i32 s12, s1, 1
	s_cmp_ge_u32 s5, s0
	s_mul_i32 s0, s14, s2
	s_waitcnt lgkmcnt(0)
	s_mul_i32 s0, s0, s4
	s_cselect_b32 s5, s12, s1
	s_mul_hi_i32 s1, s0, 50
	s_mul_i32 s0, s0, 50
	s_add_u32 s0, s16, s0
	s_mul_i32 s4, s5, s3
	s_mov_b32 s5, s9
	s_addc_u32 s1, s17, s1
	s_lshl_b64 s[4:5], s[4:5], 2
	v_and_b32_e32 v0, 7, v2
	s_add_u32 s4, s18, s4
	v_lshlrev_b32_e32 v8, 1, v0
	s_addc_u32 s5, s19, s5
	v_mul_lo_u32 v5, v1, s14
	v_mov_b32_e32 v4, 0
	v_lshlrev_b32_e32 v6, 3, v3
	s_mov_b64 s[12:13], 0
	v_lshlrev_b32_e32 v7, 1, v8
	v_lshlrev_b32_e32 v8, 1, v0
	s_movk_i32 s3, 0x700
.LBB250_3:                              ; =>This Inner Loop Header: Depth=1
	v_add_u32_e32 v9, v5, v3
	v_mad_i64_i32 v[18:19], s[16:17], v9, 50, s[0:1]
	v_add_co_u32_e32 v10, vcc, v18, v7
	v_addc_co_u32_e32 v11, vcc, 0, v19, vcc
	v_add_co_u32_e32 v12, vcc, v18, v8
	v_addc_co_u32_e32 v13, vcc, 0, v19, vcc
	global_load_dword v9, v[10:11], off offset:2
	global_load_ushort v22, v[12:13], off offset:34
	v_mad_i64_i32 v[10:11], s[16:17], v6, 36, s[4:5]
	v_mad_u64_u32 v[20:21], s[18:19], v0, 36, v[10:11]
	global_load_dwordx4 v[10:13], v[20:21], off
	global_load_dwordx4 v[14:17], v[20:21], off offset:16
	global_load_ushort v23, v[18:19], off
	s_getpc_b64 s[16:17]
	s_add_u32 s16, s16, _ZL13iq1s_grid_gpu@rel32@lo+4
	s_addc_u32 s17, s17, _ZL13iq1s_grid_gpu@rel32@hi+12
	v_add_u32_e32 v3, 8, v3
	v_cmp_le_u32_e32 vcc, s14, v3
	v_add_u32_e32 v6, 64, v6
	s_or_b64 s[12:13], vcc, s[12:13]
	s_waitcnt vmcnt(4)
	v_and_b32_e32 v24, 0xff, v9
	s_waitcnt vmcnt(3)
	v_lshlrev_b32_e32 v25, 8, v22
	v_lshrrev_b16_e32 v18, 8, v9
	v_lshrrev_b32_e32 v19, 24, v9
	v_lshlrev_b32_e32 v26, 5, v22
	v_bfe_u32 v9, v9, 16, 8
	v_lshlrev_b32_e32 v27, 2, v22
	v_lshrrev_b32_e32 v28, 1, v22
	v_and_or_b32 v24, v25, s3, v24
	v_and_or_b32 v18, v26, s3, v18
	;; [unrolled: 1-line block ×4, first 2 shown]
	v_lshlrev_b32_e32 v24, 3, v24
	v_lshlrev_b32_e32 v18, 3, v18
	;; [unrolled: 1-line block ×4, first 2 shown]
	global_load_dword v25, v24, s[16:17]
	global_load_dword v26, v18, s[16:17]
	;; [unrolled: 1-line block ×4, first 2 shown]
	global_load_dword v29, v[20:21], off offset:32
	v_lshrrev_b32_e32 v18, 11, v22
	v_mov_b32_e32 v9, 0
	s_waitcnt vmcnt(7)
	v_cvt_f32_f16_e32 v20, v10
	v_cvt_f32_f16_sdwa v21, v10 dst_sel:DWORD dst_unused:UNUSED_PAD src0_sel:WORD_1
	s_waitcnt vmcnt(5)
	v_cvt_f32_f16_e32 v10, v23
	v_and_or_b32 v23, v18, 14, 1
	v_and_b32_e32 v22, 0x8000, v22
	v_cvt_f32_u32_e32 v22, v22
	v_mov_b32_e32 v19, 0xbf600000
	v_fmac_f32_e32 v19, 0xb7000000, v22
	s_waitcnt vmcnt(4)
	v_and_b32_e32 v18, 0xf0f0f0f, v25
	v_lshrrev_b32_e32 v24, 4, v25
	v_and_b32_e32 v24, 0xf0f0f0f, v24
	v_dot4c_i32_i8_e32 v9, v18, v11
	s_waitcnt vmcnt(3)
	v_and_b32_e32 v25, 0xf0f0f0f, v26
	v_lshrrev_b32_e32 v26, 4, v26
	v_dot4c_i32_i8_e32 v9, v24, v12
	v_and_b32_e32 v11, 0xf0f0f0f, v26
	v_dot4c_i32_i8_e32 v9, v25, v13
	s_waitcnt vmcnt(2)
	v_and_b32_e32 v30, 0xf0f0f0f, v27
	v_lshrrev_b32_e32 v27, 4, v27
	v_dot4c_i32_i8_e32 v9, v11, v14
	;; [unrolled: 6-line block ×3, first 2 shown]
	v_and_b32_e32 v26, 0xf0f0f0f, v28
	v_dot4c_i32_i8_e32 v9, v31, v17
	s_waitcnt vmcnt(0)
	v_dot4c_i32_i8_e32 v9, v26, v29
	s_nop 2
	v_cvt_f32_i32_e32 v18, v9
	v_cvt_f32_ubyte0_e32 v9, v23
	v_mul_f32_e32 v9, v9, v10
	v_pk_mul_f32 v[10:11], v[18:19], v[20:21]
	v_add_f32_e32 v10, v10, v11
	v_fmac_f32_e32 v4, v9, v10
	s_andn2_b64 exec, exec, s[12:13]
	s_cbranch_execnz .LBB250_3
; %bb.4:
	s_or_b64 exec, exec, s[12:13]
.LBB250_5:
	s_or_b64 exec, exec, s[10:11]
	v_mbcnt_lo_u32_b32 v0, -1, 0
	v_mbcnt_hi_u32_b32 v3, -1, v0
	v_and_b32_e32 v0, 64, v3
	v_add_u32_e32 v5, 64, v0
	v_xor_b32_e32 v0, 32, v3
	v_cmp_lt_i32_e32 vcc, v0, v5
	v_cndmask_b32_e32 v0, v3, v0, vcc
	v_lshlrev_b32_e32 v0, 2, v0
	ds_bpermute_b32 v0, v0, v4
	v_xor_b32_e32 v6, 16, v3
	v_cmp_lt_i32_e32 vcc, v6, v5
	s_waitcnt lgkmcnt(0)
	v_add_f32_e32 v0, v4, v0
	v_cndmask_b32_e32 v4, v3, v6, vcc
	v_lshlrev_b32_e32 v4, 2, v4
	ds_bpermute_b32 v4, v4, v0
	v_xor_b32_e32 v6, 8, v3
	v_cmp_lt_i32_e32 vcc, v6, v5
	s_waitcnt lgkmcnt(0)
	v_add_f32_e32 v0, v0, v4
	;; [unrolled: 7-line block ×4, first 2 shown]
	v_cndmask_b32_e32 v4, v3, v6, vcc
	v_lshlrev_b32_e32 v4, 2, v4
	ds_bpermute_b32 v4, v4, v0
	v_xor_b32_e32 v6, 1, v3
	v_cmp_lt_i32_e32 vcc, v6, v5
	v_cndmask_b32_e32 v3, v3, v6, vcc
	v_lshlrev_b32_e32 v3, 2, v3
	s_waitcnt lgkmcnt(0)
	v_add_f32_e32 v0, v0, v4
	ds_bpermute_b32 v3, v3, v0
	v_cmp_eq_u32_e32 vcc, 0, v2
	s_and_b64 exec, exec, vcc
	s_cbranch_execz .LBB250_7
; %bb.6:
	s_mul_i32 s0, s8, s2
	s_waitcnt lgkmcnt(0)
	v_add_f32_e32 v2, v0, v3
	v_add_u32_e32 v0, s0, v1
	v_mov_b32_e32 v1, 0
	v_lshlrev_b64 v[0:1], 2, v[0:1]
	v_mov_b32_e32 v3, s7
	v_add_co_u32_e32 v0, vcc, s6, v0
	v_addc_co_u32_e32 v1, vcc, v3, v1, vcc
	global_store_dword v[0:1], v2, off
.LBB250_7:
	s_endpgm
	.section	.rodata,"a",@progbits
	.p2align	6, 0x0
	.amdhsa_kernel _ZL9moe_vec_qIfLi256ELi8E11block_iq1_sLi1EXadL_ZL18vec_dot_iq1_s_q8_1PKvPK10block_q8_1RKiEEEvS2_S2_PT_PS6_iiii
		.amdhsa_group_segment_fixed_size 0
		.amdhsa_private_segment_fixed_size 0
		.amdhsa_kernarg_size 304
		.amdhsa_user_sgpr_count 6
		.amdhsa_user_sgpr_private_segment_buffer 1
		.amdhsa_user_sgpr_dispatch_ptr 0
		.amdhsa_user_sgpr_queue_ptr 0
		.amdhsa_user_sgpr_kernarg_segment_ptr 1
		.amdhsa_user_sgpr_dispatch_id 0
		.amdhsa_user_sgpr_flat_scratch_init 0
		.amdhsa_user_sgpr_kernarg_preload_length 0
		.amdhsa_user_sgpr_kernarg_preload_offset 0
		.amdhsa_user_sgpr_private_segment_size 0
		.amdhsa_uses_dynamic_stack 0
		.amdhsa_system_sgpr_private_segment_wavefront_offset 0
		.amdhsa_system_sgpr_workgroup_id_x 1
		.amdhsa_system_sgpr_workgroup_id_y 0
		.amdhsa_system_sgpr_workgroup_id_z 1
		.amdhsa_system_sgpr_workgroup_info 0
		.amdhsa_system_vgpr_workitem_id 1
		.amdhsa_next_free_vgpr 32
		.amdhsa_next_free_sgpr 20
		.amdhsa_accum_offset 32
		.amdhsa_reserve_vcc 1
		.amdhsa_reserve_flat_scratch 0
		.amdhsa_float_round_mode_32 0
		.amdhsa_float_round_mode_16_64 0
		.amdhsa_float_denorm_mode_32 3
		.amdhsa_float_denorm_mode_16_64 3
		.amdhsa_dx10_clamp 1
		.amdhsa_ieee_mode 1
		.amdhsa_fp16_overflow 0
		.amdhsa_tg_split 0
		.amdhsa_exception_fp_ieee_invalid_op 0
		.amdhsa_exception_fp_denorm_src 0
		.amdhsa_exception_fp_ieee_div_zero 0
		.amdhsa_exception_fp_ieee_overflow 0
		.amdhsa_exception_fp_ieee_underflow 0
		.amdhsa_exception_fp_ieee_inexact 0
		.amdhsa_exception_int_div_zero 0
	.end_amdhsa_kernel
	.section	.text._ZL9moe_vec_qIfLi256ELi8E11block_iq1_sLi1EXadL_ZL18vec_dot_iq1_s_q8_1PKvPK10block_q8_1RKiEEEvS2_S2_PT_PS6_iiii,"axG",@progbits,_ZL9moe_vec_qIfLi256ELi8E11block_iq1_sLi1EXadL_ZL18vec_dot_iq1_s_q8_1PKvPK10block_q8_1RKiEEEvS2_S2_PT_PS6_iiii,comdat
.Lfunc_end250:
	.size	_ZL9moe_vec_qIfLi256ELi8E11block_iq1_sLi1EXadL_ZL18vec_dot_iq1_s_q8_1PKvPK10block_q8_1RKiEEEvS2_S2_PT_PS6_iiii, .Lfunc_end250-_ZL9moe_vec_qIfLi256ELi8E11block_iq1_sLi1EXadL_ZL18vec_dot_iq1_s_q8_1PKvPK10block_q8_1RKiEEEvS2_S2_PT_PS6_iiii
                                        ; -- End function
	.section	.AMDGPU.csdata,"",@progbits
; Kernel info:
; codeLenInByte = 1100
; NumSgprs: 24
; NumVgprs: 32
; NumAgprs: 0
; TotalNumVgprs: 32
; ScratchSize: 0
; MemoryBound: 0
; FloatMode: 240
; IeeeMode: 1
; LDSByteSize: 0 bytes/workgroup (compile time only)
; SGPRBlocks: 2
; VGPRBlocks: 3
; NumSGPRsForWavesPerEU: 24
; NumVGPRsForWavesPerEU: 32
; AccumOffset: 32
; Occupancy: 8
; WaveLimiterHint : 1
; COMPUTE_PGM_RSRC2:SCRATCH_EN: 0
; COMPUTE_PGM_RSRC2:USER_SGPR: 6
; COMPUTE_PGM_RSRC2:TRAP_HANDLER: 0
; COMPUTE_PGM_RSRC2:TGID_X_EN: 1
; COMPUTE_PGM_RSRC2:TGID_Y_EN: 0
; COMPUTE_PGM_RSRC2:TGID_Z_EN: 1
; COMPUTE_PGM_RSRC2:TIDIG_COMP_CNT: 1
; COMPUTE_PGM_RSRC3_GFX90A:ACCUM_OFFSET: 7
; COMPUTE_PGM_RSRC3_GFX90A:TG_SPLIT: 0
	.section	.text._ZL9moe_vec_qIfLi32ELi4E12block_iq4_nlLi2EXadL_ZL19vec_dot_iq4_nl_q8_1PKvPK10block_q8_1RKiEEEvS2_S2_PT_PS6_iiii,"axG",@progbits,_ZL9moe_vec_qIfLi32ELi4E12block_iq4_nlLi2EXadL_ZL19vec_dot_iq4_nl_q8_1PKvPK10block_q8_1RKiEEEvS2_S2_PT_PS6_iiii,comdat
	.globl	_ZL9moe_vec_qIfLi32ELi4E12block_iq4_nlLi2EXadL_ZL19vec_dot_iq4_nl_q8_1PKvPK10block_q8_1RKiEEEvS2_S2_PT_PS6_iiii ; -- Begin function _ZL9moe_vec_qIfLi32ELi4E12block_iq4_nlLi2EXadL_ZL19vec_dot_iq4_nl_q8_1PKvPK10block_q8_1RKiEEEvS2_S2_PT_PS6_iiii
	.p2align	8
	.type	_ZL9moe_vec_qIfLi32ELi4E12block_iq4_nlLi2EXadL_ZL19vec_dot_iq4_nl_q8_1PKvPK10block_q8_1RKiEEEvS2_S2_PT_PS6_iiii,@function
_ZL9moe_vec_qIfLi32ELi4E12block_iq4_nlLi2EXadL_ZL19vec_dot_iq4_nl_q8_1PKvPK10block_q8_1RKiEEEvS2_S2_PT_PS6_iiii: ; @_ZL9moe_vec_qIfLi32ELi4E12block_iq4_nlLi2EXadL_ZL19vec_dot_iq4_nl_q8_1PKvPK10block_q8_1RKiEEEvS2_S2_PT_PS6_iiii
; %bb.0:
	s_mov_b32 s8, s7
	s_load_dword s7, s[4:5], 0x3c
	s_load_dwordx4 s[0:3], s[4:5], 0x20
	v_bfe_u32 v1, v0, 10, 10
	s_waitcnt lgkmcnt(0)
	s_lshr_b32 s7, s7, 16
	s_mul_i32 s6, s6, s7
	v_add_u32_e32 v1, s6, v1
	v_cmp_gt_u32_e32 vcc, s2, v1
	s_and_saveexec_b64 s[6:7], vcc
	s_cbranch_execz .LBB251_7
; %bb.1:
	v_cvt_f32_u32_e32 v2, s0
	s_load_dwordx2 s[6:7], s[4:5], 0x10
	s_ashr_i32 s9, s1, 31
	s_lshr_b32 s9, s9, 27
	v_rcp_iflag_f32_e32 v3, v2
	v_and_b32_e32 v0, 0x3ff, v0
	s_add_i32 s1, s1, s9
	v_lshrrev_b32_e32 v2, 1, v0
	v_mul_f32_e32 v3, 0x4f7ffffe, v3
	v_cvt_u32_f32_e32 v3, v3
	s_ashr_i32 s16, s1, 5
	v_cmp_gt_u32_e32 vcc, s16, v2
	v_readfirstlane_b32 s1, v3
	v_mov_b32_e32 v3, 0
	s_and_saveexec_b64 s[10:11], vcc
	s_cbranch_execz .LBB251_5
; %bb.2:
	s_sub_i32 s12, 0, s0
	s_mul_i32 s17, s12, s1
	s_load_dwordx4 s[12:15], s[4:5], 0x0
	s_load_dwordx2 s[18:19], s[4:5], 0x18
	s_mov_b32 s9, 0
	s_mul_hi_u32 s4, s1, s17
	s_add_i32 s1, s1, s4
	s_lshl_b64 s[4:5], s[8:9], 2
	s_waitcnt lgkmcnt(0)
	s_add_u32 s4, s18, s4
	s_mul_hi_u32 s1, s8, s1
	s_addc_u32 s5, s19, s5
	s_load_dword s4, s[4:5], 0x0
	s_mul_i32 s5, s1, s0
	s_sub_i32 s5, s8, s5
	s_add_i32 s17, s1, 1
	s_sub_i32 s18, s5, s0
	s_cmp_ge_u32 s5, s0
	s_cselect_b32 s1, s17, s1
	s_cselect_b32 s5, s18, s5
	s_add_i32 s17, s1, 1
	s_cmp_ge_u32 s5, s0
	s_mul_i32 s0, s16, s2
	s_waitcnt lgkmcnt(0)
	s_mul_i32 s0, s0, s4
	s_cselect_b32 s5, s17, s1
	s_mul_hi_i32 s1, s0, 18
	s_mul_i32 s0, s0, 18
	s_add_u32 s0, s12, s0
	s_mul_i32 s4, s5, s3
	s_mov_b32 s5, s9
	v_lshlrev_b32_e32 v3, 1, v0
	s_addc_u32 s1, s13, s1
	s_lshl_b64 s[4:5], s[4:5], 2
	v_and_b32_e32 v6, 2, v3
	s_add_u32 s4, s14, s4
	v_lshlrev_b32_e32 v8, 1, v6
	s_addc_u32 s5, s15, s5
	v_mul_lo_u32 v4, v1, s16
	v_mov_b32_e32 v3, 0
	s_mov_b64 s[12:13], 0
	v_lshlrev_b32_e32 v5, 1, v8
	v_lshlrev_b32_e32 v6, 2, v6
.LBB251_3:                              ; =>This Inner Loop Header: Depth=1
	v_add_u32_e32 v7, v4, v2
	v_mad_i64_i32 v[8:9], s[14:15], v7, 18, s[0:1]
	v_add_co_u32_e32 v10, vcc, v8, v5
	v_addc_co_u32_e32 v11, vcc, 0, v9, vcc
	global_load_dwordx2 v[10:11], v[10:11], off offset:2
	v_mad_i64_i32 v[12:13], s[14:15], v2, 36, s[4:5]
	v_add_co_u32_e32 v14, vcc, v12, v6
	v_addc_co_u32_e32 v15, vcc, 0, v13, vcc
	s_getpc_b64 s[14:15]
	s_add_u32 s14, s14, _ZL13kvalues_iq4nl@rel32@lo+4
	s_addc_u32 s15, s15, _ZL13kvalues_iq4nl@rel32@hi+12
	global_load_dword v7, v[12:13], off
	global_load_dwordx2 v[16:17], v[14:15], off offset:4
	global_load_dwordx2 v[18:19], v[14:15], off offset:20
	v_add_u32_e32 v2, 32, v2
	v_cmp_le_u32_e32 vcc, s16, v2
	s_or_b64 s[12:13], vcc, s[12:13]
	s_waitcnt vmcnt(3)
	v_bfe_u32 v12, v10, 24, 4
	v_and_b32_e32 v13, 15, v10
	v_bfe_u32 v14, v10, 8, 4
	v_bfe_u32 v15, v10, 16, 4
	;; [unrolled: 1-line block ×4, first 2 shown]
	v_lshrrev_b32_e32 v22, 28, v10
	v_bfe_u32 v10, v10, 4, 4
	v_bfe_u32 v23, v11, 24, 4
	v_and_b32_e32 v24, 15, v11
	v_bfe_u32 v25, v11, 8, 4
	v_bfe_u32 v26, v11, 16, 4
	v_bfe_u32 v27, v11, 12, 4
	v_bfe_u32 v28, v11, 20, 4
	v_lshrrev_b32_e32 v29, 28, v11
	v_bfe_u32 v11, v11, 4, 4
	global_load_ubyte v30, v14, s[14:15]
	global_load_ubyte v31, v15, s[14:15]
	;; [unrolled: 1-line block ×15, first 2 shown]
                                        ; kill: killed $vgpr28
                                        ; kill: killed $vgpr15
                                        ; kill: killed $vgpr12
                                        ; kill: killed $vgpr14
                                        ; kill: killed $vgpr20
                                        ; kill: killed $vgpr29
                                        ; kill: killed $vgpr22
                                        ; kill: killed $vgpr27
                                        ; kill: killed $vgpr26
                                        ; kill: killed $vgpr21
                                        ; kill: killed $vgpr25
                                        ; kill: killed $vgpr11
                                        ; kill: killed $vgpr13
                                        ; kill: killed $vgpr10
                                        ; kill: killed $vgpr24
	global_load_ubyte v10, v23, s[14:15]
	s_nop 0
	global_load_ushort v11, v[8:9], off
	v_mov_b32_e32 v8, 0
	v_mov_b32_e32 v9, 0
	s_waitcnt vmcnt(19)
	v_cvt_f32_f16_e32 v7, v7
	s_waitcnt vmcnt(15)
	v_lshlrev_b32_e32 v13, 16, v31
	s_waitcnt vmcnt(13)
	v_lshlrev_b32_e32 v20, 16, v33
	s_waitcnt vmcnt(12)
	v_lshl_or_b32 v21, v32, 8, v34
	s_waitcnt vmcnt(11)
	v_lshlrev_b32_e32 v15, 24, v35
	s_waitcnt vmcnt(10)
	v_lshl_or_b32 v14, v30, 8, v36
	s_waitcnt vmcnt(9)
	v_lshlrev_b32_e32 v12, 24, v37
	v_or3_b32 v12, v14, v13, v12
	s_waitcnt vmcnt(7)
	v_lshlrev_b32_e32 v22, 16, v39
	v_or3_b32 v13, v21, v20, v15
	s_waitcnt vmcnt(5)
	v_lshlrev_b32_e32 v25, 16, v41
	s_waitcnt vmcnt(4)
	v_lshl_or_b32 v26, v40, 8, v42
	s_waitcnt vmcnt(3)
	v_lshlrev_b32_e32 v24, 24, v43
	s_waitcnt vmcnt(2)
	v_lshl_or_b32 v23, v38, 8, v44
	v_or3_b32 v14, v26, v25, v24
	v_dot4c_i32_i8_e32 v8, v12, v16
	v_dot4c_i32_i8_e32 v9, v13, v18
	;; [unrolled: 1-line block ×3, first 2 shown]
	s_waitcnt vmcnt(1)
	v_lshlrev_b32_e32 v10, 24, v10
	v_or3_b32 v10, v23, v22, v10
	v_dot4c_i32_i8_e32 v8, v10, v17
	s_waitcnt vmcnt(0)
	v_cvt_f32_f16_e32 v11, v11
	v_mul_f32_e32 v7, v11, v7
	v_add_u32_e32 v8, v9, v8
	v_cvt_f32_i32_e32 v8, v8
	v_fmac_f32_e32 v3, v7, v8
	s_andn2_b64 exec, exec, s[12:13]
	s_cbranch_execnz .LBB251_3
; %bb.4:
	s_or_b64 exec, exec, s[12:13]
.LBB251_5:
	s_or_b64 exec, exec, s[10:11]
	v_mbcnt_lo_u32_b32 v2, -1, 0
	v_mbcnt_hi_u32_b32 v4, -1, v2
	v_and_b32_e32 v2, 64, v4
	v_add_u32_e32 v5, 64, v2
	v_xor_b32_e32 v2, 32, v4
	v_cmp_lt_i32_e32 vcc, v2, v5
	v_cndmask_b32_e32 v2, v4, v2, vcc
	v_lshlrev_b32_e32 v2, 2, v2
	ds_bpermute_b32 v2, v2, v3
	v_xor_b32_e32 v6, 16, v4
	v_cmp_lt_i32_e32 vcc, v6, v5
	s_waitcnt lgkmcnt(0)
	v_add_f32_e32 v2, v3, v2
	v_cndmask_b32_e32 v3, v4, v6, vcc
	v_lshlrev_b32_e32 v3, 2, v3
	ds_bpermute_b32 v3, v3, v2
	v_xor_b32_e32 v6, 8, v4
	v_cmp_lt_i32_e32 vcc, v6, v5
	s_waitcnt lgkmcnt(0)
	v_add_f32_e32 v2, v2, v3
	;; [unrolled: 7-line block ×5, first 2 shown]
	v_cndmask_b32_e32 v3, v4, v6, vcc
	v_lshlrev_b32_e32 v3, 2, v3
	ds_bpermute_b32 v3, v3, v2
	v_cmp_eq_u32_e32 vcc, 0, v0
	s_and_b64 exec, exec, vcc
	s_cbranch_execz .LBB251_7
; %bb.6:
	s_mul_i32 s0, s8, s2
	v_add_u32_e32 v0, s0, v1
	v_mov_b32_e32 v1, 0
	v_lshlrev_b64 v[0:1], 2, v[0:1]
	s_waitcnt lgkmcnt(0)
	v_add_f32_e32 v2, v2, v3
	v_mov_b32_e32 v3, s7
	v_add_co_u32_e32 v0, vcc, s6, v0
	v_addc_co_u32_e32 v1, vcc, v3, v1, vcc
	global_store_dword v[0:1], v2, off
.LBB251_7:
	s_endpgm
	.section	.rodata,"a",@progbits
	.p2align	6, 0x0
	.amdhsa_kernel _ZL9moe_vec_qIfLi32ELi4E12block_iq4_nlLi2EXadL_ZL19vec_dot_iq4_nl_q8_1PKvPK10block_q8_1RKiEEEvS2_S2_PT_PS6_iiii
		.amdhsa_group_segment_fixed_size 0
		.amdhsa_private_segment_fixed_size 0
		.amdhsa_kernarg_size 304
		.amdhsa_user_sgpr_count 6
		.amdhsa_user_sgpr_private_segment_buffer 1
		.amdhsa_user_sgpr_dispatch_ptr 0
		.amdhsa_user_sgpr_queue_ptr 0
		.amdhsa_user_sgpr_kernarg_segment_ptr 1
		.amdhsa_user_sgpr_dispatch_id 0
		.amdhsa_user_sgpr_flat_scratch_init 0
		.amdhsa_user_sgpr_kernarg_preload_length 0
		.amdhsa_user_sgpr_kernarg_preload_offset 0
		.amdhsa_user_sgpr_private_segment_size 0
		.amdhsa_uses_dynamic_stack 0
		.amdhsa_system_sgpr_private_segment_wavefront_offset 0
		.amdhsa_system_sgpr_workgroup_id_x 1
		.amdhsa_system_sgpr_workgroup_id_y 0
		.amdhsa_system_sgpr_workgroup_id_z 1
		.amdhsa_system_sgpr_workgroup_info 0
		.amdhsa_system_vgpr_workitem_id 1
		.amdhsa_next_free_vgpr 45
		.amdhsa_next_free_sgpr 20
		.amdhsa_accum_offset 48
		.amdhsa_reserve_vcc 1
		.amdhsa_reserve_flat_scratch 0
		.amdhsa_float_round_mode_32 0
		.amdhsa_float_round_mode_16_64 0
		.amdhsa_float_denorm_mode_32 3
		.amdhsa_float_denorm_mode_16_64 3
		.amdhsa_dx10_clamp 1
		.amdhsa_ieee_mode 1
		.amdhsa_fp16_overflow 0
		.amdhsa_tg_split 0
		.amdhsa_exception_fp_ieee_invalid_op 0
		.amdhsa_exception_fp_denorm_src 0
		.amdhsa_exception_fp_ieee_div_zero 0
		.amdhsa_exception_fp_ieee_overflow 0
		.amdhsa_exception_fp_ieee_underflow 0
		.amdhsa_exception_fp_ieee_inexact 0
		.amdhsa_exception_int_div_zero 0
	.end_amdhsa_kernel
	.section	.text._ZL9moe_vec_qIfLi32ELi4E12block_iq4_nlLi2EXadL_ZL19vec_dot_iq4_nl_q8_1PKvPK10block_q8_1RKiEEEvS2_S2_PT_PS6_iiii,"axG",@progbits,_ZL9moe_vec_qIfLi32ELi4E12block_iq4_nlLi2EXadL_ZL19vec_dot_iq4_nl_q8_1PKvPK10block_q8_1RKiEEEvS2_S2_PT_PS6_iiii,comdat
.Lfunc_end251:
	.size	_ZL9moe_vec_qIfLi32ELi4E12block_iq4_nlLi2EXadL_ZL19vec_dot_iq4_nl_q8_1PKvPK10block_q8_1RKiEEEvS2_S2_PT_PS6_iiii, .Lfunc_end251-_ZL9moe_vec_qIfLi32ELi4E12block_iq4_nlLi2EXadL_ZL19vec_dot_iq4_nl_q8_1PKvPK10block_q8_1RKiEEEvS2_S2_PT_PS6_iiii
                                        ; -- End function
	.section	.AMDGPU.csdata,"",@progbits
; Kernel info:
; codeLenInByte = 1164
; NumSgprs: 24
; NumVgprs: 45
; NumAgprs: 0
; TotalNumVgprs: 45
; ScratchSize: 0
; MemoryBound: 0
; FloatMode: 240
; IeeeMode: 1
; LDSByteSize: 0 bytes/workgroup (compile time only)
; SGPRBlocks: 2
; VGPRBlocks: 5
; NumSGPRsForWavesPerEU: 24
; NumVGPRsForWavesPerEU: 45
; AccumOffset: 48
; Occupancy: 8
; WaveLimiterHint : 1
; COMPUTE_PGM_RSRC2:SCRATCH_EN: 0
; COMPUTE_PGM_RSRC2:USER_SGPR: 6
; COMPUTE_PGM_RSRC2:TRAP_HANDLER: 0
; COMPUTE_PGM_RSRC2:TGID_X_EN: 1
; COMPUTE_PGM_RSRC2:TGID_Y_EN: 0
; COMPUTE_PGM_RSRC2:TGID_Z_EN: 1
; COMPUTE_PGM_RSRC2:TIDIG_COMP_CNT: 1
; COMPUTE_PGM_RSRC3_GFX90A:ACCUM_OFFSET: 11
; COMPUTE_PGM_RSRC3_GFX90A:TG_SPLIT: 0
	.section	.text._ZL9moe_vec_qIfLi256ELi8E11block_iq3_sLi1EXadL_ZL18vec_dot_iq3_s_q8_1PKvPK10block_q8_1RKiEEEvS2_S2_PT_PS6_iiii,"axG",@progbits,_ZL9moe_vec_qIfLi256ELi8E11block_iq3_sLi1EXadL_ZL18vec_dot_iq3_s_q8_1PKvPK10block_q8_1RKiEEEvS2_S2_PT_PS6_iiii,comdat
	.globl	_ZL9moe_vec_qIfLi256ELi8E11block_iq3_sLi1EXadL_ZL18vec_dot_iq3_s_q8_1PKvPK10block_q8_1RKiEEEvS2_S2_PT_PS6_iiii ; -- Begin function _ZL9moe_vec_qIfLi256ELi8E11block_iq3_sLi1EXadL_ZL18vec_dot_iq3_s_q8_1PKvPK10block_q8_1RKiEEEvS2_S2_PT_PS6_iiii
	.p2align	8
	.type	_ZL9moe_vec_qIfLi256ELi8E11block_iq3_sLi1EXadL_ZL18vec_dot_iq3_s_q8_1PKvPK10block_q8_1RKiEEEvS2_S2_PT_PS6_iiii,@function
_ZL9moe_vec_qIfLi256ELi8E11block_iq3_sLi1EXadL_ZL18vec_dot_iq3_s_q8_1PKvPK10block_q8_1RKiEEEvS2_S2_PT_PS6_iiii: ; @_ZL9moe_vec_qIfLi256ELi8E11block_iq3_sLi1EXadL_ZL18vec_dot_iq3_s_q8_1PKvPK10block_q8_1RKiEEEvS2_S2_PT_PS6_iiii
; %bb.0:
	s_mov_b32 s8, s7
	s_load_dword s7, s[4:5], 0x3c
	s_load_dwordx4 s[0:3], s[4:5], 0x20
	v_bfe_u32 v1, v0, 10, 10
	s_waitcnt lgkmcnt(0)
	s_lshr_b32 s7, s7, 16
	s_mul_i32 s6, s6, s7
	v_add_u32_e32 v1, s6, v1
	v_cmp_gt_u32_e32 vcc, s2, v1
	s_and_saveexec_b64 s[6:7], vcc
	s_cbranch_execz .LBB252_9
; %bb.1:
	s_load_dwordx2 s[6:7], s[4:5], 0x10
	s_ashr_i32 s9, s1, 31
	s_lshr_b32 s9, s9, 24
	s_add_i32 s1, s1, s9
	v_and_b32_e32 v5, 0x3ff, v0
	s_ashr_i32 s12, s1, 8
	v_lshrrev_b32_e32 v22, 3, v5
	v_cmp_gt_u32_e32 vcc, s12, v22
	v_mov_b32_e32 v23, 0
	s_and_saveexec_b64 s[10:11], vcc
	s_cbranch_execz .LBB252_7
; %bb.2:
	s_load_dwordx2 s[14:15], s[4:5], 0x18
	v_cvt_f32_u32_e32 v0, s0
	s_mov_b32 s9, 0
	s_lshl_b64 s[16:17], s[8:9], 2
	v_lshlrev_b32_e32 v6, 2, v5
	s_waitcnt lgkmcnt(0)
	s_add_u32 s14, s14, s16
	v_rcp_iflag_f32_e32 v0, v0
	s_addc_u32 s15, s15, s17
	s_load_dword s1, s[14:15], 0x0
	s_load_dwordx4 s[16:19], s[4:5], 0x0
	s_mul_i32 s5, s12, s2
	v_mul_f32_e32 v0, 0x4f7ffffe, v0
	v_cvt_u32_f32_e32 v0, v0
	s_waitcnt lgkmcnt(0)
	s_mul_i32 s1, s5, s1
	s_mul_hi_i32 s5, s1, 0x6e
	s_mulk_i32 s1, 0x6e
	s_add_u32 s14, s16, s1
	s_addc_u32 s15, s17, s5
	s_sub_i32 s1, 0, s0
	v_readfirstlane_b32 s5, v0
	s_mul_i32 s1, s1, s5
	s_mul_hi_u32 s1, s5, s1
	s_add_i32 s5, s5, s1
	s_mul_hi_u32 s1, s8, s5
	s_mul_i32 s5, s1, s0
	s_sub_i32 s5, s8, s5
	s_add_i32 s13, s1, 1
	s_sub_i32 s16, s5, s0
	s_cmp_ge_u32 s5, s0
	s_cselect_b32 s1, s13, s1
	s_cselect_b32 s5, s16, s5
	s_add_i32 s13, s1, 1
	s_cmp_ge_u32 s5, s0
	s_cselect_b32 s0, s13, s1
	s_mul_i32 s0, s0, s3
	s_mov_b32 s1, s9
	s_lshl_b64 s[0:1], s[0:1], 2
	s_add_u32 s0, s18, s0
	v_and_b32_e32 v0, 7, v5
	s_addc_u32 s1, s19, s1
	v_and_b32_e32 v25, 4, v6
	v_lshlrev_b32_e32 v6, 2, v0
	v_mad_u64_u32 v[2:3], s[0:1], v0, 36, s[0:1]
	v_mov_b32_e32 v7, s15
	v_add_co_u32_e32 v6, vcc, s14, v6
	v_addc_co_u32_e32 v7, vcc, 0, v7, vcc
	s_movk_i32 s0, 0x4a
	v_add_co_u32_e32 v6, vcc, s0, v6
	v_lshlrev_b32_e32 v8, 3, v0
	v_addc_co_u32_e32 v7, vcc, 0, v7, vcc
	v_mov_b32_e32 v9, s15
	v_add_co_u32_e32 v8, vcc, s14, v8
	v_addc_co_u32_e32 v9, vcc, 0, v9, vcc
	v_mul_lo_u32 v24, v1, s12
	v_add_co_u32_e32 v8, vcc, 2, v8
	s_movk_i32 s4, 0x6e
	v_mov_b32_e32 v23, 0
	v_bfe_u32 v4, v5, 1, 2
	v_add_u32_e32 v26, v22, v24
	v_addc_co_u32_e32 v9, vcc, 0, v9, vcc
	s_mov_b64 s[0:1], 0
	v_pk_mov_b32 v[10:11], s[14:15], s[14:15] op_sel:[0,1]
	s_movk_i32 s3, 0x100
	s_mov_b32 s5, 0x1010101
	s_mov_b32 s9, 0x1000000
	v_mov_b32_e32 v27, 0xff0000
	v_mov_b32_e32 v28, 0xff00
	;; [unrolled: 1-line block ×3, first 2 shown]
	s_mov_b32 s13, 0xc060c00
	s_getpc_b64 s[16:17]
	s_add_u32 s16, s16, _ZL10iq3xs_grid@rel32@lo+4
	s_addc_u32 s17, s17, _ZL10iq3xs_grid@rel32@hi+12
.LBB252_3:                              ; =>This Loop Header: Depth=1
                                        ;     Child Loop BB252_4 Depth 2
	v_add_u32_e32 v12, v22, v24
	v_mad_i64_i32 v[12:13], s[14:15], v12, s4, v[10:11]
	v_add_co_u32_e32 v14, vcc, v12, v0
	v_addc_co_u32_e32 v15, vcc, 0, v13, vcc
	global_load_ubyte v31, v[14:15], off offset:66
	v_lshlrev_b32_e32 v14, 3, v22
	v_mad_i64_i32 v[14:15], s[14:15], v14, 36, v[2:3]
	v_mad_i64_i32 v[16:17], s[14:15], v26, s4, v[6:7]
	;; [unrolled: 1-line block ×3, first 2 shown]
	v_add_co_u32_e32 v20, vcc, 4, v14
	v_addc_co_u32_e32 v21, vcc, 0, v15, vcc
	s_mov_b32 s14, 7
	v_mov_b32_e32 v30, 0
.LBB252_4:                              ;   Parent Loop BB252_3 Depth=1
                                        ; =>  This Inner Loop Header: Depth=2
	global_load_ushort v32, v[18:19], off
	global_load_ubyte v34, v[16:17], off
	s_add_i32 s15, s14, 1
	s_waitcnt vmcnt(2)
	v_lshlrev_b32_e32 v35, s15, v31
	v_lshlrev_b32_e32 v33, s14, v31
	s_add_i32 s14, s14, -2
	s_cmp_lg_u32 s14, -1
	s_waitcnt vmcnt(1)
	v_and_b32_e32 v36, 0xff, v32
	v_lshrrev_b16_e32 v32, 8, v32
	v_and_or_b32 v35, v35, s3, v36
	v_and_or_b32 v32, v33, s3, v32
	v_lshlrev_b32_e32 v35, 2, v35
	v_lshlrev_b32_e32 v36, 2, v32
	global_load_dword v37, v35, s[16:17]
	global_load_dword v38, v36, s[16:17]
	global_load_dwordx2 v[32:33], v[20:21], off
	v_add_co_u32_e32 v20, vcc, 8, v20
	v_addc_co_u32_e32 v21, vcc, 0, v21, vcc
	v_add_co_u32_e32 v16, vcc, 1, v16
	s_waitcnt vmcnt(3)
	v_and_b32_e32 v35, 15, v34
	v_lshrrev_b16_e32 v34, 4, v34
	v_addc_co_u32_e32 v17, vcc, 0, v17, vcc
	v_mul_lo_u32 v34, v34, s5
	v_add_co_u32_e32 v18, vcc, 2, v18
	v_not_b32_e32 v34, v34
	v_addc_co_u32_e32 v19, vcc, 0, v19, vcc
	v_and_b32_e32 v36, 0x8040201, v34
	v_and_b32_e32 v35, 0xffff, v35
	;; [unrolled: 1-line block ×3, first 2 shown]
	v_cmp_gt_u32_e32 vcc, s9, v36
	v_mul_lo_u32 v35, v35, s5
	v_and_b32_e32 v40, 0x200, v34
	v_cndmask_b32_e64 v36, 0, -1, vcc
	v_cmp_eq_u32_e32 vcc, 0, v39
	v_not_b32_e32 v35, v35
	v_and_b32_e32 v34, 1, v34
	v_cndmask_b32_e32 v39, 0, v27, vcc
	v_cmp_eq_u32_e32 vcc, 0, v40
	v_and_b32_e32 v41, 0x8040201, v35
	v_cndmask_b32_e32 v40, 0, v28, vcc
	v_cmp_eq_u32_e32 vcc, 0, v34
	v_and_b32_e32 v42, 0x40000, v35
	v_cndmask_b32_e32 v34, 0, v29, vcc
	v_cmp_gt_u32_e32 vcc, s9, v41
	v_and_b32_e32 v43, 0x200, v35
	v_cndmask_b32_e64 v41, 0, -1, vcc
	v_cmp_eq_u32_e32 vcc, 0, v42
	v_and_b32_e32 v35, 1, v35
	v_cndmask_b32_e32 v42, 0, v27, vcc
	v_cmp_eq_u32_e32 vcc, 0, v43
	v_cndmask_b32_e32 v43, 0, v28, vcc
	v_cmp_eq_u32_e32 vcc, 0, v35
	v_cndmask_b32_e32 v35, 0, v29, vcc
	v_lshlrev_b32_e32 v41, 24, v41
	v_or_b32_e32 v45, v43, v35
	v_lshlrev_b32_e32 v36, 24, v36
	v_or_b32_e32 v44, v40, v34
	v_or3_b32 v45, v45, v42, v41
	v_or3_b32 v44, v44, v39, v36
	s_waitcnt vmcnt(2)
	v_xor_b32_e32 v37, v45, v37
	s_waitcnt vmcnt(1)
	v_xor_b32_e32 v38, v44, v38
	v_sub_u32_e32 v41, v37, v41
	v_sub_u32_e32 v42, v37, v42
	;; [unrolled: 1-line block ×8, first 2 shown]
	v_and_b32_e32 v38, 0xff000000, v41
	v_and_b32_e32 v40, 0xff00, v43
	v_perm_b32 v35, v42, v35, s13
	v_and_b32_e32 v36, 0xff000000, v36
	v_and_b32_e32 v39, 0xff00, v39
	v_perm_b32 v34, v37, v34, s13
	v_or3_b32 v35, v35, v38, v40
	v_or3_b32 v34, v34, v36, v39
	s_waitcnt vmcnt(0)
	v_dot4c_i32_i8_e32 v30, v35, v32
	v_dot4c_i32_i8_e32 v30, v34, v33
	s_cbranch_scc1 .LBB252_4
; %bb.5:                                ;   in Loop: Header=BB252_3 Depth=1
	global_load_ushort v16, v[12:13], off
	v_add_co_u32_e32 v12, vcc, v12, v4
	v_addc_co_u32_e32 v13, vcc, 0, v13, vcc
	global_load_dword v17, v[14:15], off
	global_load_ubyte v18, v[12:13], off offset:106
	v_cvt_f32_i32_e32 v12, v30
	v_add_u32_e32 v22, 8, v22
	v_cmp_le_u32_e32 vcc, s12, v22
	s_or_b64 s[0:1], vcc, s[0:1]
	v_add_u32_e32 v26, 8, v26
	s_waitcnt vmcnt(2)
	v_cvt_f32_f16_e32 v13, v16
	s_waitcnt vmcnt(1)
	v_cvt_f32_f16_e32 v14, v17
	s_waitcnt vmcnt(0)
	v_bfe_u32 v15, v18, v25, 4
	v_cvt_f32_ubyte0_e32 v15, v15
	v_add_f32_e32 v15, 0.5, v15
	v_mul_f32_e32 v13, v15, v13
	v_mul_f32_e32 v13, v13, v14
	v_mul_f32_e32 v13, 0.5, v13
	v_fmac_f32_e32 v23, v13, v12
	s_andn2_b64 exec, exec, s[0:1]
	s_cbranch_execnz .LBB252_3
; %bb.6:
	s_or_b64 exec, exec, s[0:1]
.LBB252_7:
	s_or_b64 exec, exec, s[10:11]
	v_mbcnt_lo_u32_b32 v0, -1, 0
	v_mbcnt_hi_u32_b32 v2, -1, v0
	v_and_b32_e32 v0, 64, v2
	v_add_u32_e32 v3, 64, v0
	v_xor_b32_e32 v0, 32, v2
	v_cmp_lt_i32_e32 vcc, v0, v3
	v_cndmask_b32_e32 v0, v2, v0, vcc
	v_lshlrev_b32_e32 v0, 2, v0
	ds_bpermute_b32 v0, v0, v23
	v_xor_b32_e32 v4, 16, v2
	v_cmp_lt_i32_e32 vcc, v4, v3
	v_cndmask_b32_e32 v4, v2, v4, vcc
	v_lshlrev_b32_e32 v4, 2, v4
	s_waitcnt lgkmcnt(0)
	v_add_f32_e32 v0, v23, v0
	ds_bpermute_b32 v4, v4, v0
	v_xor_b32_e32 v6, 8, v2
	v_cmp_lt_i32_e32 vcc, v6, v3
	s_waitcnt lgkmcnt(0)
	v_add_f32_e32 v0, v0, v4
	v_cndmask_b32_e32 v4, v2, v6, vcc
	v_lshlrev_b32_e32 v4, 2, v4
	ds_bpermute_b32 v4, v4, v0
	v_xor_b32_e32 v6, 4, v2
	v_cmp_lt_i32_e32 vcc, v6, v3
	s_waitcnt lgkmcnt(0)
	v_add_f32_e32 v0, v0, v4
	v_cndmask_b32_e32 v4, v2, v6, vcc
	v_lshlrev_b32_e32 v4, 2, v4
	;; [unrolled: 7-line block ×3, first 2 shown]
	ds_bpermute_b32 v4, v4, v0
	v_xor_b32_e32 v6, 1, v2
	v_cmp_lt_i32_e32 vcc, v6, v3
	v_cndmask_b32_e32 v2, v2, v6, vcc
	v_lshlrev_b32_e32 v2, 2, v2
	s_waitcnt lgkmcnt(0)
	v_add_f32_e32 v0, v0, v4
	ds_bpermute_b32 v2, v2, v0
	v_cmp_eq_u32_e32 vcc, 0, v5
	s_and_b64 exec, exec, vcc
	s_cbranch_execz .LBB252_9
; %bb.8:
	s_mul_i32 s0, s8, s2
	s_waitcnt lgkmcnt(0)
	v_add_f32_e32 v2, v0, v2
	v_add_u32_e32 v0, s0, v1
	v_mov_b32_e32 v1, 0
	v_lshlrev_b64 v[0:1], 2, v[0:1]
	v_mov_b32_e32 v3, s7
	v_add_co_u32_e32 v0, vcc, s6, v0
	v_addc_co_u32_e32 v1, vcc, v3, v1, vcc
	global_store_dword v[0:1], v2, off
.LBB252_9:
	s_endpgm
	.section	.rodata,"a",@progbits
	.p2align	6, 0x0
	.amdhsa_kernel _ZL9moe_vec_qIfLi256ELi8E11block_iq3_sLi1EXadL_ZL18vec_dot_iq3_s_q8_1PKvPK10block_q8_1RKiEEEvS2_S2_PT_PS6_iiii
		.amdhsa_group_segment_fixed_size 0
		.amdhsa_private_segment_fixed_size 0
		.amdhsa_kernarg_size 304
		.amdhsa_user_sgpr_count 6
		.amdhsa_user_sgpr_private_segment_buffer 1
		.amdhsa_user_sgpr_dispatch_ptr 0
		.amdhsa_user_sgpr_queue_ptr 0
		.amdhsa_user_sgpr_kernarg_segment_ptr 1
		.amdhsa_user_sgpr_dispatch_id 0
		.amdhsa_user_sgpr_flat_scratch_init 0
		.amdhsa_user_sgpr_kernarg_preload_length 0
		.amdhsa_user_sgpr_kernarg_preload_offset 0
		.amdhsa_user_sgpr_private_segment_size 0
		.amdhsa_uses_dynamic_stack 0
		.amdhsa_system_sgpr_private_segment_wavefront_offset 0
		.amdhsa_system_sgpr_workgroup_id_x 1
		.amdhsa_system_sgpr_workgroup_id_y 0
		.amdhsa_system_sgpr_workgroup_id_z 1
		.amdhsa_system_sgpr_workgroup_info 0
		.amdhsa_system_vgpr_workitem_id 1
		.amdhsa_next_free_vgpr 46
		.amdhsa_next_free_sgpr 20
		.amdhsa_accum_offset 48
		.amdhsa_reserve_vcc 1
		.amdhsa_reserve_flat_scratch 0
		.amdhsa_float_round_mode_32 0
		.amdhsa_float_round_mode_16_64 0
		.amdhsa_float_denorm_mode_32 3
		.amdhsa_float_denorm_mode_16_64 3
		.amdhsa_dx10_clamp 1
		.amdhsa_ieee_mode 1
		.amdhsa_fp16_overflow 0
		.amdhsa_tg_split 0
		.amdhsa_exception_fp_ieee_invalid_op 0
		.amdhsa_exception_fp_denorm_src 0
		.amdhsa_exception_fp_ieee_div_zero 0
		.amdhsa_exception_fp_ieee_overflow 0
		.amdhsa_exception_fp_ieee_underflow 0
		.amdhsa_exception_fp_ieee_inexact 0
		.amdhsa_exception_int_div_zero 0
	.end_amdhsa_kernel
	.section	.text._ZL9moe_vec_qIfLi256ELi8E11block_iq3_sLi1EXadL_ZL18vec_dot_iq3_s_q8_1PKvPK10block_q8_1RKiEEEvS2_S2_PT_PS6_iiii,"axG",@progbits,_ZL9moe_vec_qIfLi256ELi8E11block_iq3_sLi1EXadL_ZL18vec_dot_iq3_s_q8_1PKvPK10block_q8_1RKiEEEvS2_S2_PT_PS6_iiii,comdat
.Lfunc_end252:
	.size	_ZL9moe_vec_qIfLi256ELi8E11block_iq3_sLi1EXadL_ZL18vec_dot_iq3_s_q8_1PKvPK10block_q8_1RKiEEEvS2_S2_PT_PS6_iiii, .Lfunc_end252-_ZL9moe_vec_qIfLi256ELi8E11block_iq3_sLi1EXadL_ZL18vec_dot_iq3_s_q8_1PKvPK10block_q8_1RKiEEEvS2_S2_PT_PS6_iiii
                                        ; -- End function
	.section	.AMDGPU.csdata,"",@progbits
; Kernel info:
; codeLenInByte = 1396
; NumSgprs: 24
; NumVgprs: 46
; NumAgprs: 0
; TotalNumVgprs: 46
; ScratchSize: 0
; MemoryBound: 0
; FloatMode: 240
; IeeeMode: 1
; LDSByteSize: 0 bytes/workgroup (compile time only)
; SGPRBlocks: 2
; VGPRBlocks: 5
; NumSGPRsForWavesPerEU: 24
; NumVGPRsForWavesPerEU: 46
; AccumOffset: 48
; Occupancy: 8
; WaveLimiterHint : 1
; COMPUTE_PGM_RSRC2:SCRATCH_EN: 0
; COMPUTE_PGM_RSRC2:USER_SGPR: 6
; COMPUTE_PGM_RSRC2:TRAP_HANDLER: 0
; COMPUTE_PGM_RSRC2:TGID_X_EN: 1
; COMPUTE_PGM_RSRC2:TGID_Y_EN: 0
; COMPUTE_PGM_RSRC2:TGID_Z_EN: 1
; COMPUTE_PGM_RSRC2:TIDIG_COMP_CNT: 1
; COMPUTE_PGM_RSRC3_GFX90A:ACCUM_OFFSET: 11
; COMPUTE_PGM_RSRC3_GFX90A:TG_SPLIT: 0
	.section	.text._ZL9moe_vec_qIfLi256ELi8E11block_iq2_sLi1EXadL_ZL18vec_dot_iq2_s_q8_1PKvPK10block_q8_1RKiEEEvS2_S2_PT_PS6_iiii,"axG",@progbits,_ZL9moe_vec_qIfLi256ELi8E11block_iq2_sLi1EXadL_ZL18vec_dot_iq2_s_q8_1PKvPK10block_q8_1RKiEEEvS2_S2_PT_PS6_iiii,comdat
	.globl	_ZL9moe_vec_qIfLi256ELi8E11block_iq2_sLi1EXadL_ZL18vec_dot_iq2_s_q8_1PKvPK10block_q8_1RKiEEEvS2_S2_PT_PS6_iiii ; -- Begin function _ZL9moe_vec_qIfLi256ELi8E11block_iq2_sLi1EXadL_ZL18vec_dot_iq2_s_q8_1PKvPK10block_q8_1RKiEEEvS2_S2_PT_PS6_iiii
	.p2align	8
	.type	_ZL9moe_vec_qIfLi256ELi8E11block_iq2_sLi1EXadL_ZL18vec_dot_iq2_s_q8_1PKvPK10block_q8_1RKiEEEvS2_S2_PT_PS6_iiii,@function
_ZL9moe_vec_qIfLi256ELi8E11block_iq2_sLi1EXadL_ZL18vec_dot_iq2_s_q8_1PKvPK10block_q8_1RKiEEEvS2_S2_PT_PS6_iiii: ; @_ZL9moe_vec_qIfLi256ELi8E11block_iq2_sLi1EXadL_ZL18vec_dot_iq2_s_q8_1PKvPK10block_q8_1RKiEEEvS2_S2_PT_PS6_iiii
; %bb.0:
	s_mov_b32 s8, s7
	s_load_dword s7, s[4:5], 0x3c
	s_load_dwordx4 s[0:3], s[4:5], 0x20
	v_bfe_u32 v1, v0, 10, 10
	s_waitcnt lgkmcnt(0)
	s_lshr_b32 s7, s7, 16
	s_mul_i32 s6, s6, s7
	v_add_u32_e32 v1, s6, v1
	v_cmp_gt_u32_e32 vcc, s2, v1
	s_and_saveexec_b64 s[6:7], vcc
	s_cbranch_execz .LBB253_7
; %bb.1:
	s_load_dwordx2 s[6:7], s[4:5], 0x10
	s_ashr_i32 s9, s1, 31
	s_lshr_b32 s9, s9, 24
	s_add_i32 s1, s1, s9
	v_and_b32_e32 v5, 0x3ff, v0
	s_ashr_i32 s12, s1, 8
	v_lshrrev_b32_e32 v14, 3, v5
	v_cmp_gt_u32_e32 vcc, s12, v14
	v_mov_b32_e32 v15, 0
	s_and_saveexec_b64 s[10:11], vcc
	s_cbranch_execz .LBB253_5
; %bb.2:
	s_load_dwordx2 s[14:15], s[4:5], 0x18
	v_cvt_f32_u32_e32 v0, s0
	s_mov_b32 s9, 0
	s_lshl_b64 s[16:17], s[8:9], 2
	s_movk_i32 s13, 0x52
	s_waitcnt lgkmcnt(0)
	s_add_u32 s14, s14, s16
	v_rcp_iflag_f32_e32 v0, v0
	s_addc_u32 s15, s15, s17
	s_load_dword s1, s[14:15], 0x0
	s_load_dwordx4 s[16:19], s[4:5], 0x0
	s_mul_i32 s4, s12, s2
	v_mul_f32_e32 v0, 0x4f7ffffe, v0
	v_cvt_u32_f32_e32 v0, v0
	s_waitcnt lgkmcnt(0)
	s_mul_i32 s1, s4, s1
	s_mul_hi_i32 s4, s1, 0x52
	s_mulk_i32 s1, 0x52
	s_add_u32 s14, s16, s1
	s_addc_u32 s15, s17, s4
	s_sub_i32 s1, 0, s0
	v_readfirstlane_b32 s4, v0
	s_mul_i32 s1, s1, s4
	s_mul_hi_u32 s1, s4, s1
	s_add_i32 s4, s4, s1
	s_mul_hi_u32 s1, s8, s4
	s_mul_i32 s4, s1, s0
	s_sub_i32 s4, s8, s4
	s_add_i32 s5, s1, 1
	s_sub_i32 s16, s4, s0
	s_cmp_ge_u32 s4, s0
	s_cselect_b32 s1, s5, s1
	s_cselect_b32 s4, s16, s4
	s_add_i32 s5, s1, 1
	s_cmp_ge_u32 s4, s0
	s_cselect_b32 s0, s5, s1
	s_mul_i32 s0, s0, s3
	s_mov_b32 s1, s9
	s_lshl_b64 s[0:1], s[0:1], 2
	s_add_u32 s0, s18, s0
	s_addc_u32 s1, s19, s1
	v_and_b32_e32 v0, 7, v5
	v_mul_lo_u32 v16, v1, s12
	v_mov_b32_e32 v15, 0
	v_mad_u64_u32 v[2:3], s[0:1], v0, 36, s[0:1]
	v_lshlrev_b32_e32 v4, 2, v0
	v_lshlrev_b32_e32 v17, 3, v14
	s_mov_b64 s[4:5], 0
	v_pk_mov_b32 v[6:7], s[14:15], s[14:15] op_sel:[0,1]
	s_movk_i32 s3, 0x300
	s_mov_b32 s9, 0x1010101
	s_mov_b32 s14, 0x1000000
	v_mov_b32_e32 v18, 0xff0000
	v_mov_b32_e32 v19, 0xff00
	;; [unrolled: 1-line block ×3, first 2 shown]
	s_mov_b32 s15, 0xc060c00
	v_mov_b32_e32 v21, 4
.LBB253_3:                              ; =>This Inner Loop Header: Depth=1
	v_add_u32_e32 v8, v16, v14
	v_mad_i64_i32 v[8:9], s[16:17], v8, s13, v[6:7]
	v_add_co_u32_e32 v10, vcc, v8, v4
	v_addc_co_u32_e32 v11, vcc, 0, v9, vcc
	v_add_co_u32_e32 v12, vcc, v8, v0
	v_addc_co_u32_e32 v13, vcc, 0, v9, vcc
	global_load_ushort v26, v[8:9], off
	global_load_dword v22, v[10:11], off offset:2
	global_load_ubyte v23, v[12:13], off offset:66
	global_load_dword v24, v[10:11], off offset:34
	global_load_ubyte v27, v[12:13], off offset:74
	s_getpc_b64 s[0:1]
	s_add_u32 s0, s0, _ZL9iq2s_grid@rel32@lo+4
	s_addc_u32 s1, s1, _ZL9iq2s_grid@rel32@hi+12
	v_add_u32_e32 v14, 8, v14
	s_waitcnt vmcnt(4)
	v_cvt_f32_f16_e32 v26, v26
	s_waitcnt vmcnt(3)
	v_lshrrev_b32_e32 v8, 24, v22
	v_and_b32_e32 v9, 0xff, v22
	s_waitcnt vmcnt(2)
	v_lshlrev_b32_e32 v10, 8, v23
	s_waitcnt vmcnt(1)
	v_lshrrev_b32_e32 v11, 8, v24
	v_and_b32_e32 v12, 15, v24
	v_lshrrev_b16_e32 v13, 4, v24
	v_bfe_u32 v25, v22, 8, 8
	v_lshlrev_b32_e32 v28, 6, v23
	v_bfe_u32 v29, v24, 8, 4
	v_bfe_u32 v22, v22, 16, 8
	v_lshlrev_b32_e32 v30, 4, v23
	v_bfe_u32 v31, v24, 16, 4
	v_bfe_u32 v32, v24, 20, 4
	v_lshlrev_b32_e32 v23, 2, v23
	v_bfe_u32 v33, v24, 24, 4
	v_lshrrev_b16_sdwa v24, v21, v24 dst_sel:DWORD dst_unused:UNUSED_PAD src0_sel:DWORD src1_sel:BYTE_3
	v_and_or_b32 v9, v10, s3, v9
	v_mul_lo_u32 v10, v12, s9
	v_and_b32_e32 v12, 15, v13
	v_and_or_b32 v13, v28, s3, v25
	v_mul_lo_u32 v25, v29, s9
	v_lshrrev_b16_e32 v11, 4, v11
	v_and_or_b32 v22, v30, s3, v22
	v_mul_lo_u32 v28, v31, s9
	v_mul_lo_u32 v29, v32, s9
	v_and_or_b32 v8, v23, s3, v8
	v_mul_lo_u32 v23, v33, s9
	v_mul_lo_u32 v24, v24, s9
	v_lshlrev_b32_e32 v30, 3, v9
	v_not_b32_e32 v9, v10
	v_and_b32_e32 v10, 0xffff, v12
	v_lshlrev_b32_e32 v31, 3, v13
	v_not_b32_e32 v12, v25
	v_and_b32_e32 v11, 15, v11
	v_lshlrev_b32_e32 v25, 3, v22
	v_not_b32_e32 v13, v28
	v_not_b32_e32 v22, v29
	v_lshlrev_b32_e32 v28, 3, v8
	v_not_b32_e32 v8, v23
	v_not_b32_e32 v23, v24
	v_and_b32_e32 v24, 0x8040201, v9
	v_and_b32_e32 v29, 0x40000, v9
	;; [unrolled: 1-line block ×4, first 2 shown]
	v_mul_lo_u32 v34, v10, s9
	v_and_b32_e32 v35, 0x8040201, v12
	v_and_b32_e32 v36, 0x40000, v12
	;; [unrolled: 1-line block ×21, first 2 shown]
	global_load_dwordx2 v[8:9], v30, s[0:1]
	global_load_dwordx2 v[10:11], v31, s[0:1]
	;; [unrolled: 1-line block ×4, first 2 shown]
	v_cmp_gt_u32_e32 vcc, s14, v24
	v_cndmask_b32_e64 v24, 0, -1, vcc
	v_cmp_eq_u32_e32 vcc, 0, v29
	v_cndmask_b32_e32 v25, 0, v18, vcc
	v_cmp_eq_u32_e32 vcc, 0, v32
	v_cndmask_b32_e32 v28, 0, v19, vcc
	;; [unrolled: 2-line block ×3, first 2 shown]
	v_cmp_gt_u32_e32 vcc, s14, v35
	v_cndmask_b32_e64 v31, 0, -1, vcc
	v_cmp_eq_u32_e32 vcc, 0, v36
	v_cndmask_b32_e32 v32, 0, v18, vcc
	v_cmp_eq_u32_e32 vcc, 0, v37
	v_cndmask_b32_e32 v33, 0, v19, vcc
	v_cmp_eq_u32_e32 vcc, 0, v38
	v_not_b32_e32 v30, v34
	v_cndmask_b32_e32 v34, 0, v20, vcc
	v_cmp_gt_u32_e32 vcc, s14, v40
	v_cndmask_b32_e64 v36, 0, -1, vcc
	v_cmp_eq_u32_e32 vcc, 0, v41
	v_cndmask_b32_e32 v37, 0, v18, vcc
	v_cmp_eq_u32_e32 vcc, 0, v42
	v_cndmask_b32_e32 v38, 0, v19, vcc
	v_cmp_eq_u32_e32 vcc, 0, v43
	v_mul_lo_u32 v35, v39, s9
	v_cndmask_b32_e32 v39, 0, v20, vcc
	v_cmp_gt_u32_e32 vcc, s14, v44
	v_cndmask_b32_e64 v40, 0, -1, vcc
	v_cmp_eq_u32_e32 vcc, 0, v45
	v_cndmask_b32_e32 v41, 0, v18, vcc
	v_cmp_eq_u32_e32 vcc, 0, v46
	v_cndmask_b32_e32 v42, 0, v19, vcc
	v_cmp_eq_u32_e32 vcc, 0, v47
	v_cndmask_b32_e32 v43, 0, v20, vcc
	v_cmp_gt_u32_e32 vcc, s14, v48
	v_cndmask_b32_e64 v44, 0, -1, vcc
	v_cmp_eq_u32_e32 vcc, 0, v49
	v_cndmask_b32_e32 v45, 0, v18, vcc
	v_cmp_eq_u32_e32 vcc, 0, v50
	v_cndmask_b32_e32 v46, 0, v19, vcc
	v_cmp_eq_u32_e32 vcc, 0, v51
	;; [unrolled: 8-line block ×3, first 2 shown]
	v_and_b32_e32 v53, 0x8040201, v30
	v_cndmask_b32_e32 v51, 0, v20, vcc
	v_and_b32_e32 v54, 0x40000, v30
	v_cmp_gt_u32_e32 vcc, s14, v53
	v_and_b32_e32 v55, 0x200, v30
	v_cndmask_b32_e64 v53, 0, -1, vcc
	v_cmp_eq_u32_e32 vcc, 0, v54
	v_and_b32_e32 v30, 1, v30
	v_not_b32_e32 v35, v35
	v_cndmask_b32_e32 v54, 0, v18, vcc
	v_cmp_eq_u32_e32 vcc, 0, v55
	v_cndmask_b32_e32 v55, 0, v19, vcc
	v_cmp_eq_u32_e32 vcc, 0, v30
	v_and_b32_e32 v57, 0x8040201, v35
	v_cndmask_b32_e32 v30, 0, v20, vcc
	v_and_b32_e32 v58, 0x40000, v35
	v_and_b32_e32 v59, 0x200, v35
	v_and_b32_e32 v35, 1, v35
	v_cmp_gt_u32_e64 s[0:1], s14, v57
	v_lshlrev_b32_e32 v53, 24, v53
	v_cmp_eq_u32_e32 vcc, 0, v35
	v_or_b32_e32 v35, v55, v30
	v_cndmask_b32_e64 v57, 0, -1, s[0:1]
	v_cmp_eq_u32_e64 s[0:1], 0, v58
	v_lshlrev_b32_e32 v24, 24, v24
	v_or_b32_e32 v52, v28, v29
	v_cndmask_b32_e64 v58, 0, v18, s[0:1]
	v_cmp_eq_u32_e64 s[0:1], 0, v59
	v_or3_b32 v35, v35, v54, v53
	v_or3_b32 v52, v52, v25, v24
	v_cndmask_b32_e64 v59, 0, v19, s[0:1]
	s_waitcnt vmcnt(3)
	v_xor_b32_e32 v9, v35, v9
	v_cndmask_b32_e32 v35, 0, v20, vcc
	v_lshlrev_b32_e32 v31, 24, v31
	v_or_b32_e32 v56, v33, v34
	v_xor_b32_e32 v8, v52, v8
	v_lshlrev_b32_e32 v52, 24, v57
	v_or_b32_e32 v57, v59, v35
	v_or3_b32 v56, v56, v32, v31
	v_or3_b32 v57, v57, v58, v52
	v_lshlrev_b32_e32 v36, 24, v36
	s_waitcnt vmcnt(2)
	v_xor_b32_e32 v10, v56, v10
	v_xor_b32_e32 v11, v57, v11
	v_or_b32_e32 v56, v38, v39
	v_lshlrev_b32_e32 v40, 24, v40
	v_or_b32_e32 v57, v42, v43
	v_or3_b32 v56, v56, v37, v36
	v_or3_b32 v57, v57, v41, v40
	v_lshlrev_b32_e32 v44, 24, v44
	s_waitcnt vmcnt(1)
	v_xor_b32_e32 v56, v56, v12
	v_xor_b32_e32 v57, v57, v13
	v_or_b32_e32 v12, v46, v47
	v_lshlrev_b32_e32 v48, 24, v48
	v_or_b32_e32 v13, v50, v51
	v_or3_b32 v12, v12, v45, v44
	v_or3_b32 v13, v13, v49, v48
	s_waitcnt vmcnt(0)
	v_xor_b32_e32 v22, v12, v22
	v_xor_b32_e32 v60, v13, v23
	v_mad_i64_i32 v[12:13], s[0:1], v17, 36, v[2:3]
	v_sub_u32_e32 v61, v8, v24
	v_sub_u32_e32 v62, v8, v25
	v_sub_u32_e32 v28, v8, v28
	v_sub_u32_e32 v29, v8, v29
	v_sub_u32_e32 v53, v9, v53
	v_sub_u32_e32 v54, v9, v54
	v_sub_u32_e32 v55, v9, v55
	v_sub_u32_e32 v30, v9, v30
	v_sub_u32_e32 v31, v10, v31
	v_sub_u32_e32 v32, v10, v32
	v_sub_u32_e32 v33, v10, v33
	v_sub_u32_e32 v34, v10, v34
	v_sub_u32_e32 v52, v11, v52
	v_sub_u32_e32 v58, v11, v58
	v_sub_u32_e32 v59, v11, v59
	v_sub_u32_e32 v35, v11, v35
	global_load_dwordx4 v[8:11], v[12:13], off
	v_sub_u32_e32 v44, v22, v44
	v_sub_u32_e32 v45, v22, v45
	v_sub_u32_e32 v46, v22, v46
	v_sub_u32_e32 v47, v22, v47
	global_load_dwordx4 v[22:25], v[12:13], off offset:16
	v_sub_u32_e32 v36, v56, v36
	v_sub_u32_e32 v37, v56, v37
	;; [unrolled: 1-line block ×4, first 2 shown]
	global_load_dword v56, v[12:13], off offset:32
	v_sub_u32_e32 v40, v57, v40
	v_sub_u32_e32 v41, v57, v41
	;; [unrolled: 1-line block ×8, first 2 shown]
	v_and_b32_e32 v36, 0xff000000, v36
	v_and_b32_e32 v38, 0xff00, v38
	v_perm_b32 v37, v37, v39, s15
	v_mov_b32_e32 v50, 0
	v_perm_b32 v29, v62, v29, s15
	v_perm_b32 v30, v54, v30, s15
	v_and_b32_e32 v54, 0xff000000, v61
	v_and_b32_e32 v39, 0xff000000, v40
	v_and_b32_e32 v40, 0xff00, v42
	v_perm_b32 v41, v41, v43, s15
	v_and_b32_e32 v42, 0xff000000, v44
	v_perm_b32 v44, v45, v47, s15
	v_and_b32_e32 v12, 0xff000000, v12
	v_and_b32_e32 v45, 0xff00, v48
	v_perm_b32 v13, v13, v49, s15
	v_and_b32_e32 v28, 0xff00, v28
	v_or3_b32 v36, v37, v36, v38
	v_mov_b32_e32 v51, 0
	v_and_b32_e32 v53, 0xff000000, v53
	v_and_b32_e32 v43, 0xff00, v46
	;; [unrolled: 1-line block ×3, first 2 shown]
	v_or3_b32 v37, v41, v39, v40
	v_or3_b32 v12, v13, v12, v45
	;; [unrolled: 1-line block ×3, first 2 shown]
	v_perm_b32 v32, v32, v34, s15
	v_and_b32_e32 v31, 0xff000000, v31
	v_and_b32_e32 v33, 0xff00, v33
	v_or3_b32 v38, v44, v42, v43
	v_or3_b32 v28, v30, v53, v46
	v_and_b32_e32 v52, 0xff000000, v52
	v_perm_b32 v35, v58, v35, s15
	v_and_b32_e32 v47, 0xff00, v59
	v_or3_b32 v29, v32, v31, v33
	v_or3_b32 v30, v35, v52, v47
	v_lshrrev_b16_e32 v34, 4, v27
	v_and_b32_e32 v27, 15, v27
	v_cvt_f32_ubyte0_e32 v34, v34
	v_cvt_f32_ubyte0_e32 v27, v27
	v_add_f32_e32 v34, 0.5, v34
	v_add_f32_e32 v27, 0.5, v27
	v_cmp_le_u32_e32 vcc, s12, v14
	v_add_u32_e32 v17, 64, v17
	s_or_b64 s[4:5], vcc, s[4:5]
	s_waitcnt vmcnt(2)
	v_dot4c_i32_i8_e32 v51, v13, v9
	v_dot4c_i32_i8_e32 v51, v28, v10
	;; [unrolled: 1-line block ×3, first 2 shown]
	v_cvt_f32_f16_e32 v8, v8
	s_waitcnt vmcnt(1)
	v_dot4c_i32_i8_e32 v50, v36, v23
	v_dot4c_i32_i8_e32 v50, v37, v24
	;; [unrolled: 1-line block ×4, first 2 shown]
	v_mul_f32_e32 v8, v26, v8
	s_waitcnt vmcnt(0)
	v_dot4c_i32_i8_e32 v50, v12, v56
	v_mul_f32_e32 v8, 0x3e800000, v8
	v_cvt_f32_i32_e32 v10, v51
	s_nop 0
	v_cvt_f32_i32_e32 v9, v50
	v_mul_f32_e32 v9, v34, v9
	v_fmac_f32_e32 v9, v27, v10
	v_fmac_f32_e32 v15, v8, v9
	s_andn2_b64 exec, exec, s[4:5]
	s_cbranch_execnz .LBB253_3
; %bb.4:
	s_or_b64 exec, exec, s[4:5]
.LBB253_5:
	s_or_b64 exec, exec, s[10:11]
	v_mbcnt_lo_u32_b32 v0, -1, 0
	v_mbcnt_hi_u32_b32 v2, -1, v0
	v_and_b32_e32 v0, 64, v2
	v_add_u32_e32 v3, 64, v0
	v_xor_b32_e32 v0, 32, v2
	v_cmp_lt_i32_e32 vcc, v0, v3
	v_cndmask_b32_e32 v0, v2, v0, vcc
	v_lshlrev_b32_e32 v0, 2, v0
	ds_bpermute_b32 v0, v0, v15
	v_xor_b32_e32 v4, 16, v2
	v_cmp_lt_i32_e32 vcc, v4, v3
	v_cndmask_b32_e32 v4, v2, v4, vcc
	v_lshlrev_b32_e32 v4, 2, v4
	s_waitcnt lgkmcnt(0)
	v_add_f32_e32 v0, v15, v0
	ds_bpermute_b32 v4, v4, v0
	v_xor_b32_e32 v6, 8, v2
	v_cmp_lt_i32_e32 vcc, v6, v3
	s_waitcnt lgkmcnt(0)
	v_add_f32_e32 v0, v0, v4
	v_cndmask_b32_e32 v4, v2, v6, vcc
	v_lshlrev_b32_e32 v4, 2, v4
	ds_bpermute_b32 v4, v4, v0
	v_xor_b32_e32 v6, 4, v2
	v_cmp_lt_i32_e32 vcc, v6, v3
	s_waitcnt lgkmcnt(0)
	v_add_f32_e32 v0, v0, v4
	v_cndmask_b32_e32 v4, v2, v6, vcc
	v_lshlrev_b32_e32 v4, 2, v4
	;; [unrolled: 7-line block ×3, first 2 shown]
	ds_bpermute_b32 v4, v4, v0
	v_xor_b32_e32 v6, 1, v2
	v_cmp_lt_i32_e32 vcc, v6, v3
	v_cndmask_b32_e32 v2, v2, v6, vcc
	v_lshlrev_b32_e32 v2, 2, v2
	s_waitcnt lgkmcnt(0)
	v_add_f32_e32 v0, v0, v4
	ds_bpermute_b32 v2, v2, v0
	v_cmp_eq_u32_e32 vcc, 0, v5
	s_and_b64 exec, exec, vcc
	s_cbranch_execz .LBB253_7
; %bb.6:
	s_mul_i32 s0, s8, s2
	s_waitcnt lgkmcnt(0)
	v_add_f32_e32 v2, v0, v2
	v_add_u32_e32 v0, s0, v1
	v_mov_b32_e32 v1, 0
	v_lshlrev_b64 v[0:1], 2, v[0:1]
	v_mov_b32_e32 v3, s7
	v_add_co_u32_e32 v0, vcc, s6, v0
	v_addc_co_u32_e32 v1, vcc, v3, v1, vcc
	global_store_dword v[0:1], v2, off
.LBB253_7:
	s_endpgm
	.section	.rodata,"a",@progbits
	.p2align	6, 0x0
	.amdhsa_kernel _ZL9moe_vec_qIfLi256ELi8E11block_iq2_sLi1EXadL_ZL18vec_dot_iq2_s_q8_1PKvPK10block_q8_1RKiEEEvS2_S2_PT_PS6_iiii
		.amdhsa_group_segment_fixed_size 0
		.amdhsa_private_segment_fixed_size 0
		.amdhsa_kernarg_size 304
		.amdhsa_user_sgpr_count 6
		.amdhsa_user_sgpr_private_segment_buffer 1
		.amdhsa_user_sgpr_dispatch_ptr 0
		.amdhsa_user_sgpr_queue_ptr 0
		.amdhsa_user_sgpr_kernarg_segment_ptr 1
		.amdhsa_user_sgpr_dispatch_id 0
		.amdhsa_user_sgpr_flat_scratch_init 0
		.amdhsa_user_sgpr_kernarg_preload_length 0
		.amdhsa_user_sgpr_kernarg_preload_offset 0
		.amdhsa_user_sgpr_private_segment_size 0
		.amdhsa_uses_dynamic_stack 0
		.amdhsa_system_sgpr_private_segment_wavefront_offset 0
		.amdhsa_system_sgpr_workgroup_id_x 1
		.amdhsa_system_sgpr_workgroup_id_y 0
		.amdhsa_system_sgpr_workgroup_id_z 1
		.amdhsa_system_sgpr_workgroup_info 0
		.amdhsa_system_vgpr_workitem_id 1
		.amdhsa_next_free_vgpr 63
		.amdhsa_next_free_sgpr 20
		.amdhsa_accum_offset 64
		.amdhsa_reserve_vcc 1
		.amdhsa_reserve_flat_scratch 0
		.amdhsa_float_round_mode_32 0
		.amdhsa_float_round_mode_16_64 0
		.amdhsa_float_denorm_mode_32 3
		.amdhsa_float_denorm_mode_16_64 3
		.amdhsa_dx10_clamp 1
		.amdhsa_ieee_mode 1
		.amdhsa_fp16_overflow 0
		.amdhsa_tg_split 0
		.amdhsa_exception_fp_ieee_invalid_op 0
		.amdhsa_exception_fp_denorm_src 0
		.amdhsa_exception_fp_ieee_div_zero 0
		.amdhsa_exception_fp_ieee_overflow 0
		.amdhsa_exception_fp_ieee_underflow 0
		.amdhsa_exception_fp_ieee_inexact 0
		.amdhsa_exception_int_div_zero 0
	.end_amdhsa_kernel
	.section	.text._ZL9moe_vec_qIfLi256ELi8E11block_iq2_sLi1EXadL_ZL18vec_dot_iq2_s_q8_1PKvPK10block_q8_1RKiEEEvS2_S2_PT_PS6_iiii,"axG",@progbits,_ZL9moe_vec_qIfLi256ELi8E11block_iq2_sLi1EXadL_ZL18vec_dot_iq2_s_q8_1PKvPK10block_q8_1RKiEEEvS2_S2_PT_PS6_iiii,comdat
.Lfunc_end253:
	.size	_ZL9moe_vec_qIfLi256ELi8E11block_iq2_sLi1EXadL_ZL18vec_dot_iq2_s_q8_1PKvPK10block_q8_1RKiEEEvS2_S2_PT_PS6_iiii, .Lfunc_end253-_ZL9moe_vec_qIfLi256ELi8E11block_iq2_sLi1EXadL_ZL18vec_dot_iq2_s_q8_1PKvPK10block_q8_1RKiEEEvS2_S2_PT_PS6_iiii
                                        ; -- End function
	.section	.AMDGPU.csdata,"",@progbits
; Kernel info:
; codeLenInByte = 2344
; NumSgprs: 24
; NumVgprs: 63
; NumAgprs: 0
; TotalNumVgprs: 63
; ScratchSize: 0
; MemoryBound: 0
; FloatMode: 240
; IeeeMode: 1
; LDSByteSize: 0 bytes/workgroup (compile time only)
; SGPRBlocks: 2
; VGPRBlocks: 7
; NumSGPRsForWavesPerEU: 24
; NumVGPRsForWavesPerEU: 63
; AccumOffset: 64
; Occupancy: 8
; WaveLimiterHint : 1
; COMPUTE_PGM_RSRC2:SCRATCH_EN: 0
; COMPUTE_PGM_RSRC2:USER_SGPR: 6
; COMPUTE_PGM_RSRC2:TRAP_HANDLER: 0
; COMPUTE_PGM_RSRC2:TGID_X_EN: 1
; COMPUTE_PGM_RSRC2:TGID_Y_EN: 0
; COMPUTE_PGM_RSRC2:TGID_Z_EN: 1
; COMPUTE_PGM_RSRC2:TIDIG_COMP_CNT: 1
; COMPUTE_PGM_RSRC3_GFX90A:ACCUM_OFFSET: 15
; COMPUTE_PGM_RSRC3_GFX90A:TG_SPLIT: 0
	.section	.text._ZL9moe_vec_qIfLi256ELi8E12block_iq4_xsLi1EXadL_ZL19vec_dot_iq4_xs_q8_1PKvPK10block_q8_1RKiEEEvS2_S2_PT_PS6_iiii,"axG",@progbits,_ZL9moe_vec_qIfLi256ELi8E12block_iq4_xsLi1EXadL_ZL19vec_dot_iq4_xs_q8_1PKvPK10block_q8_1RKiEEEvS2_S2_PT_PS6_iiii,comdat
	.globl	_ZL9moe_vec_qIfLi256ELi8E12block_iq4_xsLi1EXadL_ZL19vec_dot_iq4_xs_q8_1PKvPK10block_q8_1RKiEEEvS2_S2_PT_PS6_iiii ; -- Begin function _ZL9moe_vec_qIfLi256ELi8E12block_iq4_xsLi1EXadL_ZL19vec_dot_iq4_xs_q8_1PKvPK10block_q8_1RKiEEEvS2_S2_PT_PS6_iiii
	.p2align	8
	.type	_ZL9moe_vec_qIfLi256ELi8E12block_iq4_xsLi1EXadL_ZL19vec_dot_iq4_xs_q8_1PKvPK10block_q8_1RKiEEEvS2_S2_PT_PS6_iiii,@function
_ZL9moe_vec_qIfLi256ELi8E12block_iq4_xsLi1EXadL_ZL19vec_dot_iq4_xs_q8_1PKvPK10block_q8_1RKiEEEvS2_S2_PT_PS6_iiii: ; @_ZL9moe_vec_qIfLi256ELi8E12block_iq4_xsLi1EXadL_ZL19vec_dot_iq4_xs_q8_1PKvPK10block_q8_1RKiEEEvS2_S2_PT_PS6_iiii
; %bb.0:
	s_mov_b32 s8, s7
	s_load_dword s7, s[4:5], 0x3c
	s_load_dwordx4 s[0:3], s[4:5], 0x20
	v_bfe_u32 v1, v0, 10, 10
	s_waitcnt lgkmcnt(0)
	s_lshr_b32 s7, s7, 16
	s_mul_i32 s6, s6, s7
	v_add_u32_e32 v11, s6, v1
	v_cmp_gt_u32_e32 vcc, s2, v11
	s_and_saveexec_b64 s[6:7], vcc
	s_cbranch_execz .LBB254_7
; %bb.1:
	s_load_dwordx2 s[6:7], s[4:5], 0x10
	s_ashr_i32 s9, s1, 31
	s_lshr_b32 s9, s9, 24
	s_add_i32 s1, s1, s9
	v_and_b32_e32 v16, 0x3ff, v0
	s_ashr_i32 s12, s1, 8
	v_lshrrev_b32_e32 v17, 3, v16
	v_cmp_gt_u32_e32 vcc, s12, v17
	v_mov_b32_e32 v18, 0
	s_and_saveexec_b64 s[10:11], vcc
	s_cbranch_execz .LBB254_5
; %bb.2:
	s_load_dwordx2 s[14:15], s[4:5], 0x18
	v_cvt_f32_u32_e32 v0, s0
	s_mov_b32 s9, 0
	s_lshl_b64 s[16:17], s[8:9], 2
	v_and_b32_e32 v1, 7, v16
	s_waitcnt lgkmcnt(0)
	s_add_u32 s14, s14, s16
	v_rcp_iflag_f32_e32 v0, v0
	s_addc_u32 s15, s15, s17
	s_load_dword s1, s[14:15], 0x0
	s_load_dwordx4 s[16:19], s[4:5], 0x0
	s_mul_i32 s4, s12, s2
	v_mul_f32_e32 v0, 0x4f7ffffe, v0
	v_cvt_u32_f32_e32 v0, v0
	s_waitcnt lgkmcnt(0)
	s_mul_i32 s1, s4, s1
	s_mul_hi_i32 s5, s1, 0x88
	s_mulk_i32 s1, 0x88
	s_add_u32 s4, s16, s1
	s_addc_u32 s5, s17, s5
	s_sub_i32 s1, 0, s0
	v_readfirstlane_b32 s14, v0
	s_mul_i32 s1, s1, s14
	s_mul_hi_u32 s1, s14, s1
	s_add_i32 s14, s14, s1
	s_mul_hi_u32 s1, s8, s14
	s_mul_i32 s14, s1, s0
	s_sub_i32 s14, s8, s14
	s_add_i32 s15, s1, 1
	s_sub_i32 s16, s14, s0
	s_cmp_ge_u32 s14, s0
	s_cselect_b32 s1, s15, s1
	s_cselect_b32 s14, s16, s14
	s_add_i32 s15, s1, 1
	s_cmp_ge_u32 s14, s0
	s_cselect_b32 s0, s15, s1
	s_mul_i32 s0, s0, s3
	s_mov_b32 s1, s9
	s_lshl_b64 s[0:1], s[0:1], 2
	s_add_u32 s0, s18, s0
	s_addc_u32 s1, s19, s1
	v_mad_u64_u32 v[8:9], s[0:1], v1, 36, s[0:1]
	v_lshlrev_b32_e32 v0, 2, v1
	v_lshlrev_b32_e32 v2, 2, v16
	s_movk_i32 s13, 0x88
	v_mul_lo_u32 v19, v11, s12
	v_mov_b32_e32 v18, 0
	v_bfe_u32 v10, v16, 1, 2
	v_and_b32_e32 v20, 4, v2
	v_lshlrev_b32_e32 v21, 1, v1
	v_lshlrev_b32_e32 v22, 3, v17
	s_mov_b64 s[0:1], 0
	v_pk_mov_b32 v[12:13], s[4:5], s[4:5] op_sel:[0,1]
	v_lshlrev_b32_e32 v23, 2, v0
.LBB254_3:                              ; =>This Inner Loop Header: Depth=1
	v_add_u32_e32 v0, v19, v17
	v_mad_i64_i32 v[28:29], s[14:15], v0, s13, v[12:13]
	v_add_co_u32_e32 v30, vcc, v28, v23
	v_addc_co_u32_e32 v31, vcc, 0, v29, vcc
	v_add_co_u32_e32 v32, vcc, v28, v10
	v_mad_i64_i32 v[14:15], s[4:5], v22, 36, v[8:9]
	v_addc_co_u32_e32 v33, vcc, 0, v29, vcc
	global_load_dwordx4 v[24:27], v[30:31], off offset:8
	global_load_ubyte v34, v[32:33], off offset:4
	global_load_dwordx4 v[4:7], v[14:15], off
	global_load_dwordx4 v[0:3], v[14:15], off offset:16
	global_load_dword v35, v[28:29], off
	s_getpc_b64 s[4:5]
	s_add_u32 s4, s4, _ZL13kvalues_iq4nl@rel32@lo+4
	s_addc_u32 s5, s5, _ZL13kvalues_iq4nl@rel32@hi+12
	v_add_u32_e32 v17, 8, v17
	v_cmp_le_u32_e32 vcc, s12, v17
	v_add_u32_e32 v22, 64, v22
	s_or_b64 s[0:1], vcc, s[0:1]
	s_waitcnt vmcnt(4)
	v_bfe_u32 v28, v24, 24, 4
	v_and_b32_e32 v29, 15, v24
	v_bfe_u32 v30, v24, 8, 4
	v_bfe_u32 v31, v24, 16, 4
	v_bfe_u32 v32, v24, 20, 4
	v_lshrrev_b32_e32 v33, 28, v24
	v_bfe_u32 v36, v24, 4, 4
	v_bfe_u32 v24, v24, 12, 4
	v_bfe_u32 v37, v25, 24, 4
	v_and_b32_e32 v38, 15, v25
	v_bfe_u32 v39, v25, 8, 4
	v_bfe_u32 v40, v25, 16, 4
	v_bfe_u32 v41, v25, 20, 4
	v_lshrrev_b32_e32 v42, 28, v25
	v_bfe_u32 v43, v25, 4, 4
	v_bfe_u32 v25, v25, 12, 4
	;; [unrolled: 8-line block ×4, first 2 shown]
	global_load_ubyte v58, v24, s[4:5]
	global_load_ubyte v59, v30, s[4:5]
	;; [unrolled: 1-line block ×6, first 2 shown]
                                        ; kill: killed $vgpr33
                                        ; kill: killed $vgpr32
                                        ; kill: killed $vgpr24
                                        ; kill: killed $vgpr31
                                        ; kill: killed $vgpr36
                                        ; kill: killed $vgpr30
	global_load_ubyte v24, v29, s[4:5]
	global_load_ubyte v30, v28, s[4:5]
	;; [unrolled: 1-line block ×4, first 2 shown]
	s_nop 0
	global_load_ubyte v33, v40, s[4:5]
	global_load_ubyte v36, v41, s[4:5]
                                        ; kill: killed $vgpr41
                                        ; kill: killed $vgpr40
                                        ; kill: killed $vgpr39
                                        ; kill: killed $vgpr29
                                        ; kill: killed $vgpr28
                                        ; kill: killed $vgpr25
	global_load_ubyte v25, v43, s[4:5]
	global_load_ubyte v28, v42, s[4:5]
	;; [unrolled: 1-line block ×6, first 2 shown]
                                        ; kill: killed $vgpr37
                                        ; kill: killed $vgpr46
                                        ; kill: killed $vgpr38
                                        ; kill: killed $vgpr42
                                        ; kill: killed $vgpr26
                                        ; kill: killed $vgpr43
	s_nop 0
	global_load_ubyte v26, v47, s[4:5]
	global_load_ubyte v37, v48, s[4:5]
	global_load_ubyte v38, v50, s[4:5]
	global_load_ubyte v42, v49, s[4:5]
	global_load_ubyte v43, v45, s[4:5]
	global_load_ubyte v46, v44, s[4:5]
                                        ; kill: killed $vgpr44
                                        ; kill: killed $vgpr48
                                        ; kill: killed $vgpr47
                                        ; kill: killed $vgpr45
                                        ; kill: killed $vgpr49
                                        ; kill: killed $vgpr50
	s_nop 0
	global_load_ubyte v44, v27, s[4:5]
	global_load_ubyte v45, v53, s[4:5]
	;; [unrolled: 1-line block ×6, first 2 shown]
                                        ; kill: killed $vgpr55
                                        ; kill: killed $vgpr54
                                        ; kill: killed $vgpr53
                                        ; kill: killed $vgpr56
                                        ; kill: killed $vgpr27
                                        ; kill: killed $vgpr51
	global_load_ubyte v27, v52, s[4:5]
	s_nop 0
	global_load_ubyte v51, v57, s[4:5]
	global_load_dword v53, v[14:15], off offset:32
	s_waitcnt vmcnt(33)
	v_cvt_f32_f16_e32 v52, v35
	v_lshrrev_b32_sdwa v35, v21, v35 dst_sel:DWORD dst_unused:UNUSED_PAD src0_sel:DWORD src1_sel:WORD_1
	v_bfe_u32 v34, v34, v20, 4
	v_lshlrev_b32_e32 v35, 4, v35
	v_and_or_b32 v34, v35, 48, v34
	v_mov_b32_e32 v14, 0
	v_mov_b32_e32 v15, 0
	v_subrev_u32_e32 v34, 32, v34
	v_cvt_f32_i32_e32 v34, v34
	v_cvt_f32_f16_e32 v4, v4
	s_waitcnt vmcnt(30)
	v_lshlrev_b32_e32 v35, 16, v60
	s_waitcnt vmcnt(29)
	v_lshlrev_b32_e32 v55, 16, v61
	s_waitcnt vmcnt(28)
	v_lshl_or_b32 v56, v58, 8, v62
	s_waitcnt vmcnt(27)
	v_lshlrev_b32_e32 v54, 24, v63
	s_waitcnt vmcnt(26)
	v_lshl_or_b32 v24, v59, 8, v24
	s_waitcnt vmcnt(25)
	v_lshlrev_b32_e32 v30, 24, v30
	v_or3_b32 v24, v24, v35, v30
	v_or3_b32 v30, v56, v55, v54
	s_waitcnt vmcnt(22)
	v_lshlrev_b32_e32 v33, 16, v33
	v_dot4c_i32_i8_e32 v14, v24, v5
	v_dot4c_i32_i8_e32 v15, v30, v1
	v_mul_f32_e32 v1, v52, v34
	v_mul_f32_e32 v1, v1, v4
	s_waitcnt vmcnt(20)
	v_lshl_or_b32 v25, v31, 8, v25
	s_waitcnt vmcnt(19)
	v_lshlrev_b32_e32 v28, 24, v28
	s_waitcnt vmcnt(18)
	v_lshl_or_b32 v29, v32, 8, v29
	s_waitcnt vmcnt(17)
	v_lshlrev_b32_e32 v39, 24, v39
	v_lshlrev_b32_e32 v32, 16, v36
	v_or3_b32 v29, v29, v33, v39
	v_or3_b32 v25, v25, v32, v28
	v_dot4c_i32_i8_e32 v14, v29, v6
	v_dot4c_i32_i8_e32 v15, v25, v2
	s_waitcnt vmcnt(14)
	v_lshlrev_b32_e32 v26, 16, v26
	s_waitcnt vmcnt(13)
	v_lshlrev_b32_e32 v37, 16, v37
	s_waitcnt vmcnt(12)
	v_lshl_or_b32 v38, v40, 8, v38
	s_waitcnt vmcnt(10)
	v_lshl_or_b32 v36, v41, 8, v43
	s_waitcnt vmcnt(9)
	v_lshlrev_b32_e32 v31, 24, v46
	v_lshlrev_b32_e32 v41, 24, v42
	v_or3_b32 v26, v36, v26, v31
	v_or3_b32 v28, v38, v37, v41
	v_dot4c_i32_i8_e32 v14, v26, v7
	v_dot4c_i32_i8_e32 v15, v28, v3
	s_waitcnt vmcnt(6)
	v_lshlrev_b32_e32 v42, 16, v47
	s_waitcnt vmcnt(4)
	v_lshlrev_b32_e32 v43, 24, v49
	;; [unrolled: 2-line block ×3, first 2 shown]
	s_waitcnt vmcnt(2)
	v_lshl_or_b32 v27, v45, 8, v27
	v_lshlrev_b32_e32 v45, 16, v48
	s_waitcnt vmcnt(1)
	v_lshl_or_b32 v44, v44, 8, v51
	v_or3_b32 v27, v27, v42, v40
	v_or3_b32 v31, v44, v45, v43
	v_dot4c_i32_i8_e32 v14, v27, v0
	s_waitcnt vmcnt(0)
	v_dot4c_i32_i8_e32 v15, v31, v53
	s_nop 2
	v_add_u32_e32 v0, v15, v14
	v_cvt_f32_i32_e32 v0, v0
	v_fmac_f32_e32 v18, v1, v0
	s_andn2_b64 exec, exec, s[0:1]
	s_cbranch_execnz .LBB254_3
; %bb.4:
	s_or_b64 exec, exec, s[0:1]
.LBB254_5:
	s_or_b64 exec, exec, s[10:11]
	v_mbcnt_lo_u32_b32 v0, -1, 0
	v_mbcnt_hi_u32_b32 v1, -1, v0
	v_and_b32_e32 v0, 64, v1
	v_add_u32_e32 v2, 64, v0
	v_xor_b32_e32 v0, 32, v1
	v_cmp_lt_i32_e32 vcc, v0, v2
	v_cndmask_b32_e32 v0, v1, v0, vcc
	v_lshlrev_b32_e32 v0, 2, v0
	ds_bpermute_b32 v0, v0, v18
	v_xor_b32_e32 v3, 16, v1
	v_cmp_lt_i32_e32 vcc, v3, v2
	v_cndmask_b32_e32 v3, v1, v3, vcc
	v_lshlrev_b32_e32 v3, 2, v3
	s_waitcnt lgkmcnt(0)
	v_add_f32_e32 v0, v18, v0
	ds_bpermute_b32 v3, v3, v0
	v_xor_b32_e32 v4, 8, v1
	v_cmp_lt_i32_e32 vcc, v4, v2
	s_waitcnt lgkmcnt(0)
	v_add_f32_e32 v0, v0, v3
	v_cndmask_b32_e32 v3, v1, v4, vcc
	v_lshlrev_b32_e32 v3, 2, v3
	ds_bpermute_b32 v3, v3, v0
	v_xor_b32_e32 v4, 4, v1
	v_cmp_lt_i32_e32 vcc, v4, v2
	s_waitcnt lgkmcnt(0)
	v_add_f32_e32 v0, v0, v3
	v_cndmask_b32_e32 v3, v1, v4, vcc
	v_lshlrev_b32_e32 v3, 2, v3
	ds_bpermute_b32 v3, v3, v0
	v_xor_b32_e32 v4, 2, v1
	v_cmp_lt_i32_e32 vcc, v4, v2
	s_waitcnt lgkmcnt(0)
	v_add_f32_e32 v0, v0, v3
	v_cndmask_b32_e32 v3, v1, v4, vcc
	v_lshlrev_b32_e32 v3, 2, v3
	ds_bpermute_b32 v3, v3, v0
	v_xor_b32_e32 v4, 1, v1
	v_cmp_lt_i32_e32 vcc, v4, v2
	v_cndmask_b32_e32 v1, v1, v4, vcc
	v_lshlrev_b32_e32 v1, 2, v1
	s_waitcnt lgkmcnt(0)
	v_add_f32_e32 v0, v0, v3
	ds_bpermute_b32 v1, v1, v0
	v_cmp_eq_u32_e32 vcc, 0, v16
	s_and_b64 exec, exec, vcc
	s_cbranch_execz .LBB254_7
; %bb.6:
	s_mul_i32 s0, s8, s2
	s_waitcnt lgkmcnt(0)
	v_add_f32_e32 v2, v0, v1
	v_add_u32_e32 v0, s0, v11
	v_mov_b32_e32 v1, 0
	v_lshlrev_b64 v[0:1], 2, v[0:1]
	v_mov_b32_e32 v3, s7
	v_add_co_u32_e32 v0, vcc, s6, v0
	v_addc_co_u32_e32 v1, vcc, v3, v1, vcc
	global_store_dword v[0:1], v2, off
.LBB254_7:
	s_endpgm
	.section	.rodata,"a",@progbits
	.p2align	6, 0x0
	.amdhsa_kernel _ZL9moe_vec_qIfLi256ELi8E12block_iq4_xsLi1EXadL_ZL19vec_dot_iq4_xs_q8_1PKvPK10block_q8_1RKiEEEvS2_S2_PT_PS6_iiii
		.amdhsa_group_segment_fixed_size 0
		.amdhsa_private_segment_fixed_size 0
		.amdhsa_kernarg_size 304
		.amdhsa_user_sgpr_count 6
		.amdhsa_user_sgpr_private_segment_buffer 1
		.amdhsa_user_sgpr_dispatch_ptr 0
		.amdhsa_user_sgpr_queue_ptr 0
		.amdhsa_user_sgpr_kernarg_segment_ptr 1
		.amdhsa_user_sgpr_dispatch_id 0
		.amdhsa_user_sgpr_flat_scratch_init 0
		.amdhsa_user_sgpr_kernarg_preload_length 0
		.amdhsa_user_sgpr_kernarg_preload_offset 0
		.amdhsa_user_sgpr_private_segment_size 0
		.amdhsa_uses_dynamic_stack 0
		.amdhsa_system_sgpr_private_segment_wavefront_offset 0
		.amdhsa_system_sgpr_workgroup_id_x 1
		.amdhsa_system_sgpr_workgroup_id_y 0
		.amdhsa_system_sgpr_workgroup_id_z 1
		.amdhsa_system_sgpr_workgroup_info 0
		.amdhsa_system_vgpr_workitem_id 1
		.amdhsa_next_free_vgpr 64
		.amdhsa_next_free_sgpr 20
		.amdhsa_accum_offset 64
		.amdhsa_reserve_vcc 1
		.amdhsa_reserve_flat_scratch 0
		.amdhsa_float_round_mode_32 0
		.amdhsa_float_round_mode_16_64 0
		.amdhsa_float_denorm_mode_32 3
		.amdhsa_float_denorm_mode_16_64 3
		.amdhsa_dx10_clamp 1
		.amdhsa_ieee_mode 1
		.amdhsa_fp16_overflow 0
		.amdhsa_tg_split 0
		.amdhsa_exception_fp_ieee_invalid_op 0
		.amdhsa_exception_fp_denorm_src 0
		.amdhsa_exception_fp_ieee_div_zero 0
		.amdhsa_exception_fp_ieee_overflow 0
		.amdhsa_exception_fp_ieee_underflow 0
		.amdhsa_exception_fp_ieee_inexact 0
		.amdhsa_exception_int_div_zero 0
	.end_amdhsa_kernel
	.section	.text._ZL9moe_vec_qIfLi256ELi8E12block_iq4_xsLi1EXadL_ZL19vec_dot_iq4_xs_q8_1PKvPK10block_q8_1RKiEEEvS2_S2_PT_PS6_iiii,"axG",@progbits,_ZL9moe_vec_qIfLi256ELi8E12block_iq4_xsLi1EXadL_ZL19vec_dot_iq4_xs_q8_1PKvPK10block_q8_1RKiEEEvS2_S2_PT_PS6_iiii,comdat
.Lfunc_end254:
	.size	_ZL9moe_vec_qIfLi256ELi8E12block_iq4_xsLi1EXadL_ZL19vec_dot_iq4_xs_q8_1PKvPK10block_q8_1RKiEEEvS2_S2_PT_PS6_iiii, .Lfunc_end254-_ZL9moe_vec_qIfLi256ELi8E12block_iq4_xsLi1EXadL_ZL19vec_dot_iq4_xs_q8_1PKvPK10block_q8_1RKiEEEvS2_S2_PT_PS6_iiii
                                        ; -- End function
	.section	.AMDGPU.csdata,"",@progbits
; Kernel info:
; codeLenInByte = 1660
; NumSgprs: 24
; NumVgprs: 64
; NumAgprs: 0
; TotalNumVgprs: 64
; ScratchSize: 0
; MemoryBound: 0
; FloatMode: 240
; IeeeMode: 1
; LDSByteSize: 0 bytes/workgroup (compile time only)
; SGPRBlocks: 2
; VGPRBlocks: 7
; NumSGPRsForWavesPerEU: 24
; NumVGPRsForWavesPerEU: 64
; AccumOffset: 64
; Occupancy: 8
; WaveLimiterHint : 1
; COMPUTE_PGM_RSRC2:SCRATCH_EN: 0
; COMPUTE_PGM_RSRC2:USER_SGPR: 6
; COMPUTE_PGM_RSRC2:TRAP_HANDLER: 0
; COMPUTE_PGM_RSRC2:TGID_X_EN: 1
; COMPUTE_PGM_RSRC2:TGID_Y_EN: 0
; COMPUTE_PGM_RSRC2:TGID_Z_EN: 1
; COMPUTE_PGM_RSRC2:TIDIG_COMP_CNT: 1
; COMPUTE_PGM_RSRC3_GFX90A:ACCUM_OFFSET: 15
; COMPUTE_PGM_RSRC3_GFX90A:TG_SPLIT: 0
	.section	.text._ZL9moe_vec_qIfLi256ELi8E11block_iq1_mLi1EXadL_ZL18vec_dot_iq1_m_q8_1PKvPK10block_q8_1RKiEEEvS2_S2_PT_PS6_iiii,"axG",@progbits,_ZL9moe_vec_qIfLi256ELi8E11block_iq1_mLi1EXadL_ZL18vec_dot_iq1_m_q8_1PKvPK10block_q8_1RKiEEEvS2_S2_PT_PS6_iiii,comdat
	.globl	_ZL9moe_vec_qIfLi256ELi8E11block_iq1_mLi1EXadL_ZL18vec_dot_iq1_m_q8_1PKvPK10block_q8_1RKiEEEvS2_S2_PT_PS6_iiii ; -- Begin function _ZL9moe_vec_qIfLi256ELi8E11block_iq1_mLi1EXadL_ZL18vec_dot_iq1_m_q8_1PKvPK10block_q8_1RKiEEEvS2_S2_PT_PS6_iiii
	.p2align	8
	.type	_ZL9moe_vec_qIfLi256ELi8E11block_iq1_mLi1EXadL_ZL18vec_dot_iq1_m_q8_1PKvPK10block_q8_1RKiEEEvS2_S2_PT_PS6_iiii,@function
_ZL9moe_vec_qIfLi256ELi8E11block_iq1_mLi1EXadL_ZL18vec_dot_iq1_m_q8_1PKvPK10block_q8_1RKiEEEvS2_S2_PT_PS6_iiii: ; @_ZL9moe_vec_qIfLi256ELi8E11block_iq1_mLi1EXadL_ZL18vec_dot_iq1_m_q8_1PKvPK10block_q8_1RKiEEEvS2_S2_PT_PS6_iiii
; %bb.0:
	s_mov_b32 s8, s7
	s_load_dword s7, s[4:5], 0x3c
	s_load_dwordx4 s[0:3], s[4:5], 0x20
	v_bfe_u32 v1, v0, 10, 10
	s_waitcnt lgkmcnt(0)
	s_lshr_b32 s7, s7, 16
	s_mul_i32 s6, s6, s7
	v_add_u32_e32 v9, s6, v1
	v_cmp_gt_u32_e32 vcc, s2, v9
	s_and_saveexec_b64 s[6:7], vcc
	s_cbranch_execz .LBB255_7
; %bb.1:
	v_cvt_f32_u32_e32 v1, s0
	v_and_b32_e32 v11, 0x3ff, v0
	s_load_dwordx2 s[6:7], s[4:5], 0x10
	s_ashr_i32 s9, s1, 31
	v_rcp_iflag_f32_e32 v1, v1
	s_lshr_b32 s9, s9, 24
	s_add_i32 s1, s1, s9
	v_lshrrev_b32_e32 v14, 3, v11
	v_mul_f32_e32 v0, 0x4f7ffffe, v1
	v_cvt_u32_f32_e32 v0, v0
	s_ashr_i32 s15, s1, 8
	v_cmp_gt_u32_e32 vcc, s15, v14
	v_mov_b32_e32 v15, 0
	v_readfirstlane_b32 s1, v0
	s_and_saveexec_b64 s[10:11], vcc
	s_cbranch_execz .LBB255_5
; %bb.2:
	s_sub_i32 s12, 0, s0
	s_mul_i32 s14, s12, s1
	s_load_dwordx4 s[16:19], s[4:5], 0x0
	s_load_dwordx2 s[12:13], s[4:5], 0x18
	s_mov_b32 s9, 0
	s_mul_hi_u32 s4, s1, s14
	s_add_i32 s1, s1, s4
	s_lshl_b64 s[4:5], s[8:9], 2
	s_waitcnt lgkmcnt(0)
	s_add_u32 s4, s12, s4
	s_mul_hi_u32 s1, s8, s1
	s_addc_u32 s5, s13, s5
	s_load_dword s4, s[4:5], 0x0
	s_mul_i32 s5, s1, s0
	s_sub_i32 s5, s8, s5
	s_add_i32 s12, s1, 1
	s_sub_i32 s13, s5, s0
	s_cmp_ge_u32 s5, s0
	s_cselect_b32 s1, s12, s1
	s_cselect_b32 s5, s13, s5
	s_add_i32 s12, s1, 1
	s_cmp_ge_u32 s5, s0
	s_mul_i32 s0, s15, s2
	s_waitcnt lgkmcnt(0)
	s_mul_i32 s0, s0, s4
	s_cselect_b32 s5, s12, s1
	s_mul_hi_i32 s1, s0, 56
	s_mul_i32 s0, s0, 56
	s_add_u32 s0, s16, s0
	s_mul_i32 s4, s5, s3
	s_mov_b32 s5, s9
	s_addc_u32 s1, s17, s1
	s_lshl_b64 s[4:5], s[4:5], 2
	v_and_b32_e32 v1, 1, v11
	s_add_u32 s4, s18, s4
	v_and_b32_e32 v8, 7, v11
	v_bfe_u32 v0, v11, 1, 2
	v_cmp_eq_u32_e32 vcc, 1, v1
	s_mov_b32 s18, 0xbf600000
	s_addc_u32 s5, s19, s5
	v_mul_lo_u32 v16, v9, s15
	v_mov_b32_e32 v15, 0
	v_lshlrev_b32_e32 v10, 1, v8
	v_cndmask_b32_e64 v17, 0, 6, vcc
	v_lshlrev_b32_e32 v18, 3, v14
	s_mov_b64 s[12:13], 0
	v_lshlrev_b32_e32 v19, 2, v8
	s_mov_b32 s3, 0x40008
	s_movk_i32 s9, 0xf000
	v_lshlrev_b32_e32 v20, 1, v0
	s_movk_i32 s16, 0x700
	s_mov_b32 s14, 0x3d000000
	v_pk_mov_b32 v[12:13], s[18:19], s[18:19] op_sel:[0,1]
	v_mov_b32_e32 v21, 8
.LBB255_3:                              ; =>This Inner Loop Header: Depth=1
	v_add_u32_e32 v0, v16, v14
	v_mad_i64_i32 v[22:23], s[18:19], v0, 56, s[0:1]
	v_add_co_u32_e32 v0, vcc, v22, v19
	v_addc_co_u32_e32 v1, vcc, 0, v23, vcc
	v_add_co_u32_e32 v2, vcc, v22, v10
	v_addc_co_u32_e32 v3, vcc, 0, v23, vcc
	global_load_dword v26, v[0:1], off
	global_load_ushort v27, v[2:3], off offset:32
	v_mad_i64_i32 v[0:1], s[18:19], v18, 36, s[4:5]
	v_mad_u64_u32 v[24:25], s[20:21], v8, 36, v[0:1]
	global_load_dword v32, v[24:25], off offset:32
	global_load_dwordx4 v[4:7], v[24:25], off
	global_load_dwordx4 v[0:3], v[24:25], off offset:16
	s_getpc_b64 s[18:19]
	s_add_u32 s18, s18, _ZL13iq1s_grid_gpu@rel32@lo+4
	s_addc_u32 s19, s19, _ZL13iq1s_grid_gpu@rel32@hi+12
	v_add_co_u32_e32 v24, vcc, v22, v20
	v_addc_co_u32_e32 v25, vcc, 0, v23, vcc
	global_load_dwordx2 v[22:23], v[22:23], off offset:48
	v_mov_b32_e32 v39, 0
	v_mov_b32_e32 v40, 0
	v_add_u32_e32 v14, 8, v14
	v_cmp_le_u32_e32 vcc, s15, v14
	v_add_u32_e32 v18, 64, v18
	s_or_b64 s[12:13], vcc, s[12:13]
	s_waitcnt vmcnt(5)
	v_and_b32_e32 v28, 0xff, v26
	s_waitcnt vmcnt(4)
	v_lshlrev_b32_e32 v31, 8, v27
	v_lshrrev_b16_e32 v34, 4, v27
	v_and_or_b32 v28, v31, s16, v28
	v_and_b32_e32 v31, 15, v34
	v_bfe_u32 v29, v26, 8, 8
	v_lshrrev_b16_e32 v33, 12, v27
	v_lshlrev_b32_e32 v31, 8, v31
	v_bfe_u32 v30, v26, 16, 8
	v_lshlrev_b32_sdwa v35, v21, v27 dst_sel:DWORD dst_unused:UNUSED_PAD src0_sel:DWORD src1_sel:BYTE_1
	v_alignbit_b32 v26, v33, v26, 24
	v_lshlrev_b32_e32 v28, 3, v28
	v_and_or_b32 v29, v31, s16, v29
	v_and_or_b32 v30, v35, s16, v30
	v_and_b32_e32 v26, 0x7ff, v26
	global_load_dword v35, v28, s[18:19]
	v_lshlrev_b32_e32 v28, 3, v29
	v_lshlrev_b32_e32 v30, 3, v30
	;; [unrolled: 1-line block ×3, first 2 shown]
	global_load_dword v36, v28, s[18:19]
	global_load_dword v37, v30, s[18:19]
	;; [unrolled: 1-line block ×3, first 2 shown]
	global_load_ushort v29, v[24:25], off offset:48
	v_mov_b32_e32 v24, 0
	v_mov_b32_e32 v25, 0
	s_waitcnt vmcnt(7)
	v_dot4c_i32_i8_e32 v24, 0x1010101, v5
	s_waitcnt vmcnt(6)
	v_dot4c_i32_i8_e32 v25, 0x1010101, v1
	v_dot4c_i32_i8_e32 v24, 0x1010101, v6
	;; [unrolled: 1-line block ×3, first 2 shown]
	s_waitcnt vmcnt(5)
	v_alignbit_b32 v30, v23, v22, 16
	v_lshrrev_b16_e32 v31, 12, v22
	v_cvt_f32_i32_e32 v24, v24
	v_cvt_f32_i32_e32 v25, v25
	v_and_b32_sdwa v41, v23, s9 dst_sel:DWORD dst_unused:UNUSED_PAD src0_sel:WORD_1 src1_sel:DWORD
	v_and_b32_sdwa v23, v27, v21 dst_sel:DWORD dst_unused:UNUSED_PAD src0_sel:BYTE_1 src1_sel:DWORD
	v_and_b32_e32 v27, 8, v27
	v_cvt_f32_ubyte0_e32 v23, v23
	v_mov_b32_e32 v28, 0
	v_dot4c_i32_i8_e32 v28, 0x1010101, v3
	v_dot4c_i32_i8_e32 v28, 0x1010101, v32
	v_and_b32_e32 v34, 8, v34
	v_and_b32_e32 v33, 8, v33
	v_mov_b32_e32 v26, 0
	v_dot4c_i32_i8_e32 v26, 0x1010101, v7
	v_dot4c_i32_i8_e32 v26, 0x1010101, v0
	v_cvt_f32_f16_e32 v4, v4
	s_waitcnt vmcnt(0)
	v_lshrrev_b32_e32 v22, v17, v29
	v_pk_lshrrev_b16 v29, s3, v30
	v_lshlrev_b32_e32 v30, 1, v22
	v_lshrrev_b32_e32 v42, 2, v22
	v_cvt_f32_ubyte0_e32 v22, v27
	v_pk_fma_f32 v[22:23], v[22:23], s[14:15], v[12:13] op_sel_hi:[1,0,0] neg_lo:[1,0,0] neg_hi:[1,0,0]
	v_pk_fma_f32 v[22:23], v[22:23], v[24:25], 0 op_sel_hi:[1,1,0]
	v_and_b32_e32 v24, 0xf0f0f0f, v35
	v_lshrrev_b32_e32 v25, 4, v35
	v_and_b32_e32 v25, 0xf0f0f0f, v25
	v_dot4c_i32_i8_e32 v39, v24, v5
	v_and_b32_e32 v43, 0xf0000f0, v29
	v_dot4c_i32_i8_e32 v39, v25, v6
	v_and_b32_e32 v5, 0xf0f0f0f, v36
	v_and_b32_e32 v24, 0xf0f0f0f, v37
	v_lshrrev_b32_e32 v25, 4, v37
	v_cvt_f32_i32_e32 v27, v28
	v_cvt_f32_ubyte0_e32 v29, v33
	v_cvt_f32_ubyte0_e32 v28, v34
	v_and_or_b32 v33, v42, 14, 1
	v_or_b32_e32 v34, v43, v31
	v_dot4c_i32_i8_e32 v39, v5, v7
	v_and_b32_e32 v5, 0xf0f0f0f, v25
	v_dot4c_i32_i8_e32 v40, v24, v1
	v_cvt_f32_ubyte0_e32 v31, v33
	v_or_b32_sdwa v33, v34, v43 dst_sel:DWORD dst_unused:UNUSED_PAD src0_sel:DWORD src1_sel:WORD_1
	v_lshrrev_b32_e32 v6, 4, v36
	v_and_b32_e32 v34, 0xf0f0f0f, v38
	v_lshrrev_b32_e32 v35, 4, v38
	v_dot4c_i32_i8_e32 v40, v5, v2
	v_and_b32_e32 v6, 0xf0f0f0f, v6
	v_and_b32_e32 v1, 0xf0f0f0f, v35
	v_dot4c_i32_i8_e32 v40, v34, v3
	v_cvt_f32_i32_e32 v26, v26
	v_dot4c_i32_i8_e32 v39, v6, v0
	v_dot4c_i32_i8_e32 v40, v1, v32
	v_or_b32_e32 v33, v33, v41
	v_pk_fma_f32 v[28:29], v[28:29], s[14:15], v[12:13] op_sel_hi:[1,0,0] neg_lo:[1,0,0] neg_hi:[1,0,0]
	v_cvt_f32_i32_e32 v0, v39
	v_cvt_f32_i32_e32 v1, v40
	v_cvt_f32_f16_e32 v5, v33
	v_and_or_b32 v30, v30, 14, 1
	v_pk_fma_f32 v[2:3], v[28:29], v[26:27], v[22:23]
	v_cvt_f32_ubyte0_e32 v30, v30
	v_pk_add_f32 v[0:1], v[2:3], v[0:1]
	v_pk_mul_f32 v[0:1], v[0:1], v[30:31]
	v_mul_f32_e32 v4, v5, v4
	v_add_f32_e32 v0, v0, v1
	v_fmac_f32_e32 v15, v4, v0
	s_andn2_b64 exec, exec, s[12:13]
	s_cbranch_execnz .LBB255_3
; %bb.4:
	s_or_b64 exec, exec, s[12:13]
.LBB255_5:
	s_or_b64 exec, exec, s[10:11]
	v_mbcnt_lo_u32_b32 v0, -1, 0
	v_mbcnt_hi_u32_b32 v1, -1, v0
	v_and_b32_e32 v0, 64, v1
	v_add_u32_e32 v2, 64, v0
	v_xor_b32_e32 v0, 32, v1
	v_cmp_lt_i32_e32 vcc, v0, v2
	v_cndmask_b32_e32 v0, v1, v0, vcc
	v_lshlrev_b32_e32 v0, 2, v0
	ds_bpermute_b32 v0, v0, v15
	v_xor_b32_e32 v3, 16, v1
	v_cmp_lt_i32_e32 vcc, v3, v2
	v_cndmask_b32_e32 v3, v1, v3, vcc
	v_lshlrev_b32_e32 v3, 2, v3
	s_waitcnt lgkmcnt(0)
	v_add_f32_e32 v0, v15, v0
	ds_bpermute_b32 v3, v3, v0
	v_xor_b32_e32 v4, 8, v1
	v_cmp_lt_i32_e32 vcc, v4, v2
	s_waitcnt lgkmcnt(0)
	v_add_f32_e32 v0, v0, v3
	v_cndmask_b32_e32 v3, v1, v4, vcc
	v_lshlrev_b32_e32 v3, 2, v3
	ds_bpermute_b32 v3, v3, v0
	v_xor_b32_e32 v4, 4, v1
	v_cmp_lt_i32_e32 vcc, v4, v2
	s_waitcnt lgkmcnt(0)
	v_add_f32_e32 v0, v0, v3
	v_cndmask_b32_e32 v3, v1, v4, vcc
	v_lshlrev_b32_e32 v3, 2, v3
	;; [unrolled: 7-line block ×3, first 2 shown]
	ds_bpermute_b32 v3, v3, v0
	v_xor_b32_e32 v4, 1, v1
	v_cmp_lt_i32_e32 vcc, v4, v2
	v_cndmask_b32_e32 v1, v1, v4, vcc
	v_lshlrev_b32_e32 v1, 2, v1
	s_waitcnt lgkmcnt(0)
	v_add_f32_e32 v0, v0, v3
	ds_bpermute_b32 v1, v1, v0
	v_cmp_eq_u32_e32 vcc, 0, v11
	s_and_b64 exec, exec, vcc
	s_cbranch_execz .LBB255_7
; %bb.6:
	s_mul_i32 s0, s8, s2
	s_waitcnt lgkmcnt(0)
	v_add_f32_e32 v2, v0, v1
	v_add_u32_e32 v0, s0, v9
	v_mov_b32_e32 v1, 0
	v_lshlrev_b64 v[0:1], 2, v[0:1]
	v_mov_b32_e32 v3, s7
	v_add_co_u32_e32 v0, vcc, s6, v0
	v_addc_co_u32_e32 v1, vcc, v3, v1, vcc
	global_store_dword v[0:1], v2, off
.LBB255_7:
	s_endpgm
	.section	.rodata,"a",@progbits
	.p2align	6, 0x0
	.amdhsa_kernel _ZL9moe_vec_qIfLi256ELi8E11block_iq1_mLi1EXadL_ZL18vec_dot_iq1_m_q8_1PKvPK10block_q8_1RKiEEEvS2_S2_PT_PS6_iiii
		.amdhsa_group_segment_fixed_size 0
		.amdhsa_private_segment_fixed_size 0
		.amdhsa_kernarg_size 304
		.amdhsa_user_sgpr_count 6
		.amdhsa_user_sgpr_private_segment_buffer 1
		.amdhsa_user_sgpr_dispatch_ptr 0
		.amdhsa_user_sgpr_queue_ptr 0
		.amdhsa_user_sgpr_kernarg_segment_ptr 1
		.amdhsa_user_sgpr_dispatch_id 0
		.amdhsa_user_sgpr_flat_scratch_init 0
		.amdhsa_user_sgpr_kernarg_preload_length 0
		.amdhsa_user_sgpr_kernarg_preload_offset 0
		.amdhsa_user_sgpr_private_segment_size 0
		.amdhsa_uses_dynamic_stack 0
		.amdhsa_system_sgpr_private_segment_wavefront_offset 0
		.amdhsa_system_sgpr_workgroup_id_x 1
		.amdhsa_system_sgpr_workgroup_id_y 0
		.amdhsa_system_sgpr_workgroup_id_z 1
		.amdhsa_system_sgpr_workgroup_info 0
		.amdhsa_system_vgpr_workitem_id 1
		.amdhsa_next_free_vgpr 44
		.amdhsa_next_free_sgpr 22
		.amdhsa_accum_offset 44
		.amdhsa_reserve_vcc 1
		.amdhsa_reserve_flat_scratch 0
		.amdhsa_float_round_mode_32 0
		.amdhsa_float_round_mode_16_64 0
		.amdhsa_float_denorm_mode_32 3
		.amdhsa_float_denorm_mode_16_64 3
		.amdhsa_dx10_clamp 1
		.amdhsa_ieee_mode 1
		.amdhsa_fp16_overflow 0
		.amdhsa_tg_split 0
		.amdhsa_exception_fp_ieee_invalid_op 0
		.amdhsa_exception_fp_denorm_src 0
		.amdhsa_exception_fp_ieee_div_zero 0
		.amdhsa_exception_fp_ieee_overflow 0
		.amdhsa_exception_fp_ieee_underflow 0
		.amdhsa_exception_fp_ieee_inexact 0
		.amdhsa_exception_int_div_zero 0
	.end_amdhsa_kernel
	.section	.text._ZL9moe_vec_qIfLi256ELi8E11block_iq1_mLi1EXadL_ZL18vec_dot_iq1_m_q8_1PKvPK10block_q8_1RKiEEEvS2_S2_PT_PS6_iiii,"axG",@progbits,_ZL9moe_vec_qIfLi256ELi8E11block_iq1_mLi1EXadL_ZL18vec_dot_iq1_m_q8_1PKvPK10block_q8_1RKiEEEvS2_S2_PT_PS6_iiii,comdat
.Lfunc_end255:
	.size	_ZL9moe_vec_qIfLi256ELi8E11block_iq1_mLi1EXadL_ZL18vec_dot_iq1_m_q8_1PKvPK10block_q8_1RKiEEEvS2_S2_PT_PS6_iiii, .Lfunc_end255-_ZL9moe_vec_qIfLi256ELi8E11block_iq1_mLi1EXadL_ZL18vec_dot_iq1_m_q8_1PKvPK10block_q8_1RKiEEEvS2_S2_PT_PS6_iiii
                                        ; -- End function
	.section	.AMDGPU.csdata,"",@progbits
; Kernel info:
; codeLenInByte = 1400
; NumSgprs: 26
; NumVgprs: 44
; NumAgprs: 0
; TotalNumVgprs: 44
; ScratchSize: 0
; MemoryBound: 0
; FloatMode: 240
; IeeeMode: 1
; LDSByteSize: 0 bytes/workgroup (compile time only)
; SGPRBlocks: 3
; VGPRBlocks: 5
; NumSGPRsForWavesPerEU: 26
; NumVGPRsForWavesPerEU: 44
; AccumOffset: 44
; Occupancy: 8
; WaveLimiterHint : 1
; COMPUTE_PGM_RSRC2:SCRATCH_EN: 0
; COMPUTE_PGM_RSRC2:USER_SGPR: 6
; COMPUTE_PGM_RSRC2:TRAP_HANDLER: 0
; COMPUTE_PGM_RSRC2:TGID_X_EN: 1
; COMPUTE_PGM_RSRC2:TGID_Y_EN: 0
; COMPUTE_PGM_RSRC2:TGID_Z_EN: 1
; COMPUTE_PGM_RSRC2:TIDIG_COMP_CNT: 1
; COMPUTE_PGM_RSRC3_GFX90A:ACCUM_OFFSET: 10
; COMPUTE_PGM_RSRC3_GFX90A:TG_SPLIT: 0
	.section	.text._ZL9moe_vec_qIN3c104HalfELi32ELi4E10block_q4_0Li2EXadL_ZL17vec_dot_q4_0_q8_1PKvPK10block_q8_1RKiEEEvS4_S4_PT_PS8_iiii,"axG",@progbits,_ZL9moe_vec_qIN3c104HalfELi32ELi4E10block_q4_0Li2EXadL_ZL17vec_dot_q4_0_q8_1PKvPK10block_q8_1RKiEEEvS4_S4_PT_PS8_iiii,comdat
	.globl	_ZL9moe_vec_qIN3c104HalfELi32ELi4E10block_q4_0Li2EXadL_ZL17vec_dot_q4_0_q8_1PKvPK10block_q8_1RKiEEEvS4_S4_PT_PS8_iiii ; -- Begin function _ZL9moe_vec_qIN3c104HalfELi32ELi4E10block_q4_0Li2EXadL_ZL17vec_dot_q4_0_q8_1PKvPK10block_q8_1RKiEEEvS4_S4_PT_PS8_iiii
	.p2align	8
	.type	_ZL9moe_vec_qIN3c104HalfELi32ELi4E10block_q4_0Li2EXadL_ZL17vec_dot_q4_0_q8_1PKvPK10block_q8_1RKiEEEvS4_S4_PT_PS8_iiii,@function
_ZL9moe_vec_qIN3c104HalfELi32ELi4E10block_q4_0Li2EXadL_ZL17vec_dot_q4_0_q8_1PKvPK10block_q8_1RKiEEEvS4_S4_PT_PS8_iiii: ; @_ZL9moe_vec_qIN3c104HalfELi32ELi4E10block_q4_0Li2EXadL_ZL17vec_dot_q4_0_q8_1PKvPK10block_q8_1RKiEEEvS4_S4_PT_PS8_iiii
; %bb.0:
	s_mov_b32 s8, s7
	s_load_dword s7, s[4:5], 0x3c
	s_load_dwordx4 s[0:3], s[4:5], 0x20
	v_bfe_u32 v1, v0, 10, 10
	s_waitcnt lgkmcnt(0)
	s_lshr_b32 s7, s7, 16
	s_mul_i32 s6, s6, s7
	v_add_u32_e32 v1, s6, v1
	v_cmp_gt_u32_e32 vcc, s2, v1
	s_and_saveexec_b64 s[6:7], vcc
	s_cbranch_execz .LBB256_7
; %bb.1:
	v_cvt_f32_u32_e32 v2, s0
	v_and_b32_e32 v4, 0x3ff, v0
	s_load_dwordx2 s[6:7], s[4:5], 0x10
	s_ashr_i32 s9, s1, 31
	v_rcp_iflag_f32_e32 v2, v2
	s_lshr_b32 s9, s9, 27
	s_add_i32 s1, s1, s9
	v_lshrrev_b32_e32 v5, 1, v4
	v_mul_f32_e32 v0, 0x4f7ffffe, v2
	v_cvt_u32_f32_e32 v0, v0
	s_ashr_i32 s14, s1, 5
	v_cmp_gt_u32_e32 vcc, s14, v5
	v_mov_b32_e32 v6, 0
	v_readfirstlane_b32 s1, v0
	s_and_saveexec_b64 s[10:11], vcc
	s_cbranch_execz .LBB256_5
; %bb.2:
	s_sub_i32 s12, 0, s0
	s_mul_i32 s15, s12, s1
	s_load_dwordx4 s[16:19], s[4:5], 0x0
	s_load_dwordx2 s[12:13], s[4:5], 0x18
	s_mov_b32 s9, 0
	s_mul_hi_u32 s4, s1, s15
	s_add_i32 s1, s1, s4
	s_lshl_b64 s[4:5], s[8:9], 2
	s_waitcnt lgkmcnt(0)
	s_add_u32 s4, s12, s4
	s_mul_hi_u32 s1, s8, s1
	s_addc_u32 s5, s13, s5
	s_load_dword s4, s[4:5], 0x0
	s_mul_i32 s5, s1, s0
	s_sub_i32 s5, s8, s5
	s_add_i32 s12, s1, 1
	s_sub_i32 s13, s5, s0
	s_cmp_ge_u32 s5, s0
	s_cselect_b32 s1, s12, s1
	s_cselect_b32 s5, s13, s5
	s_add_i32 s12, s1, 1
	s_cmp_ge_u32 s5, s0
	s_mul_i32 s0, s14, s2
	s_waitcnt lgkmcnt(0)
	s_mul_i32 s0, s0, s4
	s_cselect_b32 s5, s12, s1
	s_mul_hi_i32 s1, s0, 18
	s_mul_i32 s0, s0, 18
	s_add_u32 s0, s16, s0
	s_mul_i32 s4, s5, s3
	s_mov_b32 s5, s9
	s_addc_u32 s1, s17, s1
	s_lshl_b64 s[4:5], s[4:5], 2
	s_add_u32 s4, s18, s4
	v_lshlrev_b32_e32 v0, 3, v4
	s_addc_u32 s5, s19, s5
	v_mul_lo_u32 v7, v1, s14
	v_and_b32_e32 v0, 8, v0
	v_mov_b32_e32 v6, 0
	s_mov_b64 s[12:13], 0
	v_mov_b32_e32 v3, 4.0
.LBB256_3:                              ; =>This Inner Loop Header: Depth=1
	v_mad_i64_i32 v[8:9], s[16:17], v5, 36, s[4:5]
	v_add_u32_e32 v2, v7, v5
	v_add_co_u32_e32 v12, vcc, v8, v0
	v_mad_i64_i32 v[10:11], s[16:17], v2, 18, s[0:1]
	v_addc_co_u32_e32 v13, vcc, 0, v9, vcc
	v_add_co_u32_e32 v14, vcc, v10, v0
	v_addc_co_u32_e32 v15, vcc, 0, v11, vcc
	global_load_dwordx2 v[16:17], v[12:13], off offset:4
	global_load_dwordx2 v[18:19], v[12:13], off offset:20
	global_load_dword v2, v[14:15], off offset:2
	global_load_dword v20, v[14:15], off offset:6
	global_load_dword v21, v[8:9], off
	global_load_ushort v22, v[10:11], off
	v_mov_b32_e32 v10, 0
	v_add_u32_e32 v5, 32, v5
	v_cmp_le_u32_e32 vcc, s14, v5
	s_or_b64 s[12:13], vcc, s[12:13]
	s_waitcnt vmcnt(3)
	v_and_b32_e32 v11, 0xf0f0f0f, v2
	v_lshrrev_b32_e32 v2, 4, v2
	v_and_b32_e32 v2, 0xf0f0f0f, v2
	v_dot4c_i32_i8_e32 v10, v11, v16
	s_waitcnt vmcnt(2)
	v_and_b32_e32 v12, 0xf0f0f0f, v20
	v_lshrrev_b32_e32 v13, 4, v20
	v_dot4c_i32_i8_e32 v10, v2, v18
	v_and_b32_e32 v11, 0xf0f0f0f, v13
	v_dot4c_i32_i8_e32 v10, v12, v17
	v_dot4c_i32_i8_e32 v10, v11, v19
	s_waitcnt vmcnt(1)
	v_cvt_f32_f16_e32 v8, v21
	v_cvt_f32_f16_sdwa v9, v21 dst_sel:DWORD dst_unused:UNUSED_PAD src0_sel:WORD_1
	v_cvt_f32_i32_e32 v2, v10
	v_pk_mul_f32 v[8:9], v[2:3], v[8:9]
	v_sub_f32_e32 v2, v8, v9
	s_waitcnt vmcnt(0)
	v_fma_mix_f32 v6, v2, v22, v6 op_sel_hi:[0,1,0]
	s_andn2_b64 exec, exec, s[12:13]
	s_cbranch_execnz .LBB256_3
; %bb.4:
	s_or_b64 exec, exec, s[12:13]
.LBB256_5:
	s_or_b64 exec, exec, s[10:11]
	v_mbcnt_lo_u32_b32 v0, -1, 0
	v_mbcnt_hi_u32_b32 v2, -1, v0
	v_and_b32_e32 v0, 64, v2
	v_add_u32_e32 v3, 64, v0
	v_xor_b32_e32 v0, 32, v2
	v_cmp_lt_i32_e32 vcc, v0, v3
	v_cndmask_b32_e32 v0, v2, v0, vcc
	v_lshlrev_b32_e32 v0, 2, v0
	ds_bpermute_b32 v0, v0, v6
	v_xor_b32_e32 v5, 16, v2
	v_cmp_lt_i32_e32 vcc, v5, v3
	v_cndmask_b32_e32 v5, v2, v5, vcc
	v_lshlrev_b32_e32 v5, 2, v5
	s_waitcnt lgkmcnt(0)
	v_add_f32_e32 v0, v6, v0
	ds_bpermute_b32 v5, v5, v0
	v_xor_b32_e32 v6, 8, v2
	v_cmp_lt_i32_e32 vcc, v6, v3
	s_waitcnt lgkmcnt(0)
	v_add_f32_e32 v0, v0, v5
	v_cndmask_b32_e32 v5, v2, v6, vcc
	v_lshlrev_b32_e32 v5, 2, v5
	ds_bpermute_b32 v5, v5, v0
	v_xor_b32_e32 v6, 4, v2
	v_cmp_lt_i32_e32 vcc, v6, v3
	s_waitcnt lgkmcnt(0)
	v_add_f32_e32 v0, v0, v5
	v_cndmask_b32_e32 v5, v2, v6, vcc
	v_lshlrev_b32_e32 v5, 2, v5
	;; [unrolled: 7-line block ×3, first 2 shown]
	ds_bpermute_b32 v5, v5, v0
	v_xor_b32_e32 v6, 1, v2
	v_cmp_lt_i32_e32 vcc, v6, v3
	v_cndmask_b32_e32 v2, v2, v6, vcc
	v_lshlrev_b32_e32 v2, 2, v2
	s_waitcnt lgkmcnt(0)
	v_add_f32_e32 v0, v0, v5
	ds_bpermute_b32 v2, v2, v0
	v_cmp_eq_u32_e32 vcc, 0, v4
	s_and_b64 exec, exec, vcc
	s_cbranch_execz .LBB256_7
; %bb.6:
	s_waitcnt lgkmcnt(0)
	v_add_f32_e32 v0, v0, v2
	s_mul_i32 s0, s8, s2
	v_cvt_f16_f32_e32 v2, v0
	v_add_u32_e32 v0, s0, v1
	v_mov_b32_e32 v1, 0
	v_lshlrev_b64 v[0:1], 1, v[0:1]
	v_mov_b32_e32 v3, s7
	v_add_co_u32_e32 v0, vcc, s6, v0
	v_addc_co_u32_e32 v1, vcc, v3, v1, vcc
	global_store_short v[0:1], v2, off
.LBB256_7:
	s_endpgm
	.section	.rodata,"a",@progbits
	.p2align	6, 0x0
	.amdhsa_kernel _ZL9moe_vec_qIN3c104HalfELi32ELi4E10block_q4_0Li2EXadL_ZL17vec_dot_q4_0_q8_1PKvPK10block_q8_1RKiEEEvS4_S4_PT_PS8_iiii
		.amdhsa_group_segment_fixed_size 0
		.amdhsa_private_segment_fixed_size 0
		.amdhsa_kernarg_size 304
		.amdhsa_user_sgpr_count 6
		.amdhsa_user_sgpr_private_segment_buffer 1
		.amdhsa_user_sgpr_dispatch_ptr 0
		.amdhsa_user_sgpr_queue_ptr 0
		.amdhsa_user_sgpr_kernarg_segment_ptr 1
		.amdhsa_user_sgpr_dispatch_id 0
		.amdhsa_user_sgpr_flat_scratch_init 0
		.amdhsa_user_sgpr_kernarg_preload_length 0
		.amdhsa_user_sgpr_kernarg_preload_offset 0
		.amdhsa_user_sgpr_private_segment_size 0
		.amdhsa_uses_dynamic_stack 0
		.amdhsa_system_sgpr_private_segment_wavefront_offset 0
		.amdhsa_system_sgpr_workgroup_id_x 1
		.amdhsa_system_sgpr_workgroup_id_y 0
		.amdhsa_system_sgpr_workgroup_id_z 1
		.amdhsa_system_sgpr_workgroup_info 0
		.amdhsa_system_vgpr_workitem_id 1
		.amdhsa_next_free_vgpr 23
		.amdhsa_next_free_sgpr 20
		.amdhsa_accum_offset 24
		.amdhsa_reserve_vcc 1
		.amdhsa_reserve_flat_scratch 0
		.amdhsa_float_round_mode_32 0
		.amdhsa_float_round_mode_16_64 0
		.amdhsa_float_denorm_mode_32 3
		.amdhsa_float_denorm_mode_16_64 3
		.amdhsa_dx10_clamp 1
		.amdhsa_ieee_mode 1
		.amdhsa_fp16_overflow 0
		.amdhsa_tg_split 0
		.amdhsa_exception_fp_ieee_invalid_op 0
		.amdhsa_exception_fp_denorm_src 0
		.amdhsa_exception_fp_ieee_div_zero 0
		.amdhsa_exception_fp_ieee_overflow 0
		.amdhsa_exception_fp_ieee_underflow 0
		.amdhsa_exception_fp_ieee_inexact 0
		.amdhsa_exception_int_div_zero 0
	.end_amdhsa_kernel
	.section	.text._ZL9moe_vec_qIN3c104HalfELi32ELi4E10block_q4_0Li2EXadL_ZL17vec_dot_q4_0_q8_1PKvPK10block_q8_1RKiEEEvS4_S4_PT_PS8_iiii,"axG",@progbits,_ZL9moe_vec_qIN3c104HalfELi32ELi4E10block_q4_0Li2EXadL_ZL17vec_dot_q4_0_q8_1PKvPK10block_q8_1RKiEEEvS4_S4_PT_PS8_iiii,comdat
.Lfunc_end256:
	.size	_ZL9moe_vec_qIN3c104HalfELi32ELi4E10block_q4_0Li2EXadL_ZL17vec_dot_q4_0_q8_1PKvPK10block_q8_1RKiEEEvS4_S4_PT_PS8_iiii, .Lfunc_end256-_ZL9moe_vec_qIN3c104HalfELi32ELi4E10block_q4_0Li2EXadL_ZL17vec_dot_q4_0_q8_1PKvPK10block_q8_1RKiEEEvS4_S4_PT_PS8_iiii
                                        ; -- End function
	.section	.AMDGPU.csdata,"",@progbits
; Kernel info:
; codeLenInByte = 812
; NumSgprs: 24
; NumVgprs: 23
; NumAgprs: 0
; TotalNumVgprs: 23
; ScratchSize: 0
; MemoryBound: 0
; FloatMode: 240
; IeeeMode: 1
; LDSByteSize: 0 bytes/workgroup (compile time only)
; SGPRBlocks: 2
; VGPRBlocks: 2
; NumSGPRsForWavesPerEU: 24
; NumVGPRsForWavesPerEU: 23
; AccumOffset: 24
; Occupancy: 8
; WaveLimiterHint : 1
; COMPUTE_PGM_RSRC2:SCRATCH_EN: 0
; COMPUTE_PGM_RSRC2:USER_SGPR: 6
; COMPUTE_PGM_RSRC2:TRAP_HANDLER: 0
; COMPUTE_PGM_RSRC2:TGID_X_EN: 1
; COMPUTE_PGM_RSRC2:TGID_Y_EN: 0
; COMPUTE_PGM_RSRC2:TGID_Z_EN: 1
; COMPUTE_PGM_RSRC2:TIDIG_COMP_CNT: 1
; COMPUTE_PGM_RSRC3_GFX90A:ACCUM_OFFSET: 5
; COMPUTE_PGM_RSRC3_GFX90A:TG_SPLIT: 0
	.section	.text._ZL9moe_vec_qIN3c104HalfELi32ELi4E10block_q4_1Li2EXadL_ZL17vec_dot_q4_1_q8_1PKvPK10block_q8_1RKiEEEvS4_S4_PT_PS8_iiii,"axG",@progbits,_ZL9moe_vec_qIN3c104HalfELi32ELi4E10block_q4_1Li2EXadL_ZL17vec_dot_q4_1_q8_1PKvPK10block_q8_1RKiEEEvS4_S4_PT_PS8_iiii,comdat
	.globl	_ZL9moe_vec_qIN3c104HalfELi32ELi4E10block_q4_1Li2EXadL_ZL17vec_dot_q4_1_q8_1PKvPK10block_q8_1RKiEEEvS4_S4_PT_PS8_iiii ; -- Begin function _ZL9moe_vec_qIN3c104HalfELi32ELi4E10block_q4_1Li2EXadL_ZL17vec_dot_q4_1_q8_1PKvPK10block_q8_1RKiEEEvS4_S4_PT_PS8_iiii
	.p2align	8
	.type	_ZL9moe_vec_qIN3c104HalfELi32ELi4E10block_q4_1Li2EXadL_ZL17vec_dot_q4_1_q8_1PKvPK10block_q8_1RKiEEEvS4_S4_PT_PS8_iiii,@function
_ZL9moe_vec_qIN3c104HalfELi32ELi4E10block_q4_1Li2EXadL_ZL17vec_dot_q4_1_q8_1PKvPK10block_q8_1RKiEEEvS4_S4_PT_PS8_iiii: ; @_ZL9moe_vec_qIN3c104HalfELi32ELi4E10block_q4_1Li2EXadL_ZL17vec_dot_q4_1_q8_1PKvPK10block_q8_1RKiEEEvS4_S4_PT_PS8_iiii
; %bb.0:
	s_mov_b32 s8, s7
	s_load_dword s7, s[4:5], 0x3c
	s_load_dwordx4 s[0:3], s[4:5], 0x20
	v_bfe_u32 v1, v0, 10, 10
	s_waitcnt lgkmcnt(0)
	s_lshr_b32 s7, s7, 16
	s_mul_i32 s6, s6, s7
	v_add_u32_e32 v1, s6, v1
	v_cmp_gt_u32_e32 vcc, s2, v1
	s_and_saveexec_b64 s[6:7], vcc
	s_cbranch_execz .LBB257_7
; %bb.1:
	v_cvt_f32_u32_e32 v2, s0
	s_load_dwordx2 s[6:7], s[4:5], 0x10
	s_ashr_i32 s9, s1, 31
	s_lshr_b32 s9, s9, 27
	v_rcp_iflag_f32_e32 v4, v2
	v_and_b32_e32 v2, 0x3ff, v0
	s_add_i32 s1, s1, s9
	v_lshrrev_b32_e32 v3, 1, v2
	v_mul_f32_e32 v0, 0x4f7ffffe, v4
	v_cvt_u32_f32_e32 v0, v0
	s_ashr_i32 s14, s1, 5
	v_cmp_gt_u32_e32 vcc, s14, v3
	v_mov_b32_e32 v4, 0
	v_readfirstlane_b32 s1, v0
	s_and_saveexec_b64 s[10:11], vcc
	s_cbranch_execz .LBB257_5
; %bb.2:
	s_sub_i32 s12, 0, s0
	s_mul_i32 s15, s12, s1
	s_load_dwordx4 s[16:19], s[4:5], 0x0
	s_load_dwordx2 s[12:13], s[4:5], 0x18
	s_mov_b32 s9, 0
	s_mul_hi_u32 s4, s1, s15
	s_add_i32 s1, s1, s4
	s_lshl_b64 s[4:5], s[8:9], 2
	s_waitcnt lgkmcnt(0)
	s_add_u32 s4, s12, s4
	s_mul_hi_u32 s1, s8, s1
	s_addc_u32 s5, s13, s5
	s_load_dword s4, s[4:5], 0x0
	s_mul_i32 s5, s1, s0
	s_sub_i32 s5, s8, s5
	s_add_i32 s12, s1, 1
	s_sub_i32 s13, s5, s0
	s_cmp_ge_u32 s5, s0
	s_cselect_b32 s1, s12, s1
	s_cselect_b32 s5, s13, s5
	s_add_i32 s12, s1, 1
	s_cmp_ge_u32 s5, s0
	s_mul_i32 s0, s14, s2
	s_waitcnt lgkmcnt(0)
	s_mul_i32 s0, s0, s4
	s_cselect_b32 s5, s12, s1
	s_mul_hi_i32 s1, s0, 20
	s_mul_i32 s0, s0, 20
	s_add_u32 s0, s16, s0
	s_mul_i32 s4, s5, s3
	s_mov_b32 s5, s9
	s_addc_u32 s1, s17, s1
	s_lshl_b64 s[4:5], s[4:5], 2
	s_add_u32 s4, s18, s4
	v_lshlrev_b32_e32 v0, 3, v2
	s_addc_u32 s5, s19, s5
	v_mul_lo_u32 v5, v1, s14
	v_and_b32_e32 v0, 8, v0
	v_mov_b32_e32 v4, 0
	s_mov_b64 s[12:13], 0
	s_mov_b32 s3, 0.5
.LBB257_3:                              ; =>This Inner Loop Header: Depth=1
	v_mad_i64_i32 v[6:7], s[16:17], v3, 36, s[4:5]
	v_add_u32_e32 v8, v5, v3
	v_add_co_u32_e32 v10, vcc, v6, v0
	v_mad_i64_i32 v[8:9], s[16:17], v8, 20, s[0:1]
	v_addc_co_u32_e32 v11, vcc, 0, v7, vcc
	global_load_dword v18, v[6:7], off
	v_add_co_u32_e32 v6, vcc, v8, v0
	v_addc_co_u32_e32 v7, vcc, 0, v9, vcc
	global_load_dwordx2 v[12:13], v[10:11], off offset:4
	global_load_dwordx2 v[14:15], v[10:11], off offset:20
	;; [unrolled: 1-line block ×3, first 2 shown]
	global_load_dword v19, v[8:9], off
	v_mov_b32_e32 v6, 0
	v_add_u32_e32 v3, 32, v3
	v_cmp_le_u32_e32 vcc, s14, v3
	s_or_b64 s[12:13], vcc, s[12:13]
	s_waitcnt vmcnt(1)
	v_and_b32_e32 v8, 0xf0f0f0f, v16
	v_lshrrev_b32_e32 v9, 4, v16
	v_and_b32_e32 v9, 0xf0f0f0f, v9
	v_dot4c_i32_i8_e32 v6, v8, v12
	v_and_b32_e32 v10, 0xf0f0f0f, v17
	v_lshrrev_b32_e32 v11, 4, v17
	v_dot4c_i32_i8_e32 v6, v9, v14
	v_and_b32_e32 v8, 0xf0f0f0f, v11
	v_dot4c_i32_i8_e32 v6, v10, v13
	s_waitcnt vmcnt(0)
	v_pk_mul_f16 v7, v19, v18
	v_dot4c_i32_i8_e32 v6, v8, v15
	v_cvt_f32_f16_e32 v16, v7
	s_nop 1
	v_cvt_f32_i32_e32 v6, v6
	v_mul_f32_e32 v6, v6, v16
	v_fma_mix_f32 v6, v7, s3, v6 op_sel:[1,0,0] op_sel_hi:[1,0,0]
	v_add_f32_e32 v4, v4, v6
	s_andn2_b64 exec, exec, s[12:13]
	s_cbranch_execnz .LBB257_3
; %bb.4:
	s_or_b64 exec, exec, s[12:13]
.LBB257_5:
	s_or_b64 exec, exec, s[10:11]
	v_mbcnt_lo_u32_b32 v0, -1, 0
	v_mbcnt_hi_u32_b32 v3, -1, v0
	v_and_b32_e32 v0, 64, v3
	v_add_u32_e32 v5, 64, v0
	v_xor_b32_e32 v0, 32, v3
	v_cmp_lt_i32_e32 vcc, v0, v5
	v_cndmask_b32_e32 v0, v3, v0, vcc
	v_lshlrev_b32_e32 v0, 2, v0
	ds_bpermute_b32 v0, v0, v4
	v_xor_b32_e32 v6, 16, v3
	v_cmp_lt_i32_e32 vcc, v6, v5
	s_waitcnt lgkmcnt(0)
	v_add_f32_e32 v0, v4, v0
	v_cndmask_b32_e32 v4, v3, v6, vcc
	v_lshlrev_b32_e32 v4, 2, v4
	ds_bpermute_b32 v4, v4, v0
	v_xor_b32_e32 v6, 8, v3
	v_cmp_lt_i32_e32 vcc, v6, v5
	s_waitcnt lgkmcnt(0)
	v_add_f32_e32 v0, v0, v4
	;; [unrolled: 7-line block ×4, first 2 shown]
	v_cndmask_b32_e32 v4, v3, v6, vcc
	v_lshlrev_b32_e32 v4, 2, v4
	ds_bpermute_b32 v4, v4, v0
	v_xor_b32_e32 v6, 1, v3
	v_cmp_lt_i32_e32 vcc, v6, v5
	v_cndmask_b32_e32 v3, v3, v6, vcc
	v_lshlrev_b32_e32 v3, 2, v3
	s_waitcnt lgkmcnt(0)
	v_add_f32_e32 v0, v0, v4
	ds_bpermute_b32 v3, v3, v0
	v_cmp_eq_u32_e32 vcc, 0, v2
	s_and_b64 exec, exec, vcc
	s_cbranch_execz .LBB257_7
; %bb.6:
	s_waitcnt lgkmcnt(0)
	v_add_f32_e32 v0, v0, v3
	s_mul_i32 s0, s8, s2
	v_cvt_f16_f32_e32 v2, v0
	v_add_u32_e32 v0, s0, v1
	v_mov_b32_e32 v1, 0
	v_lshlrev_b64 v[0:1], 1, v[0:1]
	v_mov_b32_e32 v3, s7
	v_add_co_u32_e32 v0, vcc, s6, v0
	v_addc_co_u32_e32 v1, vcc, v3, v1, vcc
	global_store_short v[0:1], v2, off
.LBB257_7:
	s_endpgm
	.section	.rodata,"a",@progbits
	.p2align	6, 0x0
	.amdhsa_kernel _ZL9moe_vec_qIN3c104HalfELi32ELi4E10block_q4_1Li2EXadL_ZL17vec_dot_q4_1_q8_1PKvPK10block_q8_1RKiEEEvS4_S4_PT_PS8_iiii
		.amdhsa_group_segment_fixed_size 0
		.amdhsa_private_segment_fixed_size 0
		.amdhsa_kernarg_size 304
		.amdhsa_user_sgpr_count 6
		.amdhsa_user_sgpr_private_segment_buffer 1
		.amdhsa_user_sgpr_dispatch_ptr 0
		.amdhsa_user_sgpr_queue_ptr 0
		.amdhsa_user_sgpr_kernarg_segment_ptr 1
		.amdhsa_user_sgpr_dispatch_id 0
		.amdhsa_user_sgpr_flat_scratch_init 0
		.amdhsa_user_sgpr_kernarg_preload_length 0
		.amdhsa_user_sgpr_kernarg_preload_offset 0
		.amdhsa_user_sgpr_private_segment_size 0
		.amdhsa_uses_dynamic_stack 0
		.amdhsa_system_sgpr_private_segment_wavefront_offset 0
		.amdhsa_system_sgpr_workgroup_id_x 1
		.amdhsa_system_sgpr_workgroup_id_y 0
		.amdhsa_system_sgpr_workgroup_id_z 1
		.amdhsa_system_sgpr_workgroup_info 0
		.amdhsa_system_vgpr_workitem_id 1
		.amdhsa_next_free_vgpr 20
		.amdhsa_next_free_sgpr 20
		.amdhsa_accum_offset 20
		.amdhsa_reserve_vcc 1
		.amdhsa_reserve_flat_scratch 0
		.amdhsa_float_round_mode_32 0
		.amdhsa_float_round_mode_16_64 0
		.amdhsa_float_denorm_mode_32 3
		.amdhsa_float_denorm_mode_16_64 3
		.amdhsa_dx10_clamp 1
		.amdhsa_ieee_mode 1
		.amdhsa_fp16_overflow 0
		.amdhsa_tg_split 0
		.amdhsa_exception_fp_ieee_invalid_op 0
		.amdhsa_exception_fp_denorm_src 0
		.amdhsa_exception_fp_ieee_div_zero 0
		.amdhsa_exception_fp_ieee_overflow 0
		.amdhsa_exception_fp_ieee_underflow 0
		.amdhsa_exception_fp_ieee_inexact 0
		.amdhsa_exception_int_div_zero 0
	.end_amdhsa_kernel
	.section	.text._ZL9moe_vec_qIN3c104HalfELi32ELi4E10block_q4_1Li2EXadL_ZL17vec_dot_q4_1_q8_1PKvPK10block_q8_1RKiEEEvS4_S4_PT_PS8_iiii,"axG",@progbits,_ZL9moe_vec_qIN3c104HalfELi32ELi4E10block_q4_1Li2EXadL_ZL17vec_dot_q4_1_q8_1PKvPK10block_q8_1RKiEEEvS4_S4_PT_PS8_iiii,comdat
.Lfunc_end257:
	.size	_ZL9moe_vec_qIN3c104HalfELi32ELi4E10block_q4_1Li2EXadL_ZL17vec_dot_q4_1_q8_1PKvPK10block_q8_1RKiEEEvS4_S4_PT_PS8_iiii, .Lfunc_end257-_ZL9moe_vec_qIN3c104HalfELi32ELi4E10block_q4_1Li2EXadL_ZL17vec_dot_q4_1_q8_1PKvPK10block_q8_1RKiEEEvS4_S4_PT_PS8_iiii
                                        ; -- End function
	.section	.AMDGPU.csdata,"",@progbits
; Kernel info:
; codeLenInByte = 796
; NumSgprs: 24
; NumVgprs: 20
; NumAgprs: 0
; TotalNumVgprs: 20
; ScratchSize: 0
; MemoryBound: 0
; FloatMode: 240
; IeeeMode: 1
; LDSByteSize: 0 bytes/workgroup (compile time only)
; SGPRBlocks: 2
; VGPRBlocks: 2
; NumSGPRsForWavesPerEU: 24
; NumVGPRsForWavesPerEU: 20
; AccumOffset: 20
; Occupancy: 8
; WaveLimiterHint : 1
; COMPUTE_PGM_RSRC2:SCRATCH_EN: 0
; COMPUTE_PGM_RSRC2:USER_SGPR: 6
; COMPUTE_PGM_RSRC2:TRAP_HANDLER: 0
; COMPUTE_PGM_RSRC2:TGID_X_EN: 1
; COMPUTE_PGM_RSRC2:TGID_Y_EN: 0
; COMPUTE_PGM_RSRC2:TGID_Z_EN: 1
; COMPUTE_PGM_RSRC2:TIDIG_COMP_CNT: 1
; COMPUTE_PGM_RSRC3_GFX90A:ACCUM_OFFSET: 4
; COMPUTE_PGM_RSRC3_GFX90A:TG_SPLIT: 0
	.section	.text._ZL9moe_vec_qIN3c104HalfELi32ELi4E10block_q5_0Li2EXadL_ZL17vec_dot_q5_0_q8_1PKvPK10block_q8_1RKiEEEvS4_S4_PT_PS8_iiii,"axG",@progbits,_ZL9moe_vec_qIN3c104HalfELi32ELi4E10block_q5_0Li2EXadL_ZL17vec_dot_q5_0_q8_1PKvPK10block_q8_1RKiEEEvS4_S4_PT_PS8_iiii,comdat
	.globl	_ZL9moe_vec_qIN3c104HalfELi32ELi4E10block_q5_0Li2EXadL_ZL17vec_dot_q5_0_q8_1PKvPK10block_q8_1RKiEEEvS4_S4_PT_PS8_iiii ; -- Begin function _ZL9moe_vec_qIN3c104HalfELi32ELi4E10block_q5_0Li2EXadL_ZL17vec_dot_q5_0_q8_1PKvPK10block_q8_1RKiEEEvS4_S4_PT_PS8_iiii
	.p2align	8
	.type	_ZL9moe_vec_qIN3c104HalfELi32ELi4E10block_q5_0Li2EXadL_ZL17vec_dot_q5_0_q8_1PKvPK10block_q8_1RKiEEEvS4_S4_PT_PS8_iiii,@function
_ZL9moe_vec_qIN3c104HalfELi32ELi4E10block_q5_0Li2EXadL_ZL17vec_dot_q5_0_q8_1PKvPK10block_q8_1RKiEEEvS4_S4_PT_PS8_iiii: ; @_ZL9moe_vec_qIN3c104HalfELi32ELi4E10block_q5_0Li2EXadL_ZL17vec_dot_q5_0_q8_1PKvPK10block_q8_1RKiEEEvS4_S4_PT_PS8_iiii
; %bb.0:
	s_mov_b32 s8, s7
	s_load_dword s7, s[4:5], 0x3c
	s_load_dwordx4 s[0:3], s[4:5], 0x20
	v_bfe_u32 v1, v0, 10, 10
	s_waitcnt lgkmcnt(0)
	s_lshr_b32 s7, s7, 16
	s_mul_i32 s6, s6, s7
	v_add_u32_e32 v1, s6, v1
	v_cmp_gt_u32_e32 vcc, s2, v1
	s_and_saveexec_b64 s[6:7], vcc
	s_cbranch_execz .LBB258_7
; %bb.1:
	v_cvt_f32_u32_e32 v2, s0
	v_and_b32_e32 v4, 0x3ff, v0
	s_load_dwordx2 s[6:7], s[4:5], 0x10
	s_ashr_i32 s9, s1, 31
	v_rcp_iflag_f32_e32 v2, v2
	s_lshr_b32 s9, s9, 27
	s_add_i32 s1, s1, s9
	v_lshrrev_b32_e32 v5, 1, v4
	v_mul_f32_e32 v0, 0x4f7ffffe, v2
	v_cvt_u32_f32_e32 v0, v0
	s_ashr_i32 s14, s1, 5
	v_cmp_gt_u32_e32 vcc, s14, v5
	v_mov_b32_e32 v6, 0
	v_readfirstlane_b32 s1, v0
	s_and_saveexec_b64 s[10:11], vcc
	s_cbranch_execz .LBB258_5
; %bb.2:
	s_sub_i32 s12, 0, s0
	s_mul_i32 s15, s12, s1
	s_load_dwordx4 s[16:19], s[4:5], 0x0
	s_load_dwordx2 s[12:13], s[4:5], 0x18
	s_mov_b32 s9, 0
	s_mul_hi_u32 s4, s1, s15
	s_add_i32 s1, s1, s4
	s_lshl_b64 s[4:5], s[8:9], 2
	s_waitcnt lgkmcnt(0)
	s_add_u32 s4, s12, s4
	s_mul_hi_u32 s1, s8, s1
	s_addc_u32 s5, s13, s5
	s_load_dword s4, s[4:5], 0x0
	s_mul_i32 s5, s1, s0
	s_sub_i32 s5, s8, s5
	s_add_i32 s12, s1, 1
	s_sub_i32 s13, s5, s0
	s_cmp_ge_u32 s5, s0
	s_cselect_b32 s1, s12, s1
	s_cselect_b32 s5, s13, s5
	s_add_i32 s12, s1, 1
	s_cmp_ge_u32 s5, s0
	s_mul_i32 s0, s14, s2
	s_waitcnt lgkmcnt(0)
	s_mul_i32 s0, s0, s4
	s_cselect_b32 s5, s12, s1
	s_mul_hi_i32 s1, s0, 22
	s_mul_i32 s0, s0, 22
	s_add_u32 s0, s16, s0
	s_mul_i32 s4, s5, s3
	s_mov_b32 s5, s9
	s_addc_u32 s1, s17, s1
	s_lshl_b64 s[4:5], s[4:5], 2
	v_lshlrev_b32_e32 v0, 3, v4
	s_add_u32 s4, s18, s4
	v_and_b32_e32 v0, 8, v0
	s_addc_u32 s5, s19, s5
	v_mul_lo_u32 v7, v1, s14
	v_mov_b32_e32 v6, 0
	v_or_b32_e32 v8, 4, v0
	s_mov_b64 s[12:13], 0
	s_mov_b32 s3, 0x1000706
	v_mov_b32_e32 v3, 0x41000000
.LBB258_3:                              ; =>This Inner Loop Header: Depth=1
	v_add_u32_e32 v2, v7, v5
	v_mad_i64_i32 v[10:11], s[16:17], v5, 36, s[4:5]
	v_mad_i64_i32 v[12:13], s[16:17], v2, 22, s[0:1]
	v_add_co_u32_e32 v14, vcc, v10, v0
	v_addc_co_u32_e32 v15, vcc, 0, v11, vcc
	global_load_dword v9, v[12:13], off
	global_load_ushort v2, v[12:13], off offset:4
	v_add_co_u32_e32 v12, vcc, v12, v0
	v_addc_co_u32_e32 v13, vcc, 0, v13, vcc
	global_load_dwordx2 v[16:17], v[14:15], off offset:4
	global_load_dwordx2 v[18:19], v[14:15], off offset:20
	global_load_dword v20, v[12:13], off offset:6
	global_load_dword v21, v[12:13], off offset:10
	global_load_dword v22, v[10:11], off
	v_mov_b32_e32 v12, 0
	v_add_u32_e32 v5, 32, v5
	v_cmp_le_u32_e32 vcc, s14, v5
	s_or_b64 s[12:13], vcc, s[12:13]
	s_waitcnt vmcnt(5)
	v_perm_b32 v2, v9, v2, s3
	v_ashrrev_i32_e32 v13, v0, v2
	v_lshlrev_b32_e32 v23, 11, v13
	v_ashrrev_i32_e32 v2, v8, v2
	s_waitcnt vmcnt(2)
	v_and_b32_e32 v14, 0xf0f0f0f, v20
	s_waitcnt vmcnt(0)
	v_cvt_f32_f16_e32 v10, v22
	v_cvt_f32_f16_sdwa v11, v22 dst_sel:DWORD dst_unused:UNUSED_PAD src0_sel:WORD_1
	v_lshlrev_b32_e32 v22, 4, v13
	v_lshlrev_b32_e32 v24, 18, v13
	;; [unrolled: 1-line block ×3, first 2 shown]
	v_lshrrev_b32_e32 v26, 12, v13
	v_lshrrev_b32_e32 v27, 5, v13
	v_lshlrev_b32_e32 v28, 2, v13
	v_and_b32_e32 v22, 16, v22
	v_and_b32_e32 v23, 0x1000, v23
	v_lshrrev_b32_e32 v15, 4, v20
	v_lshlrev_b32_e32 v13, 9, v13
	v_lshlrev_b32_e32 v29, 4, v2
	;; [unrolled: 1-line block ×4, first 2 shown]
	v_and_b32_e32 v24, 0x100000, v24
	v_and_b32_e32 v25, 0x10000000, v25
	;; [unrolled: 1-line block ×5, first 2 shown]
	v_or3_b32 v14, v22, v14, v23
	v_and_b32_e32 v15, 0xf0f0f0f, v15
	v_lshlrev_b32_e32 v32, 25, v2
	v_lshrrev_b32_e32 v33, 12, v2
	v_lshrrev_b32_e32 v34, 5, v2
	v_lshlrev_b32_e32 v35, 2, v2
	v_and_b32_e32 v13, 0x10000000, v13
	v_and_b32_e32 v29, 16, v29
	;; [unrolled: 1-line block ×4, first 2 shown]
	v_or3_b32 v22, v27, v26, v28
	v_or3_b32 v14, v14, v24, v25
	v_and_b32_e32 v20, 0xf0f0f0f, v21
	v_lshrrev_b32_e32 v21, 4, v21
	v_lshlrev_b32_e32 v2, 9, v2
	v_and_b32_e32 v32, 0x10000000, v32
	v_and_b32_e32 v33, 16, v33
	;; [unrolled: 1-line block ×4, first 2 shown]
	v_or3_b32 v23, v30, v29, v31
	v_or3_b32 v13, v22, v13, v15
	v_dot4c_i32_i8_e32 v12, v14, v16
	v_and_b32_e32 v21, 0xf0f0f0f, v21
	v_and_b32_e32 v2, 0x10000000, v2
	v_or3_b32 v26, v34, v33, v35
	v_or3_b32 v15, v23, v32, v20
	v_dot4c_i32_i8_e32 v12, v13, v18
	v_or3_b32 v2, v26, v2, v21
	v_dot4c_i32_i8_e32 v12, v15, v17
	v_dot4c_i32_i8_e32 v12, v2, v19
	s_nop 2
	v_cvt_f32_i32_e32 v2, v12
	v_pk_mul_f32 v[10:11], v[2:3], v[10:11]
	v_sub_f32_e32 v2, v10, v11
	v_fma_mix_f32 v6, v2, v9, v6 op_sel_hi:[0,1,0]
	s_andn2_b64 exec, exec, s[12:13]
	s_cbranch_execnz .LBB258_3
; %bb.4:
	s_or_b64 exec, exec, s[12:13]
.LBB258_5:
	s_or_b64 exec, exec, s[10:11]
	v_mbcnt_lo_u32_b32 v0, -1, 0
	v_mbcnt_hi_u32_b32 v2, -1, v0
	v_and_b32_e32 v0, 64, v2
	v_add_u32_e32 v3, 64, v0
	v_xor_b32_e32 v0, 32, v2
	v_cmp_lt_i32_e32 vcc, v0, v3
	v_cndmask_b32_e32 v0, v2, v0, vcc
	v_lshlrev_b32_e32 v0, 2, v0
	ds_bpermute_b32 v0, v0, v6
	v_xor_b32_e32 v5, 16, v2
	v_cmp_lt_i32_e32 vcc, v5, v3
	v_cndmask_b32_e32 v5, v2, v5, vcc
	v_lshlrev_b32_e32 v5, 2, v5
	s_waitcnt lgkmcnt(0)
	v_add_f32_e32 v0, v6, v0
	ds_bpermute_b32 v5, v5, v0
	v_xor_b32_e32 v6, 8, v2
	v_cmp_lt_i32_e32 vcc, v6, v3
	s_waitcnt lgkmcnt(0)
	v_add_f32_e32 v0, v0, v5
	v_cndmask_b32_e32 v5, v2, v6, vcc
	v_lshlrev_b32_e32 v5, 2, v5
	ds_bpermute_b32 v5, v5, v0
	v_xor_b32_e32 v6, 4, v2
	v_cmp_lt_i32_e32 vcc, v6, v3
	s_waitcnt lgkmcnt(0)
	v_add_f32_e32 v0, v0, v5
	v_cndmask_b32_e32 v5, v2, v6, vcc
	v_lshlrev_b32_e32 v5, 2, v5
	;; [unrolled: 7-line block ×3, first 2 shown]
	ds_bpermute_b32 v5, v5, v0
	v_xor_b32_e32 v6, 1, v2
	v_cmp_lt_i32_e32 vcc, v6, v3
	v_cndmask_b32_e32 v2, v2, v6, vcc
	v_lshlrev_b32_e32 v2, 2, v2
	s_waitcnt lgkmcnt(0)
	v_add_f32_e32 v0, v0, v5
	ds_bpermute_b32 v2, v2, v0
	v_cmp_eq_u32_e32 vcc, 0, v4
	s_and_b64 exec, exec, vcc
	s_cbranch_execz .LBB258_7
; %bb.6:
	s_waitcnt lgkmcnt(0)
	v_add_f32_e32 v0, v0, v2
	s_mul_i32 s0, s8, s2
	v_cvt_f16_f32_e32 v2, v0
	v_add_u32_e32 v0, s0, v1
	v_mov_b32_e32 v1, 0
	v_lshlrev_b64 v[0:1], 1, v[0:1]
	v_mov_b32_e32 v3, s7
	v_add_co_u32_e32 v0, vcc, s6, v0
	v_addc_co_u32_e32 v1, vcc, v3, v1, vcc
	global_store_short v[0:1], v2, off
.LBB258_7:
	s_endpgm
	.section	.rodata,"a",@progbits
	.p2align	6, 0x0
	.amdhsa_kernel _ZL9moe_vec_qIN3c104HalfELi32ELi4E10block_q5_0Li2EXadL_ZL17vec_dot_q5_0_q8_1PKvPK10block_q8_1RKiEEEvS4_S4_PT_PS8_iiii
		.amdhsa_group_segment_fixed_size 0
		.amdhsa_private_segment_fixed_size 0
		.amdhsa_kernarg_size 304
		.amdhsa_user_sgpr_count 6
		.amdhsa_user_sgpr_private_segment_buffer 1
		.amdhsa_user_sgpr_dispatch_ptr 0
		.amdhsa_user_sgpr_queue_ptr 0
		.amdhsa_user_sgpr_kernarg_segment_ptr 1
		.amdhsa_user_sgpr_dispatch_id 0
		.amdhsa_user_sgpr_flat_scratch_init 0
		.amdhsa_user_sgpr_kernarg_preload_length 0
		.amdhsa_user_sgpr_kernarg_preload_offset 0
		.amdhsa_user_sgpr_private_segment_size 0
		.amdhsa_uses_dynamic_stack 0
		.amdhsa_system_sgpr_private_segment_wavefront_offset 0
		.amdhsa_system_sgpr_workgroup_id_x 1
		.amdhsa_system_sgpr_workgroup_id_y 0
		.amdhsa_system_sgpr_workgroup_id_z 1
		.amdhsa_system_sgpr_workgroup_info 0
		.amdhsa_system_vgpr_workitem_id 1
		.amdhsa_next_free_vgpr 36
		.amdhsa_next_free_sgpr 20
		.amdhsa_accum_offset 36
		.amdhsa_reserve_vcc 1
		.amdhsa_reserve_flat_scratch 0
		.amdhsa_float_round_mode_32 0
		.amdhsa_float_round_mode_16_64 0
		.amdhsa_float_denorm_mode_32 3
		.amdhsa_float_denorm_mode_16_64 3
		.amdhsa_dx10_clamp 1
		.amdhsa_ieee_mode 1
		.amdhsa_fp16_overflow 0
		.amdhsa_tg_split 0
		.amdhsa_exception_fp_ieee_invalid_op 0
		.amdhsa_exception_fp_denorm_src 0
		.amdhsa_exception_fp_ieee_div_zero 0
		.amdhsa_exception_fp_ieee_overflow 0
		.amdhsa_exception_fp_ieee_underflow 0
		.amdhsa_exception_fp_ieee_inexact 0
		.amdhsa_exception_int_div_zero 0
	.end_amdhsa_kernel
	.section	.text._ZL9moe_vec_qIN3c104HalfELi32ELi4E10block_q5_0Li2EXadL_ZL17vec_dot_q5_0_q8_1PKvPK10block_q8_1RKiEEEvS4_S4_PT_PS8_iiii,"axG",@progbits,_ZL9moe_vec_qIN3c104HalfELi32ELi4E10block_q5_0Li2EXadL_ZL17vec_dot_q5_0_q8_1PKvPK10block_q8_1RKiEEEvS4_S4_PT_PS8_iiii,comdat
.Lfunc_end258:
	.size	_ZL9moe_vec_qIN3c104HalfELi32ELi4E10block_q5_0Li2EXadL_ZL17vec_dot_q5_0_q8_1PKvPK10block_q8_1RKiEEEvS4_S4_PT_PS8_iiii, .Lfunc_end258-_ZL9moe_vec_qIN3c104HalfELi32ELi4E10block_q5_0Li2EXadL_ZL17vec_dot_q5_0_q8_1PKvPK10block_q8_1RKiEEEvS4_S4_PT_PS8_iiii
                                        ; -- End function
	.section	.AMDGPU.csdata,"",@progbits
; Kernel info:
; codeLenInByte = 1092
; NumSgprs: 24
; NumVgprs: 36
; NumAgprs: 0
; TotalNumVgprs: 36
; ScratchSize: 0
; MemoryBound: 0
; FloatMode: 240
; IeeeMode: 1
; LDSByteSize: 0 bytes/workgroup (compile time only)
; SGPRBlocks: 2
; VGPRBlocks: 4
; NumSGPRsForWavesPerEU: 24
; NumVGPRsForWavesPerEU: 36
; AccumOffset: 36
; Occupancy: 8
; WaveLimiterHint : 1
; COMPUTE_PGM_RSRC2:SCRATCH_EN: 0
; COMPUTE_PGM_RSRC2:USER_SGPR: 6
; COMPUTE_PGM_RSRC2:TRAP_HANDLER: 0
; COMPUTE_PGM_RSRC2:TGID_X_EN: 1
; COMPUTE_PGM_RSRC2:TGID_Y_EN: 0
; COMPUTE_PGM_RSRC2:TGID_Z_EN: 1
; COMPUTE_PGM_RSRC2:TIDIG_COMP_CNT: 1
; COMPUTE_PGM_RSRC3_GFX90A:ACCUM_OFFSET: 8
; COMPUTE_PGM_RSRC3_GFX90A:TG_SPLIT: 0
	.section	.text._ZL9moe_vec_qIN3c104HalfELi32ELi4E10block_q5_1Li2EXadL_ZL17vec_dot_q5_1_q8_1PKvPK10block_q8_1RKiEEEvS4_S4_PT_PS8_iiii,"axG",@progbits,_ZL9moe_vec_qIN3c104HalfELi32ELi4E10block_q5_1Li2EXadL_ZL17vec_dot_q5_1_q8_1PKvPK10block_q8_1RKiEEEvS4_S4_PT_PS8_iiii,comdat
	.globl	_ZL9moe_vec_qIN3c104HalfELi32ELi4E10block_q5_1Li2EXadL_ZL17vec_dot_q5_1_q8_1PKvPK10block_q8_1RKiEEEvS4_S4_PT_PS8_iiii ; -- Begin function _ZL9moe_vec_qIN3c104HalfELi32ELi4E10block_q5_1Li2EXadL_ZL17vec_dot_q5_1_q8_1PKvPK10block_q8_1RKiEEEvS4_S4_PT_PS8_iiii
	.p2align	8
	.type	_ZL9moe_vec_qIN3c104HalfELi32ELi4E10block_q5_1Li2EXadL_ZL17vec_dot_q5_1_q8_1PKvPK10block_q8_1RKiEEEvS4_S4_PT_PS8_iiii,@function
_ZL9moe_vec_qIN3c104HalfELi32ELi4E10block_q5_1Li2EXadL_ZL17vec_dot_q5_1_q8_1PKvPK10block_q8_1RKiEEEvS4_S4_PT_PS8_iiii: ; @_ZL9moe_vec_qIN3c104HalfELi32ELi4E10block_q5_1Li2EXadL_ZL17vec_dot_q5_1_q8_1PKvPK10block_q8_1RKiEEEvS4_S4_PT_PS8_iiii
; %bb.0:
	s_mov_b32 s8, s7
	s_load_dword s7, s[4:5], 0x3c
	s_load_dwordx4 s[0:3], s[4:5], 0x20
	v_bfe_u32 v1, v0, 10, 10
	s_waitcnt lgkmcnt(0)
	s_lshr_b32 s7, s7, 16
	s_mul_i32 s6, s6, s7
	v_add_u32_e32 v1, s6, v1
	v_cmp_gt_u32_e32 vcc, s2, v1
	s_and_saveexec_b64 s[6:7], vcc
	s_cbranch_execz .LBB259_7
; %bb.1:
	v_cvt_f32_u32_e32 v2, s0
	s_load_dwordx2 s[6:7], s[4:5], 0x10
	s_ashr_i32 s9, s1, 31
	s_lshr_b32 s9, s9, 27
	v_rcp_iflag_f32_e32 v4, v2
	v_and_b32_e32 v2, 0x3ff, v0
	s_add_i32 s1, s1, s9
	v_lshrrev_b32_e32 v3, 1, v2
	v_mul_f32_e32 v0, 0x4f7ffffe, v4
	v_cvt_u32_f32_e32 v0, v0
	s_ashr_i32 s14, s1, 5
	v_cmp_gt_u32_e32 vcc, s14, v3
	v_mov_b32_e32 v4, 0
	v_readfirstlane_b32 s1, v0
	s_and_saveexec_b64 s[10:11], vcc
	s_cbranch_execz .LBB259_5
; %bb.2:
	s_sub_i32 s12, 0, s0
	s_mul_i32 s15, s12, s1
	s_load_dwordx4 s[16:19], s[4:5], 0x0
	s_load_dwordx2 s[12:13], s[4:5], 0x18
	s_mov_b32 s9, 0
	s_mul_hi_u32 s4, s1, s15
	s_add_i32 s1, s1, s4
	s_lshl_b64 s[4:5], s[8:9], 2
	s_waitcnt lgkmcnt(0)
	s_add_u32 s4, s12, s4
	s_mul_hi_u32 s1, s8, s1
	s_addc_u32 s5, s13, s5
	s_load_dword s4, s[4:5], 0x0
	s_mul_i32 s5, s1, s0
	s_sub_i32 s5, s8, s5
	s_add_i32 s12, s1, 1
	s_sub_i32 s13, s5, s0
	s_cmp_ge_u32 s5, s0
	s_cselect_b32 s1, s12, s1
	s_cselect_b32 s5, s13, s5
	s_add_i32 s12, s1, 1
	s_cmp_ge_u32 s5, s0
	s_mul_i32 s0, s14, s2
	s_waitcnt lgkmcnt(0)
	s_mul_i32 s0, s0, s4
	s_cselect_b32 s5, s12, s1
	s_mul_hi_i32 s1, s0, 24
	s_mul_i32 s0, s0, 24
	s_add_u32 s0, s16, s0
	s_mul_i32 s4, s5, s3
	s_mov_b32 s5, s9
	s_addc_u32 s1, s17, s1
	s_lshl_b64 s[4:5], s[4:5], 2
	v_lshlrev_b32_e32 v0, 3, v2
	s_add_u32 s4, s18, s4
	v_and_b32_e32 v0, 8, v0
	s_addc_u32 s5, s19, s5
	v_mul_lo_u32 v5, v1, s14
	v_mov_b32_e32 v4, 0
	v_or_b32_e32 v6, 4, v0
	s_mov_b64 s[12:13], 0
	s_mov_b32 s3, 0.5
.LBB259_3:                              ; =>This Inner Loop Header: Depth=1
	v_add_u32_e32 v7, v5, v3
	v_mad_i64_i32 v[8:9], s[16:17], v3, 36, s[4:5]
	v_mad_i64_i32 v[10:11], s[16:17], v7, 24, s[0:1]
	v_add_co_u32_e32 v12, vcc, v8, v0
	v_addc_co_u32_e32 v13, vcc, 0, v9, vcc
	global_load_dwordx2 v[14:15], v[10:11], off
	v_add_co_u32_e32 v10, vcc, v10, v0
	v_addc_co_u32_e32 v11, vcc, 0, v11, vcc
	global_load_dwordx2 v[16:17], v[12:13], off offset:4
	global_load_dwordx2 v[18:19], v[12:13], off offset:20
	;; [unrolled: 1-line block ×3, first 2 shown]
	global_load_dword v7, v[8:9], off
	v_mov_b32_e32 v8, 0
	v_add_u32_e32 v3, 32, v3
	v_cmp_le_u32_e32 vcc, s14, v3
	s_or_b64 s[12:13], vcc, s[12:13]
	s_waitcnt vmcnt(4)
	v_ashrrev_i32_e32 v9, v0, v15
	v_lshlrev_b32_e32 v12, 4, v9
	v_lshlrev_b32_e32 v13, 11, v9
	v_ashrrev_i32_e32 v10, v6, v15
	s_waitcnt vmcnt(1)
	v_and_b32_e32 v11, 0xf0f0f0f, v20
	s_waitcnt vmcnt(0)
	v_pk_mul_f16 v7, v14, v7
	v_lshlrev_b32_e32 v14, 18, v9
	v_lshlrev_b32_e32 v15, 25, v9
	v_lshrrev_b32_e32 v22, 12, v9
	v_lshrrev_b32_e32 v23, 5, v9
	v_lshlrev_b32_e32 v24, 2, v9
	v_and_b32_e32 v12, 16, v12
	v_and_b32_e32 v13, 0x1000, v13
	v_lshrrev_b32_e32 v20, 4, v20
	v_lshlrev_b32_e32 v9, 9, v9
	v_lshlrev_b32_e32 v26, 4, v10
	;; [unrolled: 1-line block ×4, first 2 shown]
	v_and_b32_e32 v14, 0x100000, v14
	v_and_b32_e32 v15, 0x10000000, v15
	;; [unrolled: 1-line block ×5, first 2 shown]
	v_or3_b32 v11, v12, v11, v13
	v_lshlrev_b32_e32 v29, 25, v10
	v_lshrrev_b32_e32 v30, 12, v10
	v_lshrrev_b32_e32 v31, 5, v10
	v_lshlrev_b32_e32 v32, 2, v10
	v_and_b32_e32 v20, 0xf0f0f0f, v20
	v_and_b32_e32 v9, 0x10000000, v9
	;; [unrolled: 1-line block ×5, first 2 shown]
	v_or3_b32 v12, v23, v22, v24
	v_or3_b32 v11, v11, v14, v15
	v_and_b32_e32 v25, 0xf0f0f0f, v21
	v_lshrrev_b32_e32 v21, 4, v21
	v_lshlrev_b32_e32 v10, 9, v10
	v_and_b32_e32 v29, 0x10000000, v29
	v_and_b32_e32 v30, 16, v30
	;; [unrolled: 1-line block ×4, first 2 shown]
	v_or3_b32 v13, v27, v26, v28
	v_or3_b32 v9, v12, v9, v20
	v_dot4c_i32_i8_e32 v8, v11, v16
	v_and_b32_e32 v21, 0xf0f0f0f, v21
	v_and_b32_e32 v10, 0x10000000, v10
	v_or3_b32 v22, v31, v30, v32
	v_or3_b32 v12, v13, v29, v25
	v_dot4c_i32_i8_e32 v8, v9, v18
	v_or3_b32 v10, v22, v10, v21
	v_dot4c_i32_i8_e32 v8, v12, v17
	v_dot4c_i32_i8_e32 v8, v10, v19
	v_cvt_f32_f16_e32 v33, v7
	s_nop 1
	v_cvt_f32_i32_e32 v8, v8
	v_mul_f32_e32 v8, v33, v8
	v_fma_mix_f32 v7, v7, s3, v8 op_sel:[1,0,0] op_sel_hi:[1,0,0]
	v_add_f32_e32 v4, v4, v7
	s_andn2_b64 exec, exec, s[12:13]
	s_cbranch_execnz .LBB259_3
; %bb.4:
	s_or_b64 exec, exec, s[12:13]
.LBB259_5:
	s_or_b64 exec, exec, s[10:11]
	v_mbcnt_lo_u32_b32 v0, -1, 0
	v_mbcnt_hi_u32_b32 v3, -1, v0
	v_and_b32_e32 v0, 64, v3
	v_add_u32_e32 v5, 64, v0
	v_xor_b32_e32 v0, 32, v3
	v_cmp_lt_i32_e32 vcc, v0, v5
	v_cndmask_b32_e32 v0, v3, v0, vcc
	v_lshlrev_b32_e32 v0, 2, v0
	ds_bpermute_b32 v0, v0, v4
	v_xor_b32_e32 v6, 16, v3
	v_cmp_lt_i32_e32 vcc, v6, v5
	s_waitcnt lgkmcnt(0)
	v_add_f32_e32 v0, v4, v0
	v_cndmask_b32_e32 v4, v3, v6, vcc
	v_lshlrev_b32_e32 v4, 2, v4
	ds_bpermute_b32 v4, v4, v0
	v_xor_b32_e32 v6, 8, v3
	v_cmp_lt_i32_e32 vcc, v6, v5
	s_waitcnt lgkmcnt(0)
	v_add_f32_e32 v0, v0, v4
	;; [unrolled: 7-line block ×4, first 2 shown]
	v_cndmask_b32_e32 v4, v3, v6, vcc
	v_lshlrev_b32_e32 v4, 2, v4
	ds_bpermute_b32 v4, v4, v0
	v_xor_b32_e32 v6, 1, v3
	v_cmp_lt_i32_e32 vcc, v6, v5
	v_cndmask_b32_e32 v3, v3, v6, vcc
	v_lshlrev_b32_e32 v3, 2, v3
	s_waitcnt lgkmcnt(0)
	v_add_f32_e32 v0, v0, v4
	ds_bpermute_b32 v3, v3, v0
	v_cmp_eq_u32_e32 vcc, 0, v2
	s_and_b64 exec, exec, vcc
	s_cbranch_execz .LBB259_7
; %bb.6:
	s_waitcnt lgkmcnt(0)
	v_add_f32_e32 v0, v0, v3
	s_mul_i32 s0, s8, s2
	v_cvt_f16_f32_e32 v2, v0
	v_add_u32_e32 v0, s0, v1
	v_mov_b32_e32 v1, 0
	v_lshlrev_b64 v[0:1], 1, v[0:1]
	v_mov_b32_e32 v3, s7
	v_add_co_u32_e32 v0, vcc, s6, v0
	v_addc_co_u32_e32 v1, vcc, v3, v1, vcc
	global_store_short v[0:1], v2, off
.LBB259_7:
	s_endpgm
	.section	.rodata,"a",@progbits
	.p2align	6, 0x0
	.amdhsa_kernel _ZL9moe_vec_qIN3c104HalfELi32ELi4E10block_q5_1Li2EXadL_ZL17vec_dot_q5_1_q8_1PKvPK10block_q8_1RKiEEEvS4_S4_PT_PS8_iiii
		.amdhsa_group_segment_fixed_size 0
		.amdhsa_private_segment_fixed_size 0
		.amdhsa_kernarg_size 304
		.amdhsa_user_sgpr_count 6
		.amdhsa_user_sgpr_private_segment_buffer 1
		.amdhsa_user_sgpr_dispatch_ptr 0
		.amdhsa_user_sgpr_queue_ptr 0
		.amdhsa_user_sgpr_kernarg_segment_ptr 1
		.amdhsa_user_sgpr_dispatch_id 0
		.amdhsa_user_sgpr_flat_scratch_init 0
		.amdhsa_user_sgpr_kernarg_preload_length 0
		.amdhsa_user_sgpr_kernarg_preload_offset 0
		.amdhsa_user_sgpr_private_segment_size 0
		.amdhsa_uses_dynamic_stack 0
		.amdhsa_system_sgpr_private_segment_wavefront_offset 0
		.amdhsa_system_sgpr_workgroup_id_x 1
		.amdhsa_system_sgpr_workgroup_id_y 0
		.amdhsa_system_sgpr_workgroup_id_z 1
		.amdhsa_system_sgpr_workgroup_info 0
		.amdhsa_system_vgpr_workitem_id 1
		.amdhsa_next_free_vgpr 34
		.amdhsa_next_free_sgpr 20
		.amdhsa_accum_offset 36
		.amdhsa_reserve_vcc 1
		.amdhsa_reserve_flat_scratch 0
		.amdhsa_float_round_mode_32 0
		.amdhsa_float_round_mode_16_64 0
		.amdhsa_float_denorm_mode_32 3
		.amdhsa_float_denorm_mode_16_64 3
		.amdhsa_dx10_clamp 1
		.amdhsa_ieee_mode 1
		.amdhsa_fp16_overflow 0
		.amdhsa_tg_split 0
		.amdhsa_exception_fp_ieee_invalid_op 0
		.amdhsa_exception_fp_denorm_src 0
		.amdhsa_exception_fp_ieee_div_zero 0
		.amdhsa_exception_fp_ieee_overflow 0
		.amdhsa_exception_fp_ieee_underflow 0
		.amdhsa_exception_fp_ieee_inexact 0
		.amdhsa_exception_int_div_zero 0
	.end_amdhsa_kernel
	.section	.text._ZL9moe_vec_qIN3c104HalfELi32ELi4E10block_q5_1Li2EXadL_ZL17vec_dot_q5_1_q8_1PKvPK10block_q8_1RKiEEEvS4_S4_PT_PS8_iiii,"axG",@progbits,_ZL9moe_vec_qIN3c104HalfELi32ELi4E10block_q5_1Li2EXadL_ZL17vec_dot_q5_1_q8_1PKvPK10block_q8_1RKiEEEvS4_S4_PT_PS8_iiii,comdat
.Lfunc_end259:
	.size	_ZL9moe_vec_qIN3c104HalfELi32ELi4E10block_q5_1Li2EXadL_ZL17vec_dot_q5_1_q8_1PKvPK10block_q8_1RKiEEEvS4_S4_PT_PS8_iiii, .Lfunc_end259-_ZL9moe_vec_qIN3c104HalfELi32ELi4E10block_q5_1Li2EXadL_ZL17vec_dot_q5_1_q8_1PKvPK10block_q8_1RKiEEEvS4_S4_PT_PS8_iiii
                                        ; -- End function
	.section	.AMDGPU.csdata,"",@progbits
; Kernel info:
; codeLenInByte = 1052
; NumSgprs: 24
; NumVgprs: 34
; NumAgprs: 0
; TotalNumVgprs: 34
; ScratchSize: 0
; MemoryBound: 0
; FloatMode: 240
; IeeeMode: 1
; LDSByteSize: 0 bytes/workgroup (compile time only)
; SGPRBlocks: 2
; VGPRBlocks: 4
; NumSGPRsForWavesPerEU: 24
; NumVGPRsForWavesPerEU: 34
; AccumOffset: 36
; Occupancy: 8
; WaveLimiterHint : 1
; COMPUTE_PGM_RSRC2:SCRATCH_EN: 0
; COMPUTE_PGM_RSRC2:USER_SGPR: 6
; COMPUTE_PGM_RSRC2:TRAP_HANDLER: 0
; COMPUTE_PGM_RSRC2:TGID_X_EN: 1
; COMPUTE_PGM_RSRC2:TGID_Y_EN: 0
; COMPUTE_PGM_RSRC2:TGID_Z_EN: 1
; COMPUTE_PGM_RSRC2:TIDIG_COMP_CNT: 1
; COMPUTE_PGM_RSRC3_GFX90A:ACCUM_OFFSET: 8
; COMPUTE_PGM_RSRC3_GFX90A:TG_SPLIT: 0
	.section	.text._ZL9moe_vec_qIN3c104HalfELi32ELi8E10block_q8_0Li2EXadL_ZL17vec_dot_q8_0_q8_1PKvPK10block_q8_1RKiEEEvS4_S4_PT_PS8_iiii,"axG",@progbits,_ZL9moe_vec_qIN3c104HalfELi32ELi8E10block_q8_0Li2EXadL_ZL17vec_dot_q8_0_q8_1PKvPK10block_q8_1RKiEEEvS4_S4_PT_PS8_iiii,comdat
	.globl	_ZL9moe_vec_qIN3c104HalfELi32ELi8E10block_q8_0Li2EXadL_ZL17vec_dot_q8_0_q8_1PKvPK10block_q8_1RKiEEEvS4_S4_PT_PS8_iiii ; -- Begin function _ZL9moe_vec_qIN3c104HalfELi32ELi8E10block_q8_0Li2EXadL_ZL17vec_dot_q8_0_q8_1PKvPK10block_q8_1RKiEEEvS4_S4_PT_PS8_iiii
	.p2align	8
	.type	_ZL9moe_vec_qIN3c104HalfELi32ELi8E10block_q8_0Li2EXadL_ZL17vec_dot_q8_0_q8_1PKvPK10block_q8_1RKiEEEvS4_S4_PT_PS8_iiii,@function
_ZL9moe_vec_qIN3c104HalfELi32ELi8E10block_q8_0Li2EXadL_ZL17vec_dot_q8_0_q8_1PKvPK10block_q8_1RKiEEEvS4_S4_PT_PS8_iiii: ; @_ZL9moe_vec_qIN3c104HalfELi32ELi8E10block_q8_0Li2EXadL_ZL17vec_dot_q8_0_q8_1PKvPK10block_q8_1RKiEEEvS4_S4_PT_PS8_iiii
; %bb.0:
	s_mov_b32 s8, s7
	s_load_dword s7, s[4:5], 0x3c
	s_load_dwordx4 s[0:3], s[4:5], 0x20
	v_bfe_u32 v1, v0, 10, 10
	s_waitcnt lgkmcnt(0)
	s_lshr_b32 s7, s7, 16
	s_mul_i32 s6, s6, s7
	v_add_u32_e32 v1, s6, v1
	v_cmp_gt_u32_e32 vcc, s2, v1
	s_and_saveexec_b64 s[6:7], vcc
	s_cbranch_execz .LBB260_7
; %bb.1:
	v_cvt_f32_u32_e32 v2, s0
	s_load_dwordx2 s[6:7], s[4:5], 0x10
	s_ashr_i32 s9, s1, 31
	s_lshr_b32 s9, s9, 27
	v_rcp_iflag_f32_e32 v4, v2
	v_and_b32_e32 v2, 0x3ff, v0
	s_add_i32 s1, s1, s9
	v_lshrrev_b32_e32 v3, 2, v2
	v_mul_f32_e32 v0, 0x4f7ffffe, v4
	v_cvt_u32_f32_e32 v0, v0
	s_ashr_i32 s14, s1, 5
	v_cmp_gt_u32_e32 vcc, s14, v3
	v_mov_b32_e32 v4, 0
	v_readfirstlane_b32 s1, v0
	s_and_saveexec_b64 s[10:11], vcc
	s_cbranch_execz .LBB260_5
; %bb.2:
	s_sub_i32 s12, 0, s0
	s_mul_i32 s15, s12, s1
	s_load_dwordx4 s[16:19], s[4:5], 0x0
	s_load_dwordx2 s[12:13], s[4:5], 0x18
	s_mov_b32 s9, 0
	s_mul_hi_u32 s4, s1, s15
	s_add_i32 s1, s1, s4
	s_lshl_b64 s[4:5], s[8:9], 2
	s_waitcnt lgkmcnt(0)
	s_add_u32 s4, s12, s4
	s_mul_hi_u32 s1, s8, s1
	s_addc_u32 s5, s13, s5
	s_load_dword s4, s[4:5], 0x0
	s_mul_i32 s5, s1, s0
	s_sub_i32 s5, s8, s5
	s_add_i32 s12, s1, 1
	s_sub_i32 s13, s5, s0
	s_cmp_ge_u32 s5, s0
	s_cselect_b32 s1, s12, s1
	s_cselect_b32 s5, s13, s5
	s_add_i32 s12, s1, 1
	s_cmp_ge_u32 s5, s0
	s_mul_i32 s0, s14, s2
	s_waitcnt lgkmcnt(0)
	s_mul_i32 s0, s0, s4
	s_cselect_b32 s5, s12, s1
	s_mul_hi_i32 s1, s0, 34
	s_mul_i32 s0, s0, 34
	s_add_u32 s0, s16, s0
	s_mul_i32 s4, s5, s3
	s_mov_b32 s5, s9
	s_addc_u32 s1, s17, s1
	s_lshl_b64 s[4:5], s[4:5], 2
	s_add_u32 s4, s18, s4
	v_lshlrev_b32_e32 v0, 3, v2
	s_addc_u32 s5, s19, s5
	v_mul_lo_u32 v5, v1, s14
	v_and_b32_e32 v0, 24, v0
	v_mov_b32_e32 v4, 0
	s_mov_b64 s[12:13], 0
.LBB260_3:                              ; =>This Inner Loop Header: Depth=1
	v_mad_i64_i32 v[6:7], s[16:17], v3, 36, s[4:5]
	v_add_u32_e32 v8, v5, v3
	v_add_co_u32_e32 v10, vcc, v6, v0
	v_mad_i64_i32 v[8:9], s[16:17], v8, 34, s[0:1]
	v_addc_co_u32_e32 v11, vcc, 0, v7, vcc
	global_load_dword v16, v[6:7], off
	v_add_co_u32_e32 v6, vcc, v8, v0
	v_addc_co_u32_e32 v7, vcc, 0, v9, vcc
	global_load_dwordx2 v[12:13], v[10:11], off offset:4
	global_load_dwordx2 v[14:15], v[6:7], off offset:2
	global_load_ushort v17, v[8:9], off
	v_mov_b32_e32 v6, 0
	v_add_u32_e32 v3, 16, v3
	v_cmp_le_u32_e32 vcc, s14, v3
	s_or_b64 s[12:13], vcc, s[12:13]
	s_waitcnt vmcnt(3)
	v_cvt_f32_f16_e32 v7, v16
	s_waitcnt vmcnt(1)
	v_dot4c_i32_i8_e32 v6, v14, v12
	s_waitcnt vmcnt(0)
	v_cvt_f32_f16_e32 v8, v17
	v_dot4c_i32_i8_e32 v6, v15, v13
	v_mul_f32_e32 v7, v8, v7
	s_nop 1
	v_cvt_f32_i32_e32 v6, v6
	v_fmac_f32_e32 v4, v7, v6
	s_andn2_b64 exec, exec, s[12:13]
	s_cbranch_execnz .LBB260_3
; %bb.4:
	s_or_b64 exec, exec, s[12:13]
.LBB260_5:
	s_or_b64 exec, exec, s[10:11]
	v_mbcnt_lo_u32_b32 v0, -1, 0
	v_mbcnt_hi_u32_b32 v3, -1, v0
	v_and_b32_e32 v0, 64, v3
	v_add_u32_e32 v5, 64, v0
	v_xor_b32_e32 v0, 32, v3
	v_cmp_lt_i32_e32 vcc, v0, v5
	v_cndmask_b32_e32 v0, v3, v0, vcc
	v_lshlrev_b32_e32 v0, 2, v0
	ds_bpermute_b32 v0, v0, v4
	v_xor_b32_e32 v6, 16, v3
	v_cmp_lt_i32_e32 vcc, v6, v5
	s_waitcnt lgkmcnt(0)
	v_add_f32_e32 v0, v4, v0
	v_cndmask_b32_e32 v4, v3, v6, vcc
	v_lshlrev_b32_e32 v4, 2, v4
	ds_bpermute_b32 v4, v4, v0
	v_xor_b32_e32 v6, 8, v3
	v_cmp_lt_i32_e32 vcc, v6, v5
	s_waitcnt lgkmcnt(0)
	v_add_f32_e32 v0, v0, v4
	;; [unrolled: 7-line block ×4, first 2 shown]
	v_cndmask_b32_e32 v4, v3, v6, vcc
	v_lshlrev_b32_e32 v4, 2, v4
	ds_bpermute_b32 v4, v4, v0
	v_xor_b32_e32 v6, 1, v3
	v_cmp_lt_i32_e32 vcc, v6, v5
	v_cndmask_b32_e32 v3, v3, v6, vcc
	v_lshlrev_b32_e32 v3, 2, v3
	s_waitcnt lgkmcnt(0)
	v_add_f32_e32 v0, v0, v4
	ds_bpermute_b32 v3, v3, v0
	v_cmp_eq_u32_e32 vcc, 0, v2
	s_and_b64 exec, exec, vcc
	s_cbranch_execz .LBB260_7
; %bb.6:
	s_waitcnt lgkmcnt(0)
	v_add_f32_e32 v0, v0, v3
	s_mul_i32 s0, s8, s2
	v_cvt_f16_f32_e32 v2, v0
	v_add_u32_e32 v0, s0, v1
	v_mov_b32_e32 v1, 0
	v_lshlrev_b64 v[0:1], 1, v[0:1]
	v_mov_b32_e32 v3, s7
	v_add_co_u32_e32 v0, vcc, s6, v0
	v_addc_co_u32_e32 v1, vcc, v3, v1, vcc
	global_store_short v[0:1], v2, off
.LBB260_7:
	s_endpgm
	.section	.rodata,"a",@progbits
	.p2align	6, 0x0
	.amdhsa_kernel _ZL9moe_vec_qIN3c104HalfELi32ELi8E10block_q8_0Li2EXadL_ZL17vec_dot_q8_0_q8_1PKvPK10block_q8_1RKiEEEvS4_S4_PT_PS8_iiii
		.amdhsa_group_segment_fixed_size 0
		.amdhsa_private_segment_fixed_size 0
		.amdhsa_kernarg_size 304
		.amdhsa_user_sgpr_count 6
		.amdhsa_user_sgpr_private_segment_buffer 1
		.amdhsa_user_sgpr_dispatch_ptr 0
		.amdhsa_user_sgpr_queue_ptr 0
		.amdhsa_user_sgpr_kernarg_segment_ptr 1
		.amdhsa_user_sgpr_dispatch_id 0
		.amdhsa_user_sgpr_flat_scratch_init 0
		.amdhsa_user_sgpr_kernarg_preload_length 0
		.amdhsa_user_sgpr_kernarg_preload_offset 0
		.amdhsa_user_sgpr_private_segment_size 0
		.amdhsa_uses_dynamic_stack 0
		.amdhsa_system_sgpr_private_segment_wavefront_offset 0
		.amdhsa_system_sgpr_workgroup_id_x 1
		.amdhsa_system_sgpr_workgroup_id_y 0
		.amdhsa_system_sgpr_workgroup_id_z 1
		.amdhsa_system_sgpr_workgroup_info 0
		.amdhsa_system_vgpr_workitem_id 1
		.amdhsa_next_free_vgpr 18
		.amdhsa_next_free_sgpr 20
		.amdhsa_accum_offset 20
		.amdhsa_reserve_vcc 1
		.amdhsa_reserve_flat_scratch 0
		.amdhsa_float_round_mode_32 0
		.amdhsa_float_round_mode_16_64 0
		.amdhsa_float_denorm_mode_32 3
		.amdhsa_float_denorm_mode_16_64 3
		.amdhsa_dx10_clamp 1
		.amdhsa_ieee_mode 1
		.amdhsa_fp16_overflow 0
		.amdhsa_tg_split 0
		.amdhsa_exception_fp_ieee_invalid_op 0
		.amdhsa_exception_fp_denorm_src 0
		.amdhsa_exception_fp_ieee_div_zero 0
		.amdhsa_exception_fp_ieee_overflow 0
		.amdhsa_exception_fp_ieee_underflow 0
		.amdhsa_exception_fp_ieee_inexact 0
		.amdhsa_exception_int_div_zero 0
	.end_amdhsa_kernel
	.section	.text._ZL9moe_vec_qIN3c104HalfELi32ELi8E10block_q8_0Li2EXadL_ZL17vec_dot_q8_0_q8_1PKvPK10block_q8_1RKiEEEvS4_S4_PT_PS8_iiii,"axG",@progbits,_ZL9moe_vec_qIN3c104HalfELi32ELi8E10block_q8_0Li2EXadL_ZL17vec_dot_q8_0_q8_1PKvPK10block_q8_1RKiEEEvS4_S4_PT_PS8_iiii,comdat
.Lfunc_end260:
	.size	_ZL9moe_vec_qIN3c104HalfELi32ELi8E10block_q8_0Li2EXadL_ZL17vec_dot_q8_0_q8_1PKvPK10block_q8_1RKiEEEvS4_S4_PT_PS8_iiii, .Lfunc_end260-_ZL9moe_vec_qIN3c104HalfELi32ELi8E10block_q8_0Li2EXadL_ZL17vec_dot_q8_0_q8_1PKvPK10block_q8_1RKiEEEvS4_S4_PT_PS8_iiii
                                        ; -- End function
	.section	.AMDGPU.csdata,"",@progbits
; Kernel info:
; codeLenInByte = 728
; NumSgprs: 24
; NumVgprs: 18
; NumAgprs: 0
; TotalNumVgprs: 18
; ScratchSize: 0
; MemoryBound: 0
; FloatMode: 240
; IeeeMode: 1
; LDSByteSize: 0 bytes/workgroup (compile time only)
; SGPRBlocks: 2
; VGPRBlocks: 2
; NumSGPRsForWavesPerEU: 24
; NumVGPRsForWavesPerEU: 18
; AccumOffset: 20
; Occupancy: 8
; WaveLimiterHint : 1
; COMPUTE_PGM_RSRC2:SCRATCH_EN: 0
; COMPUTE_PGM_RSRC2:USER_SGPR: 6
; COMPUTE_PGM_RSRC2:TRAP_HANDLER: 0
; COMPUTE_PGM_RSRC2:TGID_X_EN: 1
; COMPUTE_PGM_RSRC2:TGID_Y_EN: 0
; COMPUTE_PGM_RSRC2:TGID_Z_EN: 1
; COMPUTE_PGM_RSRC2:TIDIG_COMP_CNT: 1
; COMPUTE_PGM_RSRC3_GFX90A:ACCUM_OFFSET: 4
; COMPUTE_PGM_RSRC3_GFX90A:TG_SPLIT: 0
	.section	.text._ZL9moe_vec_qIN3c104HalfELi256ELi16E10block_q2_KLi1EXadL_ZL17vec_dot_q2_K_q8_1PKvPK10block_q8_1RKiEEEvS4_S4_PT_PS8_iiii,"axG",@progbits,_ZL9moe_vec_qIN3c104HalfELi256ELi16E10block_q2_KLi1EXadL_ZL17vec_dot_q2_K_q8_1PKvPK10block_q8_1RKiEEEvS4_S4_PT_PS8_iiii,comdat
	.globl	_ZL9moe_vec_qIN3c104HalfELi256ELi16E10block_q2_KLi1EXadL_ZL17vec_dot_q2_K_q8_1PKvPK10block_q8_1RKiEEEvS4_S4_PT_PS8_iiii ; -- Begin function _ZL9moe_vec_qIN3c104HalfELi256ELi16E10block_q2_KLi1EXadL_ZL17vec_dot_q2_K_q8_1PKvPK10block_q8_1RKiEEEvS4_S4_PT_PS8_iiii
	.p2align	8
	.type	_ZL9moe_vec_qIN3c104HalfELi256ELi16E10block_q2_KLi1EXadL_ZL17vec_dot_q2_K_q8_1PKvPK10block_q8_1RKiEEEvS4_S4_PT_PS8_iiii,@function
_ZL9moe_vec_qIN3c104HalfELi256ELi16E10block_q2_KLi1EXadL_ZL17vec_dot_q2_K_q8_1PKvPK10block_q8_1RKiEEEvS4_S4_PT_PS8_iiii: ; @_ZL9moe_vec_qIN3c104HalfELi256ELi16E10block_q2_KLi1EXadL_ZL17vec_dot_q2_K_q8_1PKvPK10block_q8_1RKiEEEvS4_S4_PT_PS8_iiii
; %bb.0:
	s_mov_b32 s8, s7
	s_load_dword s7, s[4:5], 0x3c
	s_load_dwordx4 s[0:3], s[4:5], 0x20
	v_bfe_u32 v1, v0, 10, 10
	s_waitcnt lgkmcnt(0)
	s_lshr_b32 s7, s7, 16
	s_mul_i32 s6, s6, s7
	v_add_u32_e32 v10, s6, v1
	v_cmp_gt_u32_e32 vcc, s2, v10
	s_and_saveexec_b64 s[6:7], vcc
	s_cbranch_execz .LBB261_7
; %bb.1:
	v_cvt_f32_u32_e32 v1, s0
	v_and_b32_e32 v11, 0x3ff, v0
	s_load_dwordx2 s[6:7], s[4:5], 0x10
	s_ashr_i32 s9, s1, 31
	v_rcp_iflag_f32_e32 v1, v1
	s_lshr_b32 s9, s9, 24
	s_add_i32 s1, s1, s9
	v_lshrrev_b32_e32 v12, 4, v11
	v_mul_f32_e32 v0, 0x4f7ffffe, v1
	v_cvt_u32_f32_e32 v0, v0
	s_ashr_i32 s12, s1, 8
	v_cmp_gt_u32_e32 vcc, s12, v12
	v_mov_b32_e32 v1, 0
	v_readfirstlane_b32 s1, v0
	s_and_saveexec_b64 s[10:11], vcc
	s_cbranch_execz .LBB261_5
; %bb.2:
	s_load_dwordx4 s[16:19], s[4:5], 0x0
	s_load_dwordx2 s[14:15], s[4:5], 0x18
	s_sub_i32 s13, 0, s0
	s_mul_i32 s13, s13, s1
	s_mov_b32 s9, 0
	s_mul_hi_u32 s4, s1, s13
	s_add_i32 s1, s1, s4
	s_lshl_b64 s[4:5], s[8:9], 2
	s_waitcnt lgkmcnt(0)
	s_add_u32 s4, s14, s4
	s_mul_hi_u32 s1, s8, s1
	s_addc_u32 s5, s15, s5
	s_load_dword s4, s[4:5], 0x0
	s_mul_i32 s5, s1, s0
	s_sub_i32 s5, s8, s5
	s_add_i32 s13, s1, 1
	s_sub_i32 s14, s5, s0
	s_cmp_ge_u32 s5, s0
	s_cselect_b32 s1, s13, s1
	s_cselect_b32 s5, s14, s5
	s_add_i32 s13, s1, 1
	s_cmp_ge_u32 s5, s0
	s_cselect_b32 s0, s13, s1
	s_mul_i32 s1, s12, s2
	s_waitcnt lgkmcnt(0)
	s_mul_i32 s1, s1, s4
	v_and_b32_e32 v3, 15, v11
	s_mul_hi_i32 s5, s1, 0x54
	s_mulk_i32 s1, 0x54
	v_cmp_lt_u32_e32 vcc, 7, v3
	s_add_u32 s14, s16, s1
	s_mul_i32 s0, s0, s3
	s_mov_b32 s1, s9
	v_cndmask_b32_e64 v0, 0, 1, vcc
	s_addc_u32 s15, s17, s5
	s_lshl_b64 s[0:1], s[0:1], 2
	v_lshlrev_b32_e32 v6, 2, v0
	v_add_u32_e32 v0, -8, v3
	v_cmp_gt_u32_e32 vcc, 8, v3
	s_add_u32 s0, s18, s0
	v_cndmask_b32_e32 v0, v0, v3, vcc
	s_addc_u32 s1, s19, s1
	v_lshlrev_b32_e32 v2, 2, v3
	v_mov_b32_e32 v1, 0
	v_sub_u32_e32 v3, v3, v0
	v_cmp_lt_u32_e32 vcc, 3, v0
	v_lshlrev_b64 v[4:5], 2, v[0:1]
	v_addc_co_u32_e32 v0, vcc, 0, v3, vcc
	v_mad_u64_u32 v[6:7], s[0:1], v6, 36, s[0:1]
	s_movk_i32 s4, 0x54
	v_mul_lo_u32 v13, v10, s12
	v_ashrrev_i32_e32 v3, 31, v0
	v_lshlrev_b32_e32 v14, 3, v12
	s_mov_b64 s[0:1], 0
	v_pk_mov_b32 v[8:9], s[14:15], s[14:15] op_sel:[0,1]
	s_movk_i32 s3, 0x48
	s_movk_i32 s5, 0x6c
	s_mov_b32 s9, 0x1010101
.LBB261_3:                              ; =>This Inner Loop Header: Depth=1
	v_mad_i64_i32 v[16:17], s[14:15], v14, 36, v[6:7]
	v_add_co_u32_e32 v20, vcc, v16, v4
	v_add_u32_e32 v15, v13, v12
	v_addc_co_u32_e32 v21, vcc, v17, v5, vcc
	v_mad_i64_i32 v[18:19], s[14:15], v15, s4, v[8:9]
	v_add_co_u32_e32 v15, vcc, 36, v16
	v_addc_co_u32_e32 v25, vcc, 0, v17, vcc
	v_add_co_u32_e32 v26, vcc, s3, v16
	v_addc_co_u32_e32 v27, vcc, 0, v17, vcc
	;; [unrolled: 2-line block ×6, first 2 shown]
	v_add_co_u32_e32 v28, vcc, v28, v4
	global_load_dword v32, v[16:17], off
	global_load_dword v33, v[16:17], off offset:36
	global_load_dword v34, v[16:17], off offset:72
	v_addc_co_u32_e32 v29, vcc, v29, v5, vcc
	v_add_co_u32_e32 v30, vcc, v18, v0
	v_addc_co_u32_e32 v31, vcc, v19, v3, vcc
	global_load_dword v15, v[20:21], off offset:4
	global_load_dword v35, v[24:25], off offset:4
	;; [unrolled: 1-line block ×6, first 2 shown]
	global_load_ubyte v40, v[30:31], off
	global_load_ubyte v41, v[30:31], off offset:2
	global_load_ubyte v42, v[30:31], off offset:4
	;; [unrolled: 1-line block ×3, first 2 shown]
	global_load_dword v44, v[18:19], off offset:80
	v_mov_b32_e32 v17, 0
	v_mov_b32_e32 v19, 0
	;; [unrolled: 1-line block ×8, first 2 shown]
	v_add_u32_e32 v12, 4, v12
	v_cmp_le_u32_e32 vcc, s12, v12
	v_add_u32_e32 v14, 32, v14
	s_or_b64 s[0:1], vcc, s[0:1]
	s_waitcnt vmcnt(13)
	v_cvt_f32_f16_e32 v16, v32
	s_waitcnt vmcnt(12)
	v_cvt_f32_f16_e32 v18, v33
	s_waitcnt vmcnt(11)
	v_cvt_f32_f16_e32 v20, v34
	s_waitcnt vmcnt(6)
	v_cvt_f32_f16_e32 v22, v38
	s_waitcnt vmcnt(5)
	v_and_b32_e32 v29, 0x3030303, v39
	s_waitcnt vmcnt(4)
	v_and_b32_e32 v31, 15, v40
	v_lshrrev_b32_e32 v32, 4, v40
	v_lshrrev_b32_e32 v33, 2, v39
	s_waitcnt vmcnt(3)
	v_lshrrev_b32_e32 v38, 4, v41
	v_lshrrev_b32_e32 v40, 4, v39
	;; [unrolled: 1-line block ×3, first 2 shown]
	v_and_b32_e32 v34, 15, v41
	s_waitcnt vmcnt(2)
	v_and_b32_e32 v41, 15, v42
	v_lshrrev_b32_e32 v42, 4, v42
	v_dot4c_i32_i8_e32 v17, v29, v15
	v_mul_lo_u32 v29, v32, s9
	v_and_b32_e32 v32, 0x3030303, v33
	v_mul_lo_u32 v33, v38, s9
	v_and_b32_e32 v38, 0x3030303, v40
	v_and_b32_e32 v39, 0x3030303, v39
	s_waitcnt vmcnt(1)
	v_and_b32_e32 v45, 15, v43
	v_lshrrev_b32_e32 v43, 4, v43
	v_mul_lo_u32 v40, v42, s9
	v_mul_lo_u32 v17, v31, v17
	v_dot4c_i32_i8_e32 v19, v29, v15
	v_dot4c_i32_i8_e32 v21, v32, v35
	;; [unrolled: 1-line block ×4, first 2 shown]
	v_mul_lo_u32 v42, v43, s9
	v_dot4c_i32_i8_e32 v23, v33, v35
	v_dot4c_i32_i8_e32 v28, v40, v36
	v_mul_lo_u32 v15, v34, v21
	v_mul_lo_u32 v21, v41, v26
	;; [unrolled: 1-line block ×3, first 2 shown]
	v_cvt_f32_i32_e32 v27, v19
	v_cvt_f32_i32_e32 v26, v17
	v_dot4c_i32_i8_e32 v30, v42, v37
	v_cvt_f32_i32_e32 v29, v23
	v_cvt_f32_i32_e32 v31, v28
	;; [unrolled: 1-line block ×6, first 2 shown]
	s_waitcnt vmcnt(0)
	v_cvt_f32_f16_e32 v24, v44
	v_cvt_f32_f16_sdwa v25, v44 dst_sel:DWORD dst_unused:UNUSED_PAD src0_sel:WORD_1
	v_pk_fma_f32 v[16:17], v[16:17], v[26:27], 0 op_sel_hi:[0,1,0]
	v_pk_fma_f32 v[16:17], v[18:19], v[28:29], v[16:17] op_sel_hi:[0,1,1]
	;; [unrolled: 1-line block ×4, first 2 shown]
	v_pk_mul_f32 v[16:17], v[16:17], v[24:25]
	v_sub_f32_e32 v15, v16, v17
	v_add_f32_e32 v1, v1, v15
	s_andn2_b64 exec, exec, s[0:1]
	s_cbranch_execnz .LBB261_3
; %bb.4:
	s_or_b64 exec, exec, s[0:1]
.LBB261_5:
	s_or_b64 exec, exec, s[10:11]
	v_mbcnt_lo_u32_b32 v0, -1, 0
	v_mbcnt_hi_u32_b32 v2, -1, v0
	v_and_b32_e32 v0, 64, v2
	v_add_u32_e32 v3, 64, v0
	v_xor_b32_e32 v0, 32, v2
	v_cmp_lt_i32_e32 vcc, v0, v3
	v_cndmask_b32_e32 v0, v2, v0, vcc
	v_lshlrev_b32_e32 v0, 2, v0
	ds_bpermute_b32 v0, v0, v1
	v_xor_b32_e32 v4, 16, v2
	v_cmp_lt_i32_e32 vcc, v4, v3
	s_waitcnt lgkmcnt(0)
	v_add_f32_e32 v0, v1, v0
	v_cndmask_b32_e32 v1, v2, v4, vcc
	v_lshlrev_b32_e32 v1, 2, v1
	ds_bpermute_b32 v1, v1, v0
	v_xor_b32_e32 v4, 8, v2
	v_cmp_lt_i32_e32 vcc, v4, v3
	s_waitcnt lgkmcnt(0)
	v_add_f32_e32 v0, v0, v1
	;; [unrolled: 7-line block ×5, first 2 shown]
	v_cndmask_b32_e32 v1, v2, v4, vcc
	v_lshlrev_b32_e32 v1, 2, v1
	ds_bpermute_b32 v1, v1, v0
	v_cmp_eq_u32_e32 vcc, 0, v11
	s_and_b64 exec, exec, vcc
	s_cbranch_execz .LBB261_7
; %bb.6:
	s_waitcnt lgkmcnt(0)
	v_add_f32_e32 v0, v0, v1
	s_mul_i32 s0, s8, s2
	v_cvt_f16_f32_e32 v2, v0
	v_add_u32_e32 v0, s0, v10
	v_mov_b32_e32 v1, 0
	v_lshlrev_b64 v[0:1], 1, v[0:1]
	v_mov_b32_e32 v3, s7
	v_add_co_u32_e32 v0, vcc, s6, v0
	v_addc_co_u32_e32 v1, vcc, v3, v1, vcc
	global_store_short v[0:1], v2, off
.LBB261_7:
	s_endpgm
	.section	.rodata,"a",@progbits
	.p2align	6, 0x0
	.amdhsa_kernel _ZL9moe_vec_qIN3c104HalfELi256ELi16E10block_q2_KLi1EXadL_ZL17vec_dot_q2_K_q8_1PKvPK10block_q8_1RKiEEEvS4_S4_PT_PS8_iiii
		.amdhsa_group_segment_fixed_size 0
		.amdhsa_private_segment_fixed_size 0
		.amdhsa_kernarg_size 304
		.amdhsa_user_sgpr_count 6
		.amdhsa_user_sgpr_private_segment_buffer 1
		.amdhsa_user_sgpr_dispatch_ptr 0
		.amdhsa_user_sgpr_queue_ptr 0
		.amdhsa_user_sgpr_kernarg_segment_ptr 1
		.amdhsa_user_sgpr_dispatch_id 0
		.amdhsa_user_sgpr_flat_scratch_init 0
		.amdhsa_user_sgpr_kernarg_preload_length 0
		.amdhsa_user_sgpr_kernarg_preload_offset 0
		.amdhsa_user_sgpr_private_segment_size 0
		.amdhsa_uses_dynamic_stack 0
		.amdhsa_system_sgpr_private_segment_wavefront_offset 0
		.amdhsa_system_sgpr_workgroup_id_x 1
		.amdhsa_system_sgpr_workgroup_id_y 0
		.amdhsa_system_sgpr_workgroup_id_z 1
		.amdhsa_system_sgpr_workgroup_info 0
		.amdhsa_system_vgpr_workitem_id 1
		.amdhsa_next_free_vgpr 46
		.amdhsa_next_free_sgpr 20
		.amdhsa_accum_offset 48
		.amdhsa_reserve_vcc 1
		.amdhsa_reserve_flat_scratch 0
		.amdhsa_float_round_mode_32 0
		.amdhsa_float_round_mode_16_64 0
		.amdhsa_float_denorm_mode_32 3
		.amdhsa_float_denorm_mode_16_64 3
		.amdhsa_dx10_clamp 1
		.amdhsa_ieee_mode 1
		.amdhsa_fp16_overflow 0
		.amdhsa_tg_split 0
		.amdhsa_exception_fp_ieee_invalid_op 0
		.amdhsa_exception_fp_denorm_src 0
		.amdhsa_exception_fp_ieee_div_zero 0
		.amdhsa_exception_fp_ieee_overflow 0
		.amdhsa_exception_fp_ieee_underflow 0
		.amdhsa_exception_fp_ieee_inexact 0
		.amdhsa_exception_int_div_zero 0
	.end_amdhsa_kernel
	.section	.text._ZL9moe_vec_qIN3c104HalfELi256ELi16E10block_q2_KLi1EXadL_ZL17vec_dot_q2_K_q8_1PKvPK10block_q8_1RKiEEEvS4_S4_PT_PS8_iiii,"axG",@progbits,_ZL9moe_vec_qIN3c104HalfELi256ELi16E10block_q2_KLi1EXadL_ZL17vec_dot_q2_K_q8_1PKvPK10block_q8_1RKiEEEvS4_S4_PT_PS8_iiii,comdat
.Lfunc_end261:
	.size	_ZL9moe_vec_qIN3c104HalfELi256ELi16E10block_q2_KLi1EXadL_ZL17vec_dot_q2_K_q8_1PKvPK10block_q8_1RKiEEEvS4_S4_PT_PS8_iiii, .Lfunc_end261-_ZL9moe_vec_qIN3c104HalfELi256ELi16E10block_q2_KLi1EXadL_ZL17vec_dot_q2_K_q8_1PKvPK10block_q8_1RKiEEEvS4_S4_PT_PS8_iiii
                                        ; -- End function
	.section	.AMDGPU.csdata,"",@progbits
; Kernel info:
; codeLenInByte = 1268
; NumSgprs: 24
; NumVgprs: 46
; NumAgprs: 0
; TotalNumVgprs: 46
; ScratchSize: 0
; MemoryBound: 0
; FloatMode: 240
; IeeeMode: 1
; LDSByteSize: 0 bytes/workgroup (compile time only)
; SGPRBlocks: 2
; VGPRBlocks: 5
; NumSGPRsForWavesPerEU: 24
; NumVGPRsForWavesPerEU: 46
; AccumOffset: 48
; Occupancy: 8
; WaveLimiterHint : 1
; COMPUTE_PGM_RSRC2:SCRATCH_EN: 0
; COMPUTE_PGM_RSRC2:USER_SGPR: 6
; COMPUTE_PGM_RSRC2:TRAP_HANDLER: 0
; COMPUTE_PGM_RSRC2:TGID_X_EN: 1
; COMPUTE_PGM_RSRC2:TGID_Y_EN: 0
; COMPUTE_PGM_RSRC2:TGID_Z_EN: 1
; COMPUTE_PGM_RSRC2:TIDIG_COMP_CNT: 1
; COMPUTE_PGM_RSRC3_GFX90A:ACCUM_OFFSET: 11
; COMPUTE_PGM_RSRC3_GFX90A:TG_SPLIT: 0
	.section	.text._ZL9moe_vec_qIN3c104HalfELi256ELi16E10block_q3_KLi1EXadL_ZL17vec_dot_q3_K_q8_1PKvPK10block_q8_1RKiEEEvS4_S4_PT_PS8_iiii,"axG",@progbits,_ZL9moe_vec_qIN3c104HalfELi256ELi16E10block_q3_KLi1EXadL_ZL17vec_dot_q3_K_q8_1PKvPK10block_q8_1RKiEEEvS4_S4_PT_PS8_iiii,comdat
	.globl	_ZL9moe_vec_qIN3c104HalfELi256ELi16E10block_q3_KLi1EXadL_ZL17vec_dot_q3_K_q8_1PKvPK10block_q8_1RKiEEEvS4_S4_PT_PS8_iiii ; -- Begin function _ZL9moe_vec_qIN3c104HalfELi256ELi16E10block_q3_KLi1EXadL_ZL17vec_dot_q3_K_q8_1PKvPK10block_q8_1RKiEEEvS4_S4_PT_PS8_iiii
	.p2align	8
	.type	_ZL9moe_vec_qIN3c104HalfELi256ELi16E10block_q3_KLi1EXadL_ZL17vec_dot_q3_K_q8_1PKvPK10block_q8_1RKiEEEvS4_S4_PT_PS8_iiii,@function
_ZL9moe_vec_qIN3c104HalfELi256ELi16E10block_q3_KLi1EXadL_ZL17vec_dot_q3_K_q8_1PKvPK10block_q8_1RKiEEEvS4_S4_PT_PS8_iiii: ; @_ZL9moe_vec_qIN3c104HalfELi256ELi16E10block_q3_KLi1EXadL_ZL17vec_dot_q3_K_q8_1PKvPK10block_q8_1RKiEEEvS4_S4_PT_PS8_iiii
; %bb.0:
	s_mov_b32 s8, s7
	s_load_dword s7, s[4:5], 0x3c
	s_load_dwordx4 s[0:3], s[4:5], 0x20
	v_bfe_u32 v1, v0, 10, 10
	s_waitcnt lgkmcnt(0)
	s_lshr_b32 s7, s7, 16
	s_mul_i32 s6, s6, s7
	v_add_u32_e32 v26, s6, v1
	v_cmp_gt_u32_e32 vcc, s2, v26
	s_and_saveexec_b64 s[6:7], vcc
	s_cbranch_execz .LBB262_7
; %bb.1:
	v_cvt_f32_u32_e32 v1, s0
	v_and_b32_e32 v27, 0x3ff, v0
	s_load_dwordx2 s[6:7], s[4:5], 0x10
	s_ashr_i32 s9, s1, 31
	v_rcp_iflag_f32_e32 v1, v1
	s_lshr_b32 s9, s9, 24
	s_add_i32 s1, s1, s9
	v_lshrrev_b32_e32 v28, 4, v27
	v_mul_f32_e32 v0, 0x4f7ffffe, v1
	v_cvt_u32_f32_e32 v0, v0
	s_ashr_i32 s14, s1, 8
	v_cmp_gt_u32_e32 vcc, s14, v28
	v_mov_b32_e32 v1, 0
	v_readfirstlane_b32 s1, v0
	s_and_saveexec_b64 s[10:11], vcc
	s_cbranch_execz .LBB262_5
; %bb.2:
	s_sub_i32 s12, 0, s0
	v_and_b32_e32 v3, 15, v27
	s_mul_i32 s15, s12, s1
	s_load_dwordx4 s[16:19], s[4:5], 0x0
	s_load_dwordx2 s[12:13], s[4:5], 0x18
	v_cmp_lt_u32_e32 vcc, 7, v3
	v_cndmask_b32_e64 v0, 0, 1, vcc
	v_lshlrev_b32_e32 v30, 2, v0
	v_add_u32_e32 v0, -8, v3
	v_cmp_gt_u32_e32 vcc, 8, v3
	s_mov_b32 s9, 0
	s_mul_hi_u32 s4, s1, s15
	v_cndmask_b32_e32 v0, v0, v3, vcc
	s_add_i32 s1, s1, s4
	s_lshl_b64 s[4:5], s[8:9], 2
	v_lshlrev_b32_e32 v2, 2, v3
	v_sub_u32_e32 v3, v3, v0
	v_cmp_lt_u32_e32 vcc, 3, v0
	s_waitcnt lgkmcnt(0)
	s_add_u32 s4, s12, s4
	v_addc_co_u32_e32 v16, vcc, 0, v3, vcc
	s_mul_hi_u32 s1, s8, s1
	s_addc_u32 s5, s13, s5
	v_mov_b32_e32 v17, 7
	v_add_u16_e32 v10, 2, v16
	s_load_dword s4, s[4:5], 0x0
	s_mul_i32 s5, s1, s0
	v_mov_b32_e32 v18, 5
	v_mov_b32_e32 v21, 6
	v_lshrrev_b16_sdwa v11, v17, sext(v10) dst_sel:DWORD dst_unused:UNUSED_PAD src0_sel:DWORD src1_sel:BYTE_0
	s_sub_i32 s5, s8, s5
	v_lshrrev_b16_sdwa v8, v18, v11 dst_sel:DWORD dst_unused:UNUSED_PAD src0_sel:DWORD src1_sel:BYTE_0
	v_lshrrev_b16_sdwa v11, v21, v11 dst_sel:DWORD dst_unused:UNUSED_PAD src0_sel:DWORD src1_sel:BYTE_0
	s_add_i32 s12, s1, 1
	s_sub_i32 s13, s5, s0
	v_mov_b32_e32 v20, 2
	v_add_u16_e32 v11, v10, v11
	v_add_u16_e32 v14, 4, v16
	s_cmp_ge_u32 s5, s0
	v_mov_b32_e32 v22, 1
	v_ashrrev_i16_sdwa v12, v20, sext(v11) dst_sel:DWORD dst_unused:UNUSED_PAD src0_sel:DWORD src1_sel:BYTE_0
	v_lshrrev_b16_sdwa v15, v17, sext(v14) dst_sel:DWORD dst_unused:UNUSED_PAD src0_sel:DWORD src1_sel:BYTE_0
	s_cselect_b32 s1, s12, s1
	v_lshlrev_b32_sdwa v34, v22, sext(v12) dst_sel:DWORD dst_unused:UNUSED_PAD src0_sel:DWORD src1_sel:WORD_0
	v_lshrrev_b16_sdwa v12, v18, v15 dst_sel:DWORD dst_unused:UNUSED_PAD src0_sel:DWORD src1_sel:BYTE_0
	v_lshrrev_b16_sdwa v15, v21, v15 dst_sel:DWORD dst_unused:UNUSED_PAD src0_sel:DWORD src1_sel:BYTE_0
	s_cselect_b32 s5, s13, s5
	s_add_i32 s12, s1, 1
	v_mov_b32_e32 v1, 0
	v_lshrrev_b16_sdwa v6, v17, sext(v16) dst_sel:DWORD dst_unused:UNUSED_PAD src0_sel:DWORD src1_sel:BYTE_0
	v_add_u16_e32 v15, v14, v15
	s_cmp_ge_u32 s5, s0
	v_lshlrev_b64 v[4:5], 2, v[0:1]
	v_lshrrev_b16_sdwa v0, v18, v6 dst_sel:DWORD dst_unused:UNUSED_PAD src0_sel:DWORD src1_sel:BYTE_0
	v_lshrrev_b16_sdwa v6, v21, v6 dst_sel:DWORD dst_unused:UNUSED_PAD src0_sel:DWORD src1_sel:BYTE_0
	v_lshrrev_b16_sdwa v23, v20, sext(v15) dst_sel:DWORD dst_unused:UNUSED_PAD src0_sel:DWORD src1_sel:BYTE_0
	s_cselect_b32 s0, s12, s1
	s_mul_i32 s1, s14, s2
	v_add_u16_e32 v0, v16, v0
	v_mov_b32_e32 v19, 3
	v_add_u16_e32 v6, v16, v6
	v_lshlrev_b32_sdwa v36, v22, v23 dst_sel:DWORD dst_unused:UNUSED_PAD src0_sel:DWORD src1_sel:BYTE_0
	v_add_u16_e32 v23, 6, v16
	s_waitcnt lgkmcnt(0)
	s_mul_i32 s1, s1, s4
	v_lshrrev_b16_sdwa v3, v19, sext(v0) dst_sel:DWORD dst_unused:UNUSED_PAD src0_sel:DWORD src1_sel:BYTE_0
	v_and_b32_e32 v0, 0xf8, v0
	v_ashrrev_i16_sdwa v7, v20, sext(v6) dst_sel:DWORD dst_unused:UNUSED_PAD src0_sel:DWORD src1_sel:BYTE_0
	v_and_b32_e32 v6, 0xfc, v6
	v_lshrrev_b16_sdwa v24, v17, sext(v23) dst_sel:DWORD dst_unused:UNUSED_PAD src0_sel:DWORD src1_sel:BYTE_0
	s_mul_hi_i32 s5, s1, 0x6e
	s_mulk_i32 s1, 0x6e
	v_sub_u16_e32 v0, v16, v0
	v_sub_u16_e32 v6, v16, v6
	v_lshrrev_b16_sdwa v16, v18, v24 dst_sel:DWORD dst_unused:UNUSED_PAD src0_sel:DWORD src1_sel:BYTE_0
	v_lshrrev_b16_sdwa v18, v21, v24 dst_sel:DWORD dst_unused:UNUSED_PAD src0_sel:DWORD src1_sel:BYTE_0
	s_add_u32 s4, s16, s1
	s_mul_i32 s0, s0, s3
	s_mov_b32 s1, s9
	v_add_u16_e32 v8, v10, v8
	v_add_u16_e32 v12, v14, v12
	;; [unrolled: 1-line block ×4, first 2 shown]
	s_addc_u32 s5, s17, s5
	s_lshl_b64 s[0:1], s[0:1], 2
	v_lshrrev_b16_sdwa v9, v19, sext(v8) dst_sel:DWORD dst_unused:UNUSED_PAD src0_sel:DWORD src1_sel:BYTE_0
	v_and_b32_e32 v8, 0xf8, v8
	v_and_b32_e32 v11, 0xfc, v11
	v_lshrrev_b16_sdwa v13, v19, sext(v12) dst_sel:DWORD dst_unused:UNUSED_PAD src0_sel:DWORD src1_sel:BYTE_0
	v_and_b32_e32 v12, 0xf8, v12
	v_and_b32_e32 v15, 0xfc, v15
	v_lshrrev_b16_sdwa v17, v19, sext(v16) dst_sel:DWORD dst_unused:UNUSED_PAD src0_sel:DWORD src1_sel:BYTE_0
	v_and_b32_e32 v16, 0xf8, v16
	v_lshrrev_b16_sdwa v19, v20, sext(v18) dst_sel:DWORD dst_unused:UNUSED_PAD src0_sel:DWORD src1_sel:BYTE_0
	v_and_b32_e32 v18, 0xfc, v18
	s_add_u32 s0, s18, s0
	v_sub_u16_e32 v8, v10, v8
	v_sub_u16_e32 v10, v10, v11
	;; [unrolled: 1-line block ×6, first 2 shown]
	s_addc_u32 s1, s19, s1
	v_bfe_i32 v0, v0, 0, 8
	v_bfe_i32 v6, v6, 0, 8
	;; [unrolled: 1-line block ×8, first 2 shown]
	s_movk_i32 s15, 0x6e
	v_mul_lo_u32 v29, v26, s14
	v_lshlrev_b32_sdwa v31, v20, v3 dst_sel:DWORD dst_unused:UNUSED_PAD src0_sel:DWORD src1_sel:BYTE_0
	v_ashrrev_i32_e32 v3, 31, v0
	v_lshlrev_b32_sdwa v32, v22, sext(v7) dst_sel:DWORD dst_unused:UNUSED_PAD src0_sel:DWORD src1_sel:WORD_0
	v_ashrrev_i32_e32 v7, 31, v6
	v_lshlrev_b32_sdwa v33, v20, v9 dst_sel:DWORD dst_unused:UNUSED_PAD src0_sel:DWORD src1_sel:BYTE_0
	v_ashrrev_i32_e32 v9, 31, v8
	v_ashrrev_i32_e32 v11, 31, v10
	v_lshlrev_b32_sdwa v35, v20, v13 dst_sel:DWORD dst_unused:UNUSED_PAD src0_sel:DWORD src1_sel:BYTE_0
	v_ashrrev_i32_e32 v13, 31, v12
	;; [unrolled: 3-line block ×3, first 2 shown]
	v_lshlrev_b32_sdwa v38, v22, v19 dst_sel:DWORD dst_unused:UNUSED_PAD src0_sel:DWORD src1_sel:BYTE_0
	v_ashrrev_i32_e32 v19, 31, v18
	v_mad_u64_u32 v[20:21], s[0:1], v30, 36, s[0:1]
	v_lshlrev_b32_e32 v39, 3, v28
	s_mov_b64 s[12:13], 0
	s_movk_i32 s3, 0x48
	s_movk_i32 s9, 0x6c
.LBB262_3:                              ; =>This Inner Loop Header: Depth=1
	v_add_u32_e32 v40, v29, v28
	v_pk_mov_b32 v[24:25], s[4:5], s[4:5] op_sel:[0,1]
	v_mad_i64_i32 v[22:23], s[0:1], v39, 36, v[20:21]
	v_mad_i64_i32 v[24:25], s[0:1], v40, s15, v[24:25]
	v_add_co_u32_e32 v40, vcc, s3, v22
	v_addc_co_u32_e32 v41, vcc, 0, v23, vcc
	v_add_co_u32_e32 v42, vcc, s9, v22
	v_addc_co_u32_e32 v43, vcc, 0, v23, vcc
	;; [unrolled: 2-line block ×4, first 2 shown]
	global_load_dword v46, v[44:45], off
	v_add_co_u32_e32 v44, vcc, v24, v2
	v_add_co_u32_e64 v40, s[0:1], v40, v4
	v_addc_co_u32_e32 v45, vcc, 0, v25, vcc
	v_addc_co_u32_e64 v41, s[0:1], v41, v5, s[0:1]
	global_load_dword v47, v[44:45], off offset:32
	global_load_dword v48, v[40:41], off offset:4
	global_load_dword v49, v[42:43], off offset:4
	v_mov_b32_e32 v56, 0
	v_mov_b32_e32 v57, 0
	;; [unrolled: 1-line block ×4, first 2 shown]
	v_add_u32_e32 v28, 4, v28
	v_add_u32_e32 v39, 32, v39
	global_load_dword v58, v[22:23], off offset:108
	s_waitcnt vmcnt(4)
	v_ashrrev_i32_e32 v40, v30, v46
	v_not_b32_e32 v42, v40
	v_and_b32_e32 v43, 0x4040404, v42
	s_waitcnt vmcnt(3)
	v_lshrrev_b32_e32 v40, 4, v47
	v_and_b32_e32 v41, 0x3030303, v40
	v_bfe_u32 v40, v40, 24, 2
	v_sub_u16_sdwa v40, v40, v43 dst_sel:BYTE_1 dst_unused:UNUSED_PAD src0_sel:DWORD src1_sel:BYTE_3
	v_sub_u16_e32 v44, v41, v43
	v_sub_u16_sdwa v45, v41, v43 dst_sel:BYTE_1 dst_unused:UNUSED_PAD src0_sel:BYTE_1 src1_sel:BYTE_1
	v_sub_u16_sdwa v41, v41, v43 dst_sel:DWORD dst_unused:UNUSED_PAD src0_sel:WORD_1 src1_sel:WORD_1
	v_or_b32_sdwa v43, v44, v45 dst_sel:DWORD dst_unused:UNUSED_PAD src0_sel:BYTE_0 src1_sel:DWORD
	v_or_b32_sdwa v40, v41, v40 dst_sel:WORD_1 dst_unused:UNUSED_PAD src0_sel:BYTE_0 src1_sel:DWORD
	v_or_b32_sdwa v40, v43, v40 dst_sel:DWORD dst_unused:UNUSED_PAD src0_sel:WORD_0 src1_sel:DWORD
	s_waitcnt vmcnt(2)
	v_dot4c_i32_i8_e32 v56, v40, v48
	v_add_co_u32_e32 v40, vcc, v22, v4
	v_addc_co_u32_e32 v41, vcc, v23, v5, vcc
	global_load_dword v43, v[40:41], off offset:4
	v_add_co_u32_e32 v40, vcc, 36, v22
	v_addc_co_u32_e32 v41, vcc, 0, v23, vcc
	v_add_co_u32_e32 v40, vcc, v40, v4
	v_addc_co_u32_e32 v41, vcc, v41, v5, vcc
	global_load_dword v40, v[40:41], off offset:4
	v_lshlrev_b32_e32 v41, 2, v42
	v_and_b32_e32 v41, 0x4040404, v41
	v_bfe_u32 v44, v47, 24, 2
	v_and_b32_e32 v45, 0x3030303, v47
	v_sub_u16_sdwa v44, v44, v41 dst_sel:BYTE_1 dst_unused:UNUSED_PAD src0_sel:DWORD src1_sel:BYTE_3
	v_sub_u16_e32 v46, v45, v41
	v_sub_u16_sdwa v48, v45, v41 dst_sel:BYTE_1 dst_unused:UNUSED_PAD src0_sel:BYTE_1 src1_sel:BYTE_1
	v_sub_u16_sdwa v41, v45, v41 dst_sel:DWORD dst_unused:UNUSED_PAD src0_sel:WORD_1 src1_sel:WORD_1
	v_or_b32_sdwa v45, v46, v48 dst_sel:DWORD dst_unused:UNUSED_PAD src0_sel:BYTE_0 src1_sel:DWORD
	v_or_b32_sdwa v41, v41, v44 dst_sel:WORD_1 dst_unused:UNUSED_PAD src0_sel:BYTE_0 src1_sel:DWORD
	v_or_b32_sdwa v41, v45, v41 dst_sel:DWORD dst_unused:UNUSED_PAD src0_sel:WORD_0 src1_sel:DWORD
	v_lshlrev_b32_e32 v44, 1, v42
	v_and_b32_e32 v44, 0x4040404, v44
	v_lshrrev_b32_e32 v42, 1, v42
	v_and_b32_e32 v42, 0x4040404, v42
	s_waitcnt vmcnt(1)
	v_dot4c_i32_i8_e32 v57, v41, v43
	v_lshrrev_b32_e32 v41, 2, v47
	v_and_b32_e32 v43, 0x3030303, v41
	v_bfe_u32 v41, v41, 24, 2
	v_sub_u16_sdwa v41, v41, v44 dst_sel:BYTE_1 dst_unused:UNUSED_PAD src0_sel:DWORD src1_sel:BYTE_3
	v_sub_u16_e32 v45, v43, v44
	v_sub_u16_sdwa v46, v43, v44 dst_sel:BYTE_1 dst_unused:UNUSED_PAD src0_sel:BYTE_1 src1_sel:BYTE_1
	v_sub_u16_sdwa v43, v43, v44 dst_sel:DWORD dst_unused:UNUSED_PAD src0_sel:WORD_1 src1_sel:WORD_1
	v_or_b32_sdwa v44, v45, v46 dst_sel:DWORD dst_unused:UNUSED_PAD src0_sel:BYTE_0 src1_sel:DWORD
	v_or_b32_sdwa v41, v43, v41 dst_sel:WORD_1 dst_unused:UNUSED_PAD src0_sel:BYTE_0 src1_sel:DWORD
	v_or_b32_sdwa v41, v44, v41 dst_sel:DWORD dst_unused:UNUSED_PAD src0_sel:WORD_0 src1_sel:DWORD
	s_waitcnt vmcnt(0)
	v_dot4c_i32_i8_e32 v59, v41, v40
	v_lshrrev_b32_e32 v40, 6, v47
	v_lshrrev_b32_e32 v41, 30, v47
	v_and_b32_e32 v40, 0x3030303, v40
	v_sub_u16_sdwa v41, v41, v42 dst_sel:BYTE_1 dst_unused:UNUSED_PAD src0_sel:DWORD src1_sel:BYTE_3
	v_sub_u16_e32 v43, v40, v42
	v_sub_u16_sdwa v44, v40, v42 dst_sel:BYTE_1 dst_unused:UNUSED_PAD src0_sel:BYTE_1 src1_sel:BYTE_1
	v_sub_u16_sdwa v40, v40, v42 dst_sel:DWORD dst_unused:UNUSED_PAD src0_sel:WORD_1 src1_sel:WORD_1
	v_or_b32_sdwa v42, v43, v44 dst_sel:DWORD dst_unused:UNUSED_PAD src0_sel:BYTE_0 src1_sel:DWORD
	v_or_b32_sdwa v40, v40, v41 dst_sel:WORD_1 dst_unused:UNUSED_PAD src0_sel:BYTE_0 src1_sel:DWORD
	v_or_b32_sdwa v40, v42, v40 dst_sel:DWORD dst_unused:UNUSED_PAD src0_sel:WORD_0 src1_sel:DWORD
	v_dot4c_i32_i8_e32 v60, v40, v49
	v_add_co_u32_e32 v40, vcc, v24, v0
	v_addc_co_u32_e32 v41, vcc, v25, v3, vcc
	v_add_co_u32_e32 v42, vcc, v24, v6
	v_addc_co_u32_e32 v43, vcc, v25, v7, vcc
	;; [unrolled: 2-line block ×8, first 2 shown]
	global_load_ushort v61, v[24:25], off offset:108
	global_load_ubyte v62, v[40:41], off offset:96
	global_load_ubyte v63, v[42:43], off offset:104
                                        ; kill: killed $vgpr40 killed $vgpr41
                                        ; kill: killed $vgpr24 killed $vgpr25
                                        ; kill: killed $vgpr42 killed $vgpr43
	s_nop 0
	global_load_ubyte v24, v[44:45], off offset:96
	global_load_ubyte v25, v[46:47], off offset:104
	;; [unrolled: 1-line block ×6, first 2 shown]
                                        ; kill: killed $vgpr48 killed $vgpr49
                                        ; kill: killed $vgpr46 killed $vgpr47
                                        ; kill: killed $vgpr50 killed $vgpr51
                                        ; kill: killed $vgpr52 killed $vgpr53
                                        ; kill: killed $vgpr54 killed $vgpr55
                                        ; kill: killed $vgpr44 killed $vgpr45
	global_load_dword v44, v[22:23], off
	global_load_dword v45, v[22:23], off offset:36
	global_load_dword v46, v[22:23], off offset:72
	v_cmp_le_u32_e32 vcc, s14, v28
	s_or_b64 s[12:13], vcc, s[12:13]
	s_waitcnt vmcnt(10)
	v_bfe_u32 v22, v62, v31, 4
	s_waitcnt vmcnt(9)
	v_lshrrev_b32_e32 v23, v32, v63
	v_lshlrev_b32_e32 v23, 4, v23
	v_and_or_b32 v22, v23, 48, v22
	v_subrev_u32_e32 v22, 32, v22
	s_waitcnt vmcnt(8)
	v_bfe_u32 v23, v24, v33, 4
	s_waitcnt vmcnt(7)
	v_lshrrev_b32_e32 v24, v34, v25
	v_lshlrev_b32_e32 v24, 4, v24
	s_waitcnt vmcnt(5)
	v_lshrrev_b32_e32 v25, v36, v41
	v_and_or_b32 v23, v24, 48, v23
	v_bfe_u32 v24, v40, v35, 4
	v_lshlrev_b32_e32 v25, 4, v25
	s_waitcnt vmcnt(3)
	v_lshrrev_b32_e32 v40, v38, v43
	v_and_or_b32 v24, v25, 48, v24
	v_bfe_u32 v25, v42, v37, 4
	v_lshlrev_b32_e32 v40, 4, v40
	v_mul_lo_u32 v22, v22, v57
	v_subrev_u32_e32 v23, 32, v23
	v_and_or_b32 v25, v40, 48, v25
	v_subrev_u32_e32 v24, 32, v24
	v_mul_lo_u32 v23, v23, v59
	v_cvt_f32_i32_e32 v22, v22
	v_mul_lo_u32 v24, v24, v56
	v_subrev_u32_e32 v25, 32, v25
	v_cvt_f32_i32_e32 v23, v23
	v_mul_lo_u32 v25, v25, v60
	v_cvt_f32_i32_e32 v24, v24
	v_cvt_f32_i32_e32 v25, v25
	s_waitcnt vmcnt(2)
	v_fma_mix_f32 v22, v44, v22, 0 op_sel_hi:[1,0,0]
	s_waitcnt vmcnt(1)
	v_fma_mix_f32 v22, v45, v23, v22 op_sel_hi:[1,0,0]
	;; [unrolled: 2-line block ×3, first 2 shown]
	v_fma_mix_f32 v22, v58, v25, v22 op_sel_hi:[1,0,0]
	v_fma_mix_f32 v1, v22, v61, v1 op_sel_hi:[0,1,0]
	s_andn2_b64 exec, exec, s[12:13]
	s_cbranch_execnz .LBB262_3
; %bb.4:
	s_or_b64 exec, exec, s[12:13]
.LBB262_5:
	s_or_b64 exec, exec, s[10:11]
	v_mbcnt_lo_u32_b32 v0, -1, 0
	v_mbcnt_hi_u32_b32 v2, -1, v0
	v_and_b32_e32 v0, 64, v2
	v_add_u32_e32 v3, 64, v0
	v_xor_b32_e32 v0, 32, v2
	v_cmp_lt_i32_e32 vcc, v0, v3
	v_cndmask_b32_e32 v0, v2, v0, vcc
	v_lshlrev_b32_e32 v0, 2, v0
	ds_bpermute_b32 v0, v0, v1
	v_xor_b32_e32 v4, 16, v2
	v_cmp_lt_i32_e32 vcc, v4, v3
	s_waitcnt lgkmcnt(0)
	v_add_f32_e32 v0, v1, v0
	v_cndmask_b32_e32 v1, v2, v4, vcc
	v_lshlrev_b32_e32 v1, 2, v1
	ds_bpermute_b32 v1, v1, v0
	v_xor_b32_e32 v4, 8, v2
	v_cmp_lt_i32_e32 vcc, v4, v3
	s_waitcnt lgkmcnt(0)
	v_add_f32_e32 v0, v0, v1
	;; [unrolled: 7-line block ×5, first 2 shown]
	v_cndmask_b32_e32 v1, v2, v4, vcc
	v_lshlrev_b32_e32 v1, 2, v1
	ds_bpermute_b32 v1, v1, v0
	v_cmp_eq_u32_e32 vcc, 0, v27
	s_and_b64 exec, exec, vcc
	s_cbranch_execz .LBB262_7
; %bb.6:
	s_waitcnt lgkmcnt(0)
	v_add_f32_e32 v0, v0, v1
	s_mul_i32 s0, s8, s2
	v_cvt_f16_f32_e32 v2, v0
	v_add_u32_e32 v0, s0, v26
	v_mov_b32_e32 v1, 0
	v_lshlrev_b64 v[0:1], 1, v[0:1]
	v_mov_b32_e32 v3, s7
	v_add_co_u32_e32 v0, vcc, s6, v0
	v_addc_co_u32_e32 v1, vcc, v3, v1, vcc
	global_store_short v[0:1], v2, off
.LBB262_7:
	s_endpgm
	.section	.rodata,"a",@progbits
	.p2align	6, 0x0
	.amdhsa_kernel _ZL9moe_vec_qIN3c104HalfELi256ELi16E10block_q3_KLi1EXadL_ZL17vec_dot_q3_K_q8_1PKvPK10block_q8_1RKiEEEvS4_S4_PT_PS8_iiii
		.amdhsa_group_segment_fixed_size 0
		.amdhsa_private_segment_fixed_size 0
		.amdhsa_kernarg_size 304
		.amdhsa_user_sgpr_count 6
		.amdhsa_user_sgpr_private_segment_buffer 1
		.amdhsa_user_sgpr_dispatch_ptr 0
		.amdhsa_user_sgpr_queue_ptr 0
		.amdhsa_user_sgpr_kernarg_segment_ptr 1
		.amdhsa_user_sgpr_dispatch_id 0
		.amdhsa_user_sgpr_flat_scratch_init 0
		.amdhsa_user_sgpr_kernarg_preload_length 0
		.amdhsa_user_sgpr_kernarg_preload_offset 0
		.amdhsa_user_sgpr_private_segment_size 0
		.amdhsa_uses_dynamic_stack 0
		.amdhsa_system_sgpr_private_segment_wavefront_offset 0
		.amdhsa_system_sgpr_workgroup_id_x 1
		.amdhsa_system_sgpr_workgroup_id_y 0
		.amdhsa_system_sgpr_workgroup_id_z 1
		.amdhsa_system_sgpr_workgroup_info 0
		.amdhsa_system_vgpr_workitem_id 1
		.amdhsa_next_free_vgpr 64
		.amdhsa_next_free_sgpr 20
		.amdhsa_accum_offset 64
		.amdhsa_reserve_vcc 1
		.amdhsa_reserve_flat_scratch 0
		.amdhsa_float_round_mode_32 0
		.amdhsa_float_round_mode_16_64 0
		.amdhsa_float_denorm_mode_32 3
		.amdhsa_float_denorm_mode_16_64 3
		.amdhsa_dx10_clamp 1
		.amdhsa_ieee_mode 1
		.amdhsa_fp16_overflow 0
		.amdhsa_tg_split 0
		.amdhsa_exception_fp_ieee_invalid_op 0
		.amdhsa_exception_fp_denorm_src 0
		.amdhsa_exception_fp_ieee_div_zero 0
		.amdhsa_exception_fp_ieee_overflow 0
		.amdhsa_exception_fp_ieee_underflow 0
		.amdhsa_exception_fp_ieee_inexact 0
		.amdhsa_exception_int_div_zero 0
	.end_amdhsa_kernel
	.section	.text._ZL9moe_vec_qIN3c104HalfELi256ELi16E10block_q3_KLi1EXadL_ZL17vec_dot_q3_K_q8_1PKvPK10block_q8_1RKiEEEvS4_S4_PT_PS8_iiii,"axG",@progbits,_ZL9moe_vec_qIN3c104HalfELi256ELi16E10block_q3_KLi1EXadL_ZL17vec_dot_q3_K_q8_1PKvPK10block_q8_1RKiEEEvS4_S4_PT_PS8_iiii,comdat
.Lfunc_end262:
	.size	_ZL9moe_vec_qIN3c104HalfELi256ELi16E10block_q3_KLi1EXadL_ZL17vec_dot_q3_K_q8_1PKvPK10block_q8_1RKiEEEvS4_S4_PT_PS8_iiii, .Lfunc_end262-_ZL9moe_vec_qIN3c104HalfELi256ELi16E10block_q3_KLi1EXadL_ZL17vec_dot_q3_K_q8_1PKvPK10block_q8_1RKiEEEvS4_S4_PT_PS8_iiii
                                        ; -- End function
	.section	.AMDGPU.csdata,"",@progbits
; Kernel info:
; codeLenInByte = 2124
; NumSgprs: 24
; NumVgprs: 64
; NumAgprs: 0
; TotalNumVgprs: 64
; ScratchSize: 0
; MemoryBound: 0
; FloatMode: 240
; IeeeMode: 1
; LDSByteSize: 0 bytes/workgroup (compile time only)
; SGPRBlocks: 2
; VGPRBlocks: 7
; NumSGPRsForWavesPerEU: 24
; NumVGPRsForWavesPerEU: 64
; AccumOffset: 64
; Occupancy: 8
; WaveLimiterHint : 1
; COMPUTE_PGM_RSRC2:SCRATCH_EN: 0
; COMPUTE_PGM_RSRC2:USER_SGPR: 6
; COMPUTE_PGM_RSRC2:TRAP_HANDLER: 0
; COMPUTE_PGM_RSRC2:TGID_X_EN: 1
; COMPUTE_PGM_RSRC2:TGID_Y_EN: 0
; COMPUTE_PGM_RSRC2:TGID_Z_EN: 1
; COMPUTE_PGM_RSRC2:TIDIG_COMP_CNT: 1
; COMPUTE_PGM_RSRC3_GFX90A:ACCUM_OFFSET: 15
; COMPUTE_PGM_RSRC3_GFX90A:TG_SPLIT: 0
	.section	.text._ZL9moe_vec_qIN3c104HalfELi256ELi32E10block_q4_KLi2EXadL_ZL17vec_dot_q4_K_q8_1PKvPK10block_q8_1RKiEEEvS4_S4_PT_PS8_iiii,"axG",@progbits,_ZL9moe_vec_qIN3c104HalfELi256ELi32E10block_q4_KLi2EXadL_ZL17vec_dot_q4_K_q8_1PKvPK10block_q8_1RKiEEEvS4_S4_PT_PS8_iiii,comdat
	.globl	_ZL9moe_vec_qIN3c104HalfELi256ELi32E10block_q4_KLi2EXadL_ZL17vec_dot_q4_K_q8_1PKvPK10block_q8_1RKiEEEvS4_S4_PT_PS8_iiii ; -- Begin function _ZL9moe_vec_qIN3c104HalfELi256ELi32E10block_q4_KLi2EXadL_ZL17vec_dot_q4_K_q8_1PKvPK10block_q8_1RKiEEEvS4_S4_PT_PS8_iiii
	.p2align	8
	.type	_ZL9moe_vec_qIN3c104HalfELi256ELi32E10block_q4_KLi2EXadL_ZL17vec_dot_q4_K_q8_1PKvPK10block_q8_1RKiEEEvS4_S4_PT_PS8_iiii,@function
_ZL9moe_vec_qIN3c104HalfELi256ELi32E10block_q4_KLi2EXadL_ZL17vec_dot_q4_K_q8_1PKvPK10block_q8_1RKiEEEvS4_S4_PT_PS8_iiii: ; @_ZL9moe_vec_qIN3c104HalfELi256ELi32E10block_q4_KLi2EXadL_ZL17vec_dot_q4_K_q8_1PKvPK10block_q8_1RKiEEEvS4_S4_PT_PS8_iiii
; %bb.0:
	s_mov_b32 s8, s7
	s_load_dword s7, s[4:5], 0x3c
	s_load_dwordx4 s[0:3], s[4:5], 0x20
	v_bfe_u32 v1, v0, 10, 10
	s_waitcnt lgkmcnt(0)
	s_lshr_b32 s7, s7, 16
	s_mul_i32 s6, s6, s7
	v_add_u32_e32 v1, s6, v1
	v_cmp_gt_u32_e32 vcc, s2, v1
	s_and_saveexec_b64 s[6:7], vcc
	s_cbranch_execz .LBB263_11
; %bb.1:
	s_load_dwordx2 s[6:7], s[4:5], 0x10
	s_ashr_i32 s9, s1, 31
	s_lshr_b32 s9, s9, 24
	s_add_i32 s1, s1, s9
	v_and_b32_e32 v3, 0x3ff, v0
	s_ashr_i32 s12, s1, 8
	v_lshrrev_b32_e32 v12, 4, v3
	v_cmp_gt_u32_e32 vcc, s12, v12
	v_mov_b32_e32 v13, 0
	s_and_saveexec_b64 s[10:11], vcc
	s_cbranch_execz .LBB263_9
; %bb.2:
	s_load_dwordx2 s[14:15], s[4:5], 0x18
	v_cvt_f32_u32_e32 v0, s0
	s_mov_b32 s9, 0
	s_lshl_b64 s[16:17], s[8:9], 2
	v_and_b32_e32 v10, 3, v3
	s_waitcnt lgkmcnt(0)
	s_add_u32 s14, s14, s16
	v_rcp_iflag_f32_e32 v0, v0
	s_addc_u32 s15, s15, s17
	s_load_dword s1, s[14:15], 0x0
	s_load_dwordx4 s[16:19], s[4:5], 0x0
	s_mul_i32 s4, s12, s2
	v_mul_f32_e32 v0, 0x4f7ffffe, v0
	v_cvt_u32_f32_e32 v0, v0
	s_waitcnt lgkmcnt(0)
	s_mul_i32 s1, s4, s1
	s_mul_hi_i32 s4, s1, 0x90
	s_mulk_i32 s1, 0x90
	s_add_u32 s14, s16, s1
	s_addc_u32 s15, s17, s4
	s_sub_i32 s1, 0, s0
	v_readfirstlane_b32 s4, v0
	s_mul_i32 s1, s1, s4
	s_mul_hi_u32 s1, s4, s1
	s_add_i32 s4, s4, s1
	s_mul_hi_u32 s1, s8, s4
	s_mul_i32 s4, s1, s0
	s_sub_i32 s4, s8, s4
	s_add_i32 s5, s1, 1
	s_sub_i32 s16, s4, s0
	s_cmp_ge_u32 s4, s0
	s_cselect_b32 s1, s5, s1
	s_cselect_b32 s4, s16, s4
	s_add_i32 s5, s1, 1
	s_cmp_ge_u32 s4, s0
	s_cselect_b32 s0, s5, s1
	s_mul_i32 s0, s0, s3
	s_mov_b32 s1, s9
	s_lshl_b64 s[0:1], s[0:1], 2
	v_lshlrev_b32_e32 v0, 1, v3
	s_add_u32 s0, s18, s0
	v_and_b32_e32 v4, 30, v0
	v_bfe_u32 v8, v0, 3, 2
	s_addc_u32 s1, s19, s1
	v_cmp_lt_u32_e32 vcc, 15, v4
	v_lshlrev_b32_e32 v4, 1, v8
	s_movk_i32 s13, 0x90
	v_mul_lo_u32 v14, v1, s12
	v_lshlrev_b32_e32 v0, 5, v8
	v_mov_b32_e32 v13, 0
	v_lshlrev_b32_e32 v2, 2, v10
	v_mad_u64_u32 v[4:5], s[0:1], v4, 36, s[0:1]
	v_lshlrev_b32_e32 v15, 3, v12
	s_mov_b64 s[4:5], 0
	v_pk_mov_b32 v[6:7], s[14:15], s[14:15] op_sel:[0,1]
	v_lshlrev_b32_e32 v16, 1, v8
	s_mov_b32 s3, 0x5040100
	s_mov_b32 s9, 0x30303030
	v_lshlrev_b32_e32 v17, 2, v10
	s_branch .LBB263_4
.LBB263_3:                              ;   in Loop: Header=BB263_4 Depth=1
	s_or_b64 exec, exec, s[0:1]
	v_mad_i64_i32 v[10:11], s[0:1], v15, 36, v[4:5]
	v_add_co_u32_e64 v22, s[0:1], v10, v17
	global_load_dword v21, v[10:11], off
	v_addc_co_u32_e64 v23, s[0:1], 0, v11, s[0:1]
	global_load_dword v24, v[8:9], off
	global_load_dword v25, v[22:23], off offset:20
	global_load_dword v26, v[22:23], off offset:40
	;; [unrolled: 1-line block ×5, first 2 shown]
	s_waitcnt vmcnt(8)
	v_and_b32_e32 v11, 0xf0f0f0f, v19
	v_mov_b32_e32 v23, 0
	v_mov_b32_e32 v30, 0
	v_lshrrev_b32_e32 v10, 4, v19
	v_pk_lshrrev_b16 v8, 8, v20 op_sel_hi:[0,1]
	s_waitcnt vmcnt(7)
	v_and_b32_e32 v22, 0xf0f0f0f, v18
	v_and_b32_e32 v9, 0xff00ff, v20
	v_lshrrev_b32_e32 v18, 4, v18
	v_mov_b32_e32 v19, 0
	v_mov_b32_e32 v20, 0
	v_and_b32_e32 v31, 0xf0f0f0f, v10
	v_and_b32_e32 v32, 0xf0f0f0f, v18
	v_lshrrev_b32_e32 v34, 16, v9
	v_and_b32_e32 v35, 0xff, v9
	v_lshrrev_b32_e32 v33, 16, v8
	v_and_b32_e32 v8, 0xff, v8
	v_add_u32_e32 v12, 4, v12
	v_cmp_le_u32_e64 s[0:1], s12, v12
	s_or_b64 s[4:5], s[0:1], s[4:5]
	v_add_u32_e32 v15, 32, v15
	s_waitcnt vmcnt(5)
	v_cvt_f32_f16_sdwa v9, v24 dst_sel:DWORD dst_unused:UNUSED_PAD src0_sel:WORD_1
	s_waitcnt vmcnt(3)
	v_dot4c_i32_i8_e32 v19, v31, v26
	v_dot4c_i32_i8_e32 v20, 0x1010101, v26
	v_cvt_f32_f16_e32 v10, v21
	s_waitcnt vmcnt(0)
	v_dot4c_i32_i8_e32 v23, v11, v29
	v_dot4c_i32_i8_e32 v30, 0x1010101, v29
	;; [unrolled: 1-line block ×6, first 2 shown]
	v_mul_lo_u32 v11, v23, v35
	v_mul_lo_u32 v21, v30, v34
	;; [unrolled: 1-line block ×4, first 2 shown]
	v_cvt_f32_i32_e32 v21, v21
	v_cvt_f32_i32_e32 v20, v11
	v_cvt_f32_f16_e32 v18, v28
	v_cvt_f32_i32_e32 v23, v19
	v_cvt_f32_i32_e32 v22, v8
	v_cvt_f32_f16_e32 v8, v24
	v_pk_fma_f32 v[10:11], v[10:11], v[20:21], 0 op_sel_hi:[0,1,0]
	v_pk_fma_f32 v[10:11], v[18:19], v[22:23], v[10:11] op_sel_hi:[0,1,1]
	v_pk_mul_f32 v[8:9], v[10:11], v[8:9]
	v_sub_f32_e32 v8, v8, v9
	v_add_f32_e32 v13, v13, v8
	s_andn2_b64 exec, exec, s[4:5]
	s_cbranch_execz .LBB263_8
.LBB263_4:                              ; =>This Inner Loop Header: Depth=1
	v_add_u32_e32 v8, v14, v12
	v_mad_i64_i32 v[8:9], s[0:1], v8, s13, v[6:7]
	v_add_co_u32_e64 v10, s[0:1], v8, v0
	v_addc_co_u32_e64 v11, s[0:1], 0, v9, s[0:1]
	v_add_co_u32_e64 v10, s[0:1], v10, v2
	v_addc_co_u32_e64 v11, s[0:1], 0, v11, s[0:1]
	global_load_dword v19, v[10:11], off offset:16
	global_load_dword v18, v[10:11], off offset:32
	v_add_co_u32_e64 v10, s[0:1], v8, v16
	v_addc_co_u32_e64 v11, s[0:1], 0, v9, s[0:1]
                                        ; implicit-def: $vgpr20
	s_and_saveexec_b64 s[0:1], vcc
	s_xor_b64 s[0:1], exec, s[0:1]
	s_cbranch_execz .LBB263_6
; %bb.5:                                ;   in Loop: Header=BB263_4 Depth=1
	global_load_ushort v20, v[10:11], off
	global_load_ushort v21, v[10:11], off offset:8
	global_load_ushort v22, v[10:11], off offset:4
	s_waitcnt vmcnt(1)
	v_lshrrev_b16_e32 v10, 4, v21
	s_waitcnt vmcnt(0)
	v_perm_b32 v11, v22, v20, s3
	v_perm_b32 v10, v10, v21, s3
	v_and_b32_e32 v10, 0xf0f0f0f, v10
	v_pk_lshrrev_b16 v11, 2, v11 op_sel_hi:[0,1]
	v_and_or_b32 v20, v11, s9, v10
                                        ; implicit-def: $vgpr10_vgpr11
.LBB263_6:                              ;   in Loop: Header=BB263_4 Depth=1
	s_andn2_saveexec_b64 s[0:1], s[0:1]
	s_cbranch_execz .LBB263_3
; %bb.7:                                ;   in Loop: Header=BB263_4 Depth=1
	global_load_ushort v20, v[10:11], off offset:4
	global_load_ushort v21, v[10:11], off offset:8
	s_waitcnt vmcnt(0)
	v_perm_b32 v10, v21, v20, s3
	v_and_b32_e32 v20, 0x3f3f3f3f, v10
	s_branch .LBB263_3
.LBB263_8:
	s_or_b64 exec, exec, s[4:5]
.LBB263_9:
	s_or_b64 exec, exec, s[10:11]
	v_mbcnt_lo_u32_b32 v0, -1, 0
	v_mbcnt_hi_u32_b32 v2, -1, v0
	v_and_b32_e32 v0, 64, v2
	v_add_u32_e32 v4, 64, v0
	v_xor_b32_e32 v0, 32, v2
	v_cmp_lt_i32_e32 vcc, v0, v4
	v_cndmask_b32_e32 v0, v2, v0, vcc
	v_lshlrev_b32_e32 v0, 2, v0
	ds_bpermute_b32 v0, v0, v13
	v_xor_b32_e32 v5, 16, v2
	v_cmp_lt_i32_e32 vcc, v5, v4
	v_cndmask_b32_e32 v5, v2, v5, vcc
	v_lshlrev_b32_e32 v5, 2, v5
	s_waitcnt lgkmcnt(0)
	v_add_f32_e32 v0, v13, v0
	ds_bpermute_b32 v5, v5, v0
	v_xor_b32_e32 v6, 8, v2
	v_cmp_lt_i32_e32 vcc, v6, v4
	s_waitcnt lgkmcnt(0)
	v_add_f32_e32 v0, v0, v5
	v_cndmask_b32_e32 v5, v2, v6, vcc
	v_lshlrev_b32_e32 v5, 2, v5
	ds_bpermute_b32 v5, v5, v0
	v_xor_b32_e32 v6, 4, v2
	v_cmp_lt_i32_e32 vcc, v6, v4
	s_waitcnt lgkmcnt(0)
	v_add_f32_e32 v0, v0, v5
	v_cndmask_b32_e32 v5, v2, v6, vcc
	v_lshlrev_b32_e32 v5, 2, v5
	;; [unrolled: 7-line block ×3, first 2 shown]
	ds_bpermute_b32 v5, v5, v0
	v_xor_b32_e32 v6, 1, v2
	v_cmp_lt_i32_e32 vcc, v6, v4
	v_cndmask_b32_e32 v2, v2, v6, vcc
	v_lshlrev_b32_e32 v2, 2, v2
	s_waitcnt lgkmcnt(0)
	v_add_f32_e32 v0, v0, v5
	ds_bpermute_b32 v2, v2, v0
	v_cmp_eq_u32_e32 vcc, 0, v3
	s_and_b64 exec, exec, vcc
	s_cbranch_execz .LBB263_11
; %bb.10:
	s_waitcnt lgkmcnt(0)
	v_add_f32_e32 v0, v0, v2
	s_mul_i32 s0, s8, s2
	v_cvt_f16_f32_e32 v2, v0
	v_add_u32_e32 v0, s0, v1
	v_mov_b32_e32 v1, 0
	v_lshlrev_b64 v[0:1], 1, v[0:1]
	v_mov_b32_e32 v3, s7
	v_add_co_u32_e32 v0, vcc, s6, v0
	v_addc_co_u32_e32 v1, vcc, v3, v1, vcc
	global_store_short v[0:1], v2, off
.LBB263_11:
	s_endpgm
	.section	.rodata,"a",@progbits
	.p2align	6, 0x0
	.amdhsa_kernel _ZL9moe_vec_qIN3c104HalfELi256ELi32E10block_q4_KLi2EXadL_ZL17vec_dot_q4_K_q8_1PKvPK10block_q8_1RKiEEEvS4_S4_PT_PS8_iiii
		.amdhsa_group_segment_fixed_size 0
		.amdhsa_private_segment_fixed_size 0
		.amdhsa_kernarg_size 304
		.amdhsa_user_sgpr_count 6
		.amdhsa_user_sgpr_private_segment_buffer 1
		.amdhsa_user_sgpr_dispatch_ptr 0
		.amdhsa_user_sgpr_queue_ptr 0
		.amdhsa_user_sgpr_kernarg_segment_ptr 1
		.amdhsa_user_sgpr_dispatch_id 0
		.amdhsa_user_sgpr_flat_scratch_init 0
		.amdhsa_user_sgpr_kernarg_preload_length 0
		.amdhsa_user_sgpr_kernarg_preload_offset 0
		.amdhsa_user_sgpr_private_segment_size 0
		.amdhsa_uses_dynamic_stack 0
		.amdhsa_system_sgpr_private_segment_wavefront_offset 0
		.amdhsa_system_sgpr_workgroup_id_x 1
		.amdhsa_system_sgpr_workgroup_id_y 0
		.amdhsa_system_sgpr_workgroup_id_z 1
		.amdhsa_system_sgpr_workgroup_info 0
		.amdhsa_system_vgpr_workitem_id 1
		.amdhsa_next_free_vgpr 36
		.amdhsa_next_free_sgpr 20
		.amdhsa_accum_offset 36
		.amdhsa_reserve_vcc 1
		.amdhsa_reserve_flat_scratch 0
		.amdhsa_float_round_mode_32 0
		.amdhsa_float_round_mode_16_64 0
		.amdhsa_float_denorm_mode_32 3
		.amdhsa_float_denorm_mode_16_64 3
		.amdhsa_dx10_clamp 1
		.amdhsa_ieee_mode 1
		.amdhsa_fp16_overflow 0
		.amdhsa_tg_split 0
		.amdhsa_exception_fp_ieee_invalid_op 0
		.amdhsa_exception_fp_denorm_src 0
		.amdhsa_exception_fp_ieee_div_zero 0
		.amdhsa_exception_fp_ieee_overflow 0
		.amdhsa_exception_fp_ieee_underflow 0
		.amdhsa_exception_fp_ieee_inexact 0
		.amdhsa_exception_int_div_zero 0
	.end_amdhsa_kernel
	.section	.text._ZL9moe_vec_qIN3c104HalfELi256ELi32E10block_q4_KLi2EXadL_ZL17vec_dot_q4_K_q8_1PKvPK10block_q8_1RKiEEEvS4_S4_PT_PS8_iiii,"axG",@progbits,_ZL9moe_vec_qIN3c104HalfELi256ELi32E10block_q4_KLi2EXadL_ZL17vec_dot_q4_K_q8_1PKvPK10block_q8_1RKiEEEvS4_S4_PT_PS8_iiii,comdat
.Lfunc_end263:
	.size	_ZL9moe_vec_qIN3c104HalfELi256ELi32E10block_q4_KLi2EXadL_ZL17vec_dot_q4_K_q8_1PKvPK10block_q8_1RKiEEEvS4_S4_PT_PS8_iiii, .Lfunc_end263-_ZL9moe_vec_qIN3c104HalfELi256ELi32E10block_q4_KLi2EXadL_ZL17vec_dot_q4_K_q8_1PKvPK10block_q8_1RKiEEEvS4_S4_PT_PS8_iiii
                                        ; -- End function
	.section	.AMDGPU.csdata,"",@progbits
; Kernel info:
; codeLenInByte = 1264
; NumSgprs: 24
; NumVgprs: 36
; NumAgprs: 0
; TotalNumVgprs: 36
; ScratchSize: 0
; MemoryBound: 0
; FloatMode: 240
; IeeeMode: 1
; LDSByteSize: 0 bytes/workgroup (compile time only)
; SGPRBlocks: 2
; VGPRBlocks: 4
; NumSGPRsForWavesPerEU: 24
; NumVGPRsForWavesPerEU: 36
; AccumOffset: 36
; Occupancy: 8
; WaveLimiterHint : 1
; COMPUTE_PGM_RSRC2:SCRATCH_EN: 0
; COMPUTE_PGM_RSRC2:USER_SGPR: 6
; COMPUTE_PGM_RSRC2:TRAP_HANDLER: 0
; COMPUTE_PGM_RSRC2:TGID_X_EN: 1
; COMPUTE_PGM_RSRC2:TGID_Y_EN: 0
; COMPUTE_PGM_RSRC2:TGID_Z_EN: 1
; COMPUTE_PGM_RSRC2:TIDIG_COMP_CNT: 1
; COMPUTE_PGM_RSRC3_GFX90A:ACCUM_OFFSET: 8
; COMPUTE_PGM_RSRC3_GFX90A:TG_SPLIT: 0
	.section	.text._ZL9moe_vec_qIN3c104HalfELi256ELi32E10block_q5_KLi2EXadL_ZL17vec_dot_q5_K_q8_1PKvPK10block_q8_1RKiEEEvS4_S4_PT_PS8_iiii,"axG",@progbits,_ZL9moe_vec_qIN3c104HalfELi256ELi32E10block_q5_KLi2EXadL_ZL17vec_dot_q5_K_q8_1PKvPK10block_q8_1RKiEEEvS4_S4_PT_PS8_iiii,comdat
	.globl	_ZL9moe_vec_qIN3c104HalfELi256ELi32E10block_q5_KLi2EXadL_ZL17vec_dot_q5_K_q8_1PKvPK10block_q8_1RKiEEEvS4_S4_PT_PS8_iiii ; -- Begin function _ZL9moe_vec_qIN3c104HalfELi256ELi32E10block_q5_KLi2EXadL_ZL17vec_dot_q5_K_q8_1PKvPK10block_q8_1RKiEEEvS4_S4_PT_PS8_iiii
	.p2align	8
	.type	_ZL9moe_vec_qIN3c104HalfELi256ELi32E10block_q5_KLi2EXadL_ZL17vec_dot_q5_K_q8_1PKvPK10block_q8_1RKiEEEvS4_S4_PT_PS8_iiii,@function
_ZL9moe_vec_qIN3c104HalfELi256ELi32E10block_q5_KLi2EXadL_ZL17vec_dot_q5_K_q8_1PKvPK10block_q8_1RKiEEEvS4_S4_PT_PS8_iiii: ; @_ZL9moe_vec_qIN3c104HalfELi256ELi32E10block_q5_KLi2EXadL_ZL17vec_dot_q5_K_q8_1PKvPK10block_q8_1RKiEEEvS4_S4_PT_PS8_iiii
; %bb.0:
	s_mov_b32 s8, s7
	s_load_dword s7, s[4:5], 0x3c
	s_load_dwordx4 s[0:3], s[4:5], 0x20
	v_bfe_u32 v1, v0, 10, 10
	s_waitcnt lgkmcnt(0)
	s_lshr_b32 s7, s7, 16
	s_mul_i32 s6, s6, s7
	v_add_u32_e32 v1, s6, v1
	v_cmp_gt_u32_e32 vcc, s2, v1
	s_and_saveexec_b64 s[6:7], vcc
	s_cbranch_execz .LBB264_11
; %bb.1:
	s_load_dwordx2 s[6:7], s[4:5], 0x10
	s_ashr_i32 s9, s1, 31
	s_lshr_b32 s9, s9, 24
	s_add_i32 s1, s1, s9
	v_and_b32_e32 v3, 0x3ff, v0
	s_ashr_i32 s12, s1, 8
	v_lshrrev_b32_e32 v12, 4, v3
	v_cmp_gt_u32_e32 vcc, s12, v12
	v_mov_b32_e32 v13, 0
	s_and_saveexec_b64 s[10:11], vcc
	s_cbranch_execz .LBB264_9
; %bb.2:
	s_load_dwordx2 s[14:15], s[4:5], 0x18
	v_cvt_f32_u32_e32 v0, s0
	s_mov_b32 s9, 0
	s_lshl_b64 s[16:17], s[8:9], 2
	v_and_b32_e32 v10, 3, v3
	s_waitcnt lgkmcnt(0)
	s_add_u32 s14, s14, s16
	v_rcp_iflag_f32_e32 v0, v0
	s_addc_u32 s15, s15, s17
	s_load_dword s1, s[14:15], 0x0
	s_load_dwordx4 s[16:19], s[4:5], 0x0
	s_mul_i32 s4, s12, s2
	v_mul_f32_e32 v0, 0x4f7ffffe, v0
	v_cvt_u32_f32_e32 v0, v0
	s_waitcnt lgkmcnt(0)
	s_mul_i32 s1, s4, s1
	s_mul_hi_i32 s4, s1, 0xb0
	s_mulk_i32 s1, 0xb0
	s_add_u32 s14, s16, s1
	s_addc_u32 s15, s17, s4
	s_sub_i32 s1, 0, s0
	v_readfirstlane_b32 s4, v0
	s_mul_i32 s1, s1, s4
	s_mul_hi_u32 s1, s4, s1
	s_add_i32 s4, s4, s1
	s_mul_hi_u32 s1, s8, s4
	s_mul_i32 s4, s1, s0
	s_sub_i32 s4, s8, s4
	s_add_i32 s5, s1, 1
	s_sub_i32 s16, s4, s0
	s_cmp_ge_u32 s4, s0
	s_cselect_b32 s1, s5, s1
	s_cselect_b32 s4, s16, s4
	s_add_i32 s5, s1, 1
	s_cmp_ge_u32 s4, s0
	s_cselect_b32 s0, s5, s1
	s_mul_i32 s0, s0, s3
	s_mov_b32 s1, s9
	s_lshl_b64 s[0:1], s[0:1], 2
	v_lshlrev_b32_e32 v0, 1, v3
	s_add_u32 s0, s18, s0
	v_bfe_u32 v8, v0, 3, 2
	s_addc_u32 s1, s19, s1
	v_and_b32_e32 v4, 30, v0
	v_lshlrev_b32_e32 v15, 1, v8
	s_movk_i32 s13, 0xb0
	v_mul_lo_u32 v14, v1, s12
	v_lshlrev_b32_e32 v0, 5, v8
	v_mov_b32_e32 v13, 0
	v_lshlrev_b32_e32 v2, 2, v10
	v_cmp_lt_u32_e32 vcc, 15, v4
	v_mad_u64_u32 v[4:5], s[0:1], v15, 36, s[0:1]
	v_lshlrev_b32_e32 v16, 3, v12
	s_mov_b64 s[4:5], 0
	v_pk_mov_b32 v[6:7], s[14:15], s[14:15] op_sel:[0,1]
	v_lshlrev_b32_e32 v17, 1, v8
	s_mov_b32 s3, 0x5040100
	s_mov_b32 s9, 0x30303030
	v_lshlrev_b32_e32 v18, 2, v10
	s_mov_b32 s14, 0x10101010
	s_branch .LBB264_4
.LBB264_3:                              ;   in Loop: Header=BB264_4 Depth=1
	s_or_b64 exec, exec, s[0:1]
	v_mad_i64_i32 v[10:11], s[0:1], v16, 36, v[4:5]
	v_add_co_u32_e64 v24, s[0:1], v10, v18
	global_load_dword v26, v[10:11], off
	v_addc_co_u32_e64 v25, s[0:1], 0, v11, s[0:1]
	global_load_dword v27, v[8:9], off
	global_load_dword v28, v[24:25], off offset:20
	global_load_dword v29, v[24:25], off offset:40
	;; [unrolled: 1-line block ×5, first 2 shown]
	s_waitcnt vmcnt(7)
	v_ashrrev_i32_e32 v9, v15, v22
	v_ashrrev_i32_e32 v10, v15, v21
	v_and_b32_e32 v21, 0xf0f0f0f, v19
	v_lshrrev_b32_e32 v19, 4, v19
	v_lshlrev_b32_e32 v35, 4, v9
	v_and_b32_e32 v11, 0xf0f0f0f, v20
	v_mov_b32_e32 v22, 0
	v_mov_b32_e32 v24, 0
	v_lshrrev_b32_e32 v20, 4, v20
	v_lshlrev_b32_e32 v34, 4, v10
	v_and_b32_e32 v19, 0xf0f0f0f, v19
	v_lshlrev_b32_e32 v9, 3, v9
	v_and_or_b32 v21, v35, s14, v21
	v_pk_lshrrev_b16 v8, 8, v23 op_sel_hi:[0,1]
	v_and_b32_e32 v23, 0xff00ff, v23
	v_mov_b32_e32 v25, 0
	v_mov_b32_e32 v33, 0
	v_and_b32_e32 v20, 0xf0f0f0f, v20
	v_lshlrev_b32_e32 v10, 3, v10
	v_and_or_b32 v11, v34, s14, v11
	v_and_or_b32 v19, v9, s14, v19
	v_lshrrev_b32_e32 v37, 16, v23
	v_and_b32_e32 v23, 0xff, v23
	v_and_or_b32 v34, v10, s14, v20
	v_lshrrev_b32_e32 v36, 16, v8
	v_and_b32_e32 v8, 0xff, v8
	v_add_u32_e32 v12, 4, v12
	v_cmp_le_u32_e64 s[0:1], s12, v12
	s_or_b64 s[4:5], s[0:1], s[4:5]
	v_add_u32_e32 v16, 32, v16
	s_waitcnt vmcnt(5)
	v_cvt_f32_f16_sdwa v9, v27 dst_sel:DWORD dst_unused:UNUSED_PAD src0_sel:WORD_1
	s_waitcnt vmcnt(4)
	v_dot4c_i32_i8_e32 v22, v21, v28
	v_dot4c_i32_i8_e32 v24, 0x1010101, v28
	s_waitcnt vmcnt(2)
	v_dot4c_i32_i8_e32 v25, v19, v30
	v_dot4c_i32_i8_e32 v33, 0x1010101, v30
	;; [unrolled: 3-line block ×3, first 2 shown]
	v_dot4c_i32_i8_e32 v25, v34, v29
	v_dot4c_i32_i8_e32 v33, 0x1010101, v29
	v_mul_lo_u32 v11, v22, v23
	v_mul_lo_u32 v19, v24, v37
	v_cvt_f32_f16_e32 v10, v26
	v_mul_lo_u32 v8, v25, v8
	v_mul_lo_u32 v21, v33, v36
	v_cvt_f32_i32_e32 v23, v19
	v_cvt_f32_i32_e32 v22, v11
	v_cvt_f32_f16_e32 v20, v31
	v_cvt_f32_i32_e32 v25, v21
	v_cvt_f32_i32_e32 v24, v8
	v_cvt_f32_f16_e32 v8, v27
	v_pk_fma_f32 v[10:11], v[10:11], v[22:23], 0 op_sel_hi:[0,1,0]
	v_pk_fma_f32 v[10:11], v[20:21], v[24:25], v[10:11] op_sel_hi:[0,1,1]
	v_pk_mul_f32 v[8:9], v[10:11], v[8:9]
	v_sub_f32_e32 v8, v8, v9
	v_add_f32_e32 v13, v13, v8
	s_andn2_b64 exec, exec, s[4:5]
	s_cbranch_execz .LBB264_8
.LBB264_4:                              ; =>This Inner Loop Header: Depth=1
	v_add_u32_e32 v8, v14, v12
	v_mad_i64_i32 v[8:9], s[0:1], v8, s13, v[6:7]
	v_add_co_u32_e64 v10, s[0:1], v8, v2
	v_addc_co_u32_e64 v11, s[0:1], 0, v9, s[0:1]
	v_add_co_u32_e64 v24, s[0:1], v10, v0
	v_addc_co_u32_e64 v25, s[0:1], 0, v11, s[0:1]
	global_load_dword v19, v[24:25], off offset:64
	global_load_dword v21, v[10:11], off offset:16
	;; [unrolled: 1-line block ×4, first 2 shown]
	v_add_co_u32_e64 v10, s[0:1], v8, v17
	v_addc_co_u32_e64 v11, s[0:1], 0, v9, s[0:1]
                                        ; implicit-def: $vgpr23
	s_and_saveexec_b64 s[0:1], vcc
	s_xor_b64 s[0:1], exec, s[0:1]
	s_cbranch_execz .LBB264_6
; %bb.5:                                ;   in Loop: Header=BB264_4 Depth=1
	global_load_ushort v23, v[10:11], off
	global_load_ushort v24, v[10:11], off offset:8
	global_load_ushort v25, v[10:11], off offset:4
	s_waitcnt vmcnt(1)
	v_lshrrev_b16_e32 v10, 4, v24
	s_waitcnt vmcnt(0)
	v_perm_b32 v11, v25, v23, s3
	v_perm_b32 v10, v10, v24, s3
	v_and_b32_e32 v10, 0xf0f0f0f, v10
	v_pk_lshrrev_b16 v11, 2, v11 op_sel_hi:[0,1]
	v_and_or_b32 v23, v11, s9, v10
                                        ; implicit-def: $vgpr10_vgpr11
.LBB264_6:                              ;   in Loop: Header=BB264_4 Depth=1
	s_andn2_saveexec_b64 s[0:1], s[0:1]
	s_cbranch_execz .LBB264_3
; %bb.7:                                ;   in Loop: Header=BB264_4 Depth=1
	global_load_ushort v23, v[10:11], off offset:4
	global_load_ushort v24, v[10:11], off offset:8
	s_waitcnt vmcnt(0)
	v_perm_b32 v10, v24, v23, s3
	v_and_b32_e32 v23, 0x3f3f3f3f, v10
	s_branch .LBB264_3
.LBB264_8:
	s_or_b64 exec, exec, s[4:5]
.LBB264_9:
	s_or_b64 exec, exec, s[10:11]
	v_mbcnt_lo_u32_b32 v0, -1, 0
	v_mbcnt_hi_u32_b32 v2, -1, v0
	v_and_b32_e32 v0, 64, v2
	v_add_u32_e32 v4, 64, v0
	v_xor_b32_e32 v0, 32, v2
	v_cmp_lt_i32_e32 vcc, v0, v4
	v_cndmask_b32_e32 v0, v2, v0, vcc
	v_lshlrev_b32_e32 v0, 2, v0
	ds_bpermute_b32 v0, v0, v13
	v_xor_b32_e32 v5, 16, v2
	v_cmp_lt_i32_e32 vcc, v5, v4
	v_cndmask_b32_e32 v5, v2, v5, vcc
	v_lshlrev_b32_e32 v5, 2, v5
	s_waitcnt lgkmcnt(0)
	v_add_f32_e32 v0, v13, v0
	ds_bpermute_b32 v5, v5, v0
	v_xor_b32_e32 v6, 8, v2
	v_cmp_lt_i32_e32 vcc, v6, v4
	s_waitcnt lgkmcnt(0)
	v_add_f32_e32 v0, v0, v5
	v_cndmask_b32_e32 v5, v2, v6, vcc
	v_lshlrev_b32_e32 v5, 2, v5
	ds_bpermute_b32 v5, v5, v0
	v_xor_b32_e32 v6, 4, v2
	v_cmp_lt_i32_e32 vcc, v6, v4
	s_waitcnt lgkmcnt(0)
	v_add_f32_e32 v0, v0, v5
	v_cndmask_b32_e32 v5, v2, v6, vcc
	v_lshlrev_b32_e32 v5, 2, v5
	;; [unrolled: 7-line block ×3, first 2 shown]
	ds_bpermute_b32 v5, v5, v0
	v_xor_b32_e32 v6, 1, v2
	v_cmp_lt_i32_e32 vcc, v6, v4
	v_cndmask_b32_e32 v2, v2, v6, vcc
	v_lshlrev_b32_e32 v2, 2, v2
	s_waitcnt lgkmcnt(0)
	v_add_f32_e32 v0, v0, v5
	ds_bpermute_b32 v2, v2, v0
	v_cmp_eq_u32_e32 vcc, 0, v3
	s_and_b64 exec, exec, vcc
	s_cbranch_execz .LBB264_11
; %bb.10:
	s_waitcnt lgkmcnt(0)
	v_add_f32_e32 v0, v0, v2
	s_mul_i32 s0, s8, s2
	v_cvt_f16_f32_e32 v2, v0
	v_add_u32_e32 v0, s0, v1
	v_mov_b32_e32 v1, 0
	v_lshlrev_b64 v[0:1], 1, v[0:1]
	v_mov_b32_e32 v3, s7
	v_add_co_u32_e32 v0, vcc, s6, v0
	v_addc_co_u32_e32 v1, vcc, v3, v1, vcc
	global_store_short v[0:1], v2, off
.LBB264_11:
	s_endpgm
	.section	.rodata,"a",@progbits
	.p2align	6, 0x0
	.amdhsa_kernel _ZL9moe_vec_qIN3c104HalfELi256ELi32E10block_q5_KLi2EXadL_ZL17vec_dot_q5_K_q8_1PKvPK10block_q8_1RKiEEEvS4_S4_PT_PS8_iiii
		.amdhsa_group_segment_fixed_size 0
		.amdhsa_private_segment_fixed_size 0
		.amdhsa_kernarg_size 304
		.amdhsa_user_sgpr_count 6
		.amdhsa_user_sgpr_private_segment_buffer 1
		.amdhsa_user_sgpr_dispatch_ptr 0
		.amdhsa_user_sgpr_queue_ptr 0
		.amdhsa_user_sgpr_kernarg_segment_ptr 1
		.amdhsa_user_sgpr_dispatch_id 0
		.amdhsa_user_sgpr_flat_scratch_init 0
		.amdhsa_user_sgpr_kernarg_preload_length 0
		.amdhsa_user_sgpr_kernarg_preload_offset 0
		.amdhsa_user_sgpr_private_segment_size 0
		.amdhsa_uses_dynamic_stack 0
		.amdhsa_system_sgpr_private_segment_wavefront_offset 0
		.amdhsa_system_sgpr_workgroup_id_x 1
		.amdhsa_system_sgpr_workgroup_id_y 0
		.amdhsa_system_sgpr_workgroup_id_z 1
		.amdhsa_system_sgpr_workgroup_info 0
		.amdhsa_system_vgpr_workitem_id 1
		.amdhsa_next_free_vgpr 38
		.amdhsa_next_free_sgpr 20
		.amdhsa_accum_offset 40
		.amdhsa_reserve_vcc 1
		.amdhsa_reserve_flat_scratch 0
		.amdhsa_float_round_mode_32 0
		.amdhsa_float_round_mode_16_64 0
		.amdhsa_float_denorm_mode_32 3
		.amdhsa_float_denorm_mode_16_64 3
		.amdhsa_dx10_clamp 1
		.amdhsa_ieee_mode 1
		.amdhsa_fp16_overflow 0
		.amdhsa_tg_split 0
		.amdhsa_exception_fp_ieee_invalid_op 0
		.amdhsa_exception_fp_denorm_src 0
		.amdhsa_exception_fp_ieee_div_zero 0
		.amdhsa_exception_fp_ieee_overflow 0
		.amdhsa_exception_fp_ieee_underflow 0
		.amdhsa_exception_fp_ieee_inexact 0
		.amdhsa_exception_int_div_zero 0
	.end_amdhsa_kernel
	.section	.text._ZL9moe_vec_qIN3c104HalfELi256ELi32E10block_q5_KLi2EXadL_ZL17vec_dot_q5_K_q8_1PKvPK10block_q8_1RKiEEEvS4_S4_PT_PS8_iiii,"axG",@progbits,_ZL9moe_vec_qIN3c104HalfELi256ELi32E10block_q5_KLi2EXadL_ZL17vec_dot_q5_K_q8_1PKvPK10block_q8_1RKiEEEvS4_S4_PT_PS8_iiii,comdat
.Lfunc_end264:
	.size	_ZL9moe_vec_qIN3c104HalfELi256ELi32E10block_q5_KLi2EXadL_ZL17vec_dot_q5_K_q8_1PKvPK10block_q8_1RKiEEEvS4_S4_PT_PS8_iiii, .Lfunc_end264-_ZL9moe_vec_qIN3c104HalfELi256ELi32E10block_q5_KLi2EXadL_ZL17vec_dot_q5_K_q8_1PKvPK10block_q8_1RKiEEEvS4_S4_PT_PS8_iiii
                                        ; -- End function
	.section	.AMDGPU.csdata,"",@progbits
; Kernel info:
; codeLenInByte = 1344
; NumSgprs: 24
; NumVgprs: 38
; NumAgprs: 0
; TotalNumVgprs: 38
; ScratchSize: 0
; MemoryBound: 0
; FloatMode: 240
; IeeeMode: 1
; LDSByteSize: 0 bytes/workgroup (compile time only)
; SGPRBlocks: 2
; VGPRBlocks: 4
; NumSGPRsForWavesPerEU: 24
; NumVGPRsForWavesPerEU: 38
; AccumOffset: 40
; Occupancy: 8
; WaveLimiterHint : 1
; COMPUTE_PGM_RSRC2:SCRATCH_EN: 0
; COMPUTE_PGM_RSRC2:USER_SGPR: 6
; COMPUTE_PGM_RSRC2:TRAP_HANDLER: 0
; COMPUTE_PGM_RSRC2:TGID_X_EN: 1
; COMPUTE_PGM_RSRC2:TGID_Y_EN: 0
; COMPUTE_PGM_RSRC2:TGID_Z_EN: 1
; COMPUTE_PGM_RSRC2:TIDIG_COMP_CNT: 1
; COMPUTE_PGM_RSRC3_GFX90A:ACCUM_OFFSET: 9
; COMPUTE_PGM_RSRC3_GFX90A:TG_SPLIT: 0
	.section	.text._ZL9moe_vec_qIN3c104HalfELi256ELi32E10block_q6_KLi1EXadL_ZL17vec_dot_q6_K_q8_1PKvPK10block_q8_1RKiEEEvS4_S4_PT_PS8_iiii,"axG",@progbits,_ZL9moe_vec_qIN3c104HalfELi256ELi32E10block_q6_KLi1EXadL_ZL17vec_dot_q6_K_q8_1PKvPK10block_q8_1RKiEEEvS4_S4_PT_PS8_iiii,comdat
	.globl	_ZL9moe_vec_qIN3c104HalfELi256ELi32E10block_q6_KLi1EXadL_ZL17vec_dot_q6_K_q8_1PKvPK10block_q8_1RKiEEEvS4_S4_PT_PS8_iiii ; -- Begin function _ZL9moe_vec_qIN3c104HalfELi256ELi32E10block_q6_KLi1EXadL_ZL17vec_dot_q6_K_q8_1PKvPK10block_q8_1RKiEEEvS4_S4_PT_PS8_iiii
	.p2align	8
	.type	_ZL9moe_vec_qIN3c104HalfELi256ELi32E10block_q6_KLi1EXadL_ZL17vec_dot_q6_K_q8_1PKvPK10block_q8_1RKiEEEvS4_S4_PT_PS8_iiii,@function
_ZL9moe_vec_qIN3c104HalfELi256ELi32E10block_q6_KLi1EXadL_ZL17vec_dot_q6_K_q8_1PKvPK10block_q8_1RKiEEEvS4_S4_PT_PS8_iiii: ; @_ZL9moe_vec_qIN3c104HalfELi256ELi32E10block_q6_KLi1EXadL_ZL17vec_dot_q6_K_q8_1PKvPK10block_q8_1RKiEEEvS4_S4_PT_PS8_iiii
; %bb.0:
	s_mov_b32 s8, s7
	s_load_dword s7, s[4:5], 0x3c
	s_load_dwordx4 s[0:3], s[4:5], 0x20
	v_bfe_u32 v1, v0, 10, 10
	s_waitcnt lgkmcnt(0)
	s_lshr_b32 s7, s7, 16
	s_mul_i32 s6, s6, s7
	v_add_u32_e32 v1, s6, v1
	v_cmp_gt_u32_e32 vcc, s2, v1
	s_and_saveexec_b64 s[6:7], vcc
	s_cbranch_execz .LBB265_7
; %bb.1:
	s_load_dwordx2 s[6:7], s[4:5], 0x10
	s_ashr_i32 s9, s1, 31
	s_lshr_b32 s9, s9, 24
	s_add_i32 s1, s1, s9
	v_and_b32_e32 v3, 0x3ff, v0
	s_ashr_i32 s12, s1, 8
	v_lshrrev_b32_e32 v5, 5, v3
	v_cmp_gt_u32_e32 vcc, s12, v5
	v_mov_b32_e32 v9, 0
	s_and_saveexec_b64 s[10:11], vcc
	s_cbranch_execz .LBB265_5
; %bb.2:
	s_load_dwordx2 s[14:15], s[4:5], 0x18
	v_cvt_f32_u32_e32 v0, s0
	s_mov_b32 s9, 0
	s_lshl_b64 s[16:17], s[8:9], 2
	v_and_b32_e32 v4, 7, v3
	s_waitcnt lgkmcnt(0)
	s_add_u32 s14, s14, s16
	v_rcp_iflag_f32_e32 v0, v0
	s_addc_u32 s15, s15, s17
	s_load_dword s1, s[14:15], 0x0
	s_load_dwordx4 s[16:19], s[4:5], 0x0
	s_mul_i32 s5, s12, s2
	v_mul_f32_e32 v0, 0x4f7ffffe, v0
	v_cvt_u32_f32_e32 v0, v0
	s_waitcnt lgkmcnt(0)
	s_mul_i32 s1, s5, s1
	s_mul_hi_i32 s5, s1, 0xd2
	s_mulk_i32 s1, 0xd2
	s_add_u32 s14, s16, s1
	s_addc_u32 s15, s17, s5
	s_sub_i32 s1, 0, s0
	v_readfirstlane_b32 s5, v0
	s_mul_i32 s1, s1, s5
	s_mul_hi_u32 s1, s5, s1
	s_add_i32 s5, s5, s1
	s_mul_hi_u32 s1, s8, s5
	s_mul_i32 s5, s1, s0
	s_sub_i32 s5, s8, s5
	s_add_i32 s13, s1, 1
	s_sub_i32 s16, s5, s0
	s_cmp_ge_u32 s5, s0
	s_cselect_b32 s1, s13, s1
	v_and_b32_e32 v0, 31, v3
	s_cselect_b32 s5, s16, s5
	s_add_i32 s13, s1, 1
	v_add_u32_e32 v2, 0xf0, v0
	v_cmp_gt_u32_e32 vcc, 16, v0
	s_cmp_ge_u32 s5, s0
	v_cndmask_b32_e32 v8, v2, v0, vcc
	s_cselect_b32 s0, s13, s1
	v_and_b32_e32 v2, 0xf8, v8
	s_mul_i32 s0, s0, s3
	s_mov_b32 s1, s9
	v_cmp_ne_u32_e32 vcc, 0, v2
	s_lshl_b64 s[0:1], s[0:1], 2
	v_cndmask_b32_e64 v10, 0, 1, vcc
	v_cmp_lt_u32_e32 vcc, 15, v0
	s_add_u32 s0, s18, s0
	v_cndmask_b32_e64 v2, 0, 1, vcc
	s_addc_u32 s1, s19, s1
	v_lshl_or_b32 v6, v2, 2, v10
	v_lshlrev_b32_e32 v11, 3, v2
	v_or_b32_e32 v2, v11, v4
	v_mad_u64_u32 v[6:7], s[0:1], v6, 36, s[0:1]
	v_bfe_u32 v8, v8, 2, 6
	s_movk_i32 s4, 0xd2
	v_mul_lo_u32 v12, v1, s12
	v_lshlrev_b32_e32 v0, 2, v0
	v_mov_b32_e32 v9, 0
	v_lshlrev_b32_e32 v2, 2, v2
	v_lshlrev_b32_e32 v4, 2, v4
	;; [unrolled: 1-line block ×3, first 2 shown]
	v_add_u32_e32 v8, v8, v11
	v_lshlrev_b32_e32 v14, 3, v5
	s_mov_b64 s[0:1], 0
	v_pk_mov_b32 v[10:11], s[14:15], s[14:15] op_sel:[0,1]
	s_mov_b32 s3, 0xf0f0f0f
	s_mov_b32 s5, 0x30303030
	s_movk_i32 s9, 0x3f00
	s_movk_i32 s13, 0xe000
	v_mov_b32_e32 v15, 8
.LBB265_3:                              ; =>This Inner Loop Header: Depth=1
	v_mad_i64_i32 v[16:17], s[14:15], v14, 36, v[6:7]
	v_add_u32_e32 v18, v12, v5
	v_add_co_u32_e32 v20, vcc, v16, v4
	v_mad_i64_i32 v[18:19], s[14:15], v18, s4, v[10:11]
	v_addc_co_u32_e32 v21, vcc, 0, v17, vcc
	v_add_co_u32_e32 v22, vcc, v18, v0
	v_addc_co_u32_e32 v23, vcc, 0, v19, vcc
	v_add_co_u32_e32 v24, vcc, v18, v2
	v_addc_co_u32_e32 v25, vcc, 0, v19, vcc
	global_load_dword v26, v[24:25], off offset:128
	global_load_dword v27, v[22:23], off
	global_load_dword v28, v[20:21], off offset:4
	global_load_dword v29, v[20:21], off offset:76
	v_add_co_u32_e32 v20, vcc, v18, v8
	v_addc_co_u32_e32 v21, vcc, 0, v19, vcc
	global_load_sbyte v22, v[20:21], off offset:192
	global_load_sbyte v23, v[20:21], off offset:196
	global_load_dword v24, v[16:17], off
	global_load_dword v25, v[16:17], off offset:72
	global_load_ushort v30, v[18:19], off offset:208
	v_mov_b32_e32 v16, 0
	v_mov_b32_e32 v17, 0
	v_add_u32_e32 v5, 2, v5
	v_cmp_le_u32_e32 vcc, s12, v5
	v_add_u32_e32 v14, 16, v14
	s_or_b64 s[0:1], vcc, s[0:1]
	s_waitcnt vmcnt(8)
	v_ashrrev_i32_e32 v18, v13, v26
	s_waitcnt vmcnt(7)
	v_and_b32_e32 v19, 0xf0f0f0f, v27
	v_lshlrev_b32_e32 v21, 4, v18
	v_lshrrev_b32_e32 v20, 4, v27
	v_and_b32_e32 v18, 0x30303030, v18
	v_and_or_b32 v19, v21, s5, v19
	v_and_or_b32 v18, v20, s3, v18
	v_and_b32_e32 v20, 0x3f00, v19
	v_lshlrev_b16_e32 v21, 8, v19
	v_and_b32_sdwa v26, v19, s9 dst_sel:DWORD dst_unused:UNUSED_PAD src0_sel:WORD_1 src1_sel:DWORD
	v_lshlrev_b16_sdwa v19, v15, v19 dst_sel:DWORD dst_unused:UNUSED_PAD src0_sel:DWORD src1_sel:WORD_1
	v_and_b32_e32 v27, 0x3f00, v18
	v_lshlrev_b16_e32 v31, 8, v18
	v_and_b32_sdwa v32, v18, s9 dst_sel:DWORD dst_unused:UNUSED_PAD src0_sel:WORD_1 src1_sel:DWORD
	v_lshlrev_b16_sdwa v18, v15, v18 dst_sel:DWORD dst_unused:UNUSED_PAD src0_sel:DWORD src1_sel:WORD_1
	v_add_u16_e32 v21, 0xe000, v21
	v_add_u16_e32 v19, 0xe000, v19
	;; [unrolled: 1-line block ×4, first 2 shown]
	v_or_b32_sdwa v20, v20, v21 dst_sel:DWORD dst_unused:UNUSED_PAD src0_sel:DWORD src1_sel:BYTE_1
	v_or_b32_sdwa v19, v26, v19 dst_sel:DWORD dst_unused:UNUSED_PAD src0_sel:DWORD src1_sel:BYTE_1
	;; [unrolled: 1-line block ×4, first 2 shown]
	v_add_u16_e32 v20, 0xe000, v20
	v_add_u16_sdwa v19, v19, s13 dst_sel:WORD_1 dst_unused:UNUSED_PAD src0_sel:DWORD src1_sel:DWORD
	v_add_u16_e32 v21, 0xe000, v21
	v_add_u16_sdwa v18, v18, s13 dst_sel:WORD_1 dst_unused:UNUSED_PAD src0_sel:DWORD src1_sel:DWORD
	v_or_b32_e32 v19, v20, v19
	v_or_b32_e32 v18, v21, v18
	s_waitcnt vmcnt(6)
	v_dot4c_i32_i8_e32 v16, v19, v28
	s_waitcnt vmcnt(5)
	v_dot4c_i32_i8_e32 v17, v18, v29
	s_waitcnt vmcnt(4)
	v_mul_lo_u32 v16, v16, v22
	s_waitcnt vmcnt(3)
	v_mul_lo_u32 v17, v17, v23
	v_cvt_f32_i32_e32 v16, v16
	v_cvt_f32_i32_e32 v17, v17
	s_waitcnt vmcnt(2)
	v_fma_mix_f32 v16, v24, v16, 0 op_sel_hi:[1,0,0]
	s_waitcnt vmcnt(1)
	v_fma_mix_f32 v16, v25, v17, v16 op_sel_hi:[1,0,0]
	;; [unrolled: 2-line block ×3, first 2 shown]
	s_andn2_b64 exec, exec, s[0:1]
	s_cbranch_execnz .LBB265_3
; %bb.4:
	s_or_b64 exec, exec, s[0:1]
.LBB265_5:
	s_or_b64 exec, exec, s[10:11]
	v_mbcnt_lo_u32_b32 v0, -1, 0
	v_mbcnt_hi_u32_b32 v2, -1, v0
	v_and_b32_e32 v0, 64, v2
	v_add_u32_e32 v4, 64, v0
	v_xor_b32_e32 v0, 32, v2
	v_cmp_lt_i32_e32 vcc, v0, v4
	v_cndmask_b32_e32 v0, v2, v0, vcc
	v_lshlrev_b32_e32 v0, 2, v0
	ds_bpermute_b32 v0, v0, v9
	v_xor_b32_e32 v5, 16, v2
	v_cmp_lt_i32_e32 vcc, v5, v4
	v_cndmask_b32_e32 v5, v2, v5, vcc
	v_lshlrev_b32_e32 v5, 2, v5
	s_waitcnt lgkmcnt(0)
	v_add_f32_e32 v0, v9, v0
	ds_bpermute_b32 v5, v5, v0
	v_xor_b32_e32 v6, 8, v2
	v_cmp_lt_i32_e32 vcc, v6, v4
	s_waitcnt lgkmcnt(0)
	v_add_f32_e32 v0, v0, v5
	v_cndmask_b32_e32 v5, v2, v6, vcc
	v_lshlrev_b32_e32 v5, 2, v5
	ds_bpermute_b32 v5, v5, v0
	v_xor_b32_e32 v6, 4, v2
	v_cmp_lt_i32_e32 vcc, v6, v4
	s_waitcnt lgkmcnt(0)
	v_add_f32_e32 v0, v0, v5
	v_cndmask_b32_e32 v5, v2, v6, vcc
	v_lshlrev_b32_e32 v5, 2, v5
	;; [unrolled: 7-line block ×3, first 2 shown]
	ds_bpermute_b32 v5, v5, v0
	v_xor_b32_e32 v6, 1, v2
	v_cmp_lt_i32_e32 vcc, v6, v4
	v_cndmask_b32_e32 v2, v2, v6, vcc
	v_lshlrev_b32_e32 v2, 2, v2
	s_waitcnt lgkmcnt(0)
	v_add_f32_e32 v0, v0, v5
	ds_bpermute_b32 v2, v2, v0
	v_cmp_eq_u32_e32 vcc, 0, v3
	s_and_b64 exec, exec, vcc
	s_cbranch_execz .LBB265_7
; %bb.6:
	s_waitcnt lgkmcnt(0)
	v_add_f32_e32 v0, v0, v2
	s_mul_i32 s0, s8, s2
	v_cvt_f16_f32_e32 v2, v0
	v_add_u32_e32 v0, s0, v1
	v_mov_b32_e32 v1, 0
	v_lshlrev_b64 v[0:1], 1, v[0:1]
	v_mov_b32_e32 v3, s7
	v_add_co_u32_e32 v0, vcc, s6, v0
	v_addc_co_u32_e32 v1, vcc, v3, v1, vcc
	global_store_short v[0:1], v2, off
.LBB265_7:
	s_endpgm
	.section	.rodata,"a",@progbits
	.p2align	6, 0x0
	.amdhsa_kernel _ZL9moe_vec_qIN3c104HalfELi256ELi32E10block_q6_KLi1EXadL_ZL17vec_dot_q6_K_q8_1PKvPK10block_q8_1RKiEEEvS4_S4_PT_PS8_iiii
		.amdhsa_group_segment_fixed_size 0
		.amdhsa_private_segment_fixed_size 0
		.amdhsa_kernarg_size 304
		.amdhsa_user_sgpr_count 6
		.amdhsa_user_sgpr_private_segment_buffer 1
		.amdhsa_user_sgpr_dispatch_ptr 0
		.amdhsa_user_sgpr_queue_ptr 0
		.amdhsa_user_sgpr_kernarg_segment_ptr 1
		.amdhsa_user_sgpr_dispatch_id 0
		.amdhsa_user_sgpr_flat_scratch_init 0
		.amdhsa_user_sgpr_kernarg_preload_length 0
		.amdhsa_user_sgpr_kernarg_preload_offset 0
		.amdhsa_user_sgpr_private_segment_size 0
		.amdhsa_uses_dynamic_stack 0
		.amdhsa_system_sgpr_private_segment_wavefront_offset 0
		.amdhsa_system_sgpr_workgroup_id_x 1
		.amdhsa_system_sgpr_workgroup_id_y 0
		.amdhsa_system_sgpr_workgroup_id_z 1
		.amdhsa_system_sgpr_workgroup_info 0
		.amdhsa_system_vgpr_workitem_id 1
		.amdhsa_next_free_vgpr 33
		.amdhsa_next_free_sgpr 20
		.amdhsa_accum_offset 36
		.amdhsa_reserve_vcc 1
		.amdhsa_reserve_flat_scratch 0
		.amdhsa_float_round_mode_32 0
		.amdhsa_float_round_mode_16_64 0
		.amdhsa_float_denorm_mode_32 3
		.amdhsa_float_denorm_mode_16_64 3
		.amdhsa_dx10_clamp 1
		.amdhsa_ieee_mode 1
		.amdhsa_fp16_overflow 0
		.amdhsa_tg_split 0
		.amdhsa_exception_fp_ieee_invalid_op 0
		.amdhsa_exception_fp_denorm_src 0
		.amdhsa_exception_fp_ieee_div_zero 0
		.amdhsa_exception_fp_ieee_overflow 0
		.amdhsa_exception_fp_ieee_underflow 0
		.amdhsa_exception_fp_ieee_inexact 0
		.amdhsa_exception_int_div_zero 0
	.end_amdhsa_kernel
	.section	.text._ZL9moe_vec_qIN3c104HalfELi256ELi32E10block_q6_KLi1EXadL_ZL17vec_dot_q6_K_q8_1PKvPK10block_q8_1RKiEEEvS4_S4_PT_PS8_iiii,"axG",@progbits,_ZL9moe_vec_qIN3c104HalfELi256ELi32E10block_q6_KLi1EXadL_ZL17vec_dot_q6_K_q8_1PKvPK10block_q8_1RKiEEEvS4_S4_PT_PS8_iiii,comdat
.Lfunc_end265:
	.size	_ZL9moe_vec_qIN3c104HalfELi256ELi32E10block_q6_KLi1EXadL_ZL17vec_dot_q6_K_q8_1PKvPK10block_q8_1RKiEEEvS4_S4_PT_PS8_iiii, .Lfunc_end265-_ZL9moe_vec_qIN3c104HalfELi256ELi32E10block_q6_KLi1EXadL_ZL17vec_dot_q6_K_q8_1PKvPK10block_q8_1RKiEEEvS4_S4_PT_PS8_iiii
                                        ; -- End function
	.section	.AMDGPU.csdata,"",@progbits
; Kernel info:
; codeLenInByte = 1192
; NumSgprs: 24
; NumVgprs: 33
; NumAgprs: 0
; TotalNumVgprs: 33
; ScratchSize: 0
; MemoryBound: 0
; FloatMode: 240
; IeeeMode: 1
; LDSByteSize: 0 bytes/workgroup (compile time only)
; SGPRBlocks: 2
; VGPRBlocks: 4
; NumSGPRsForWavesPerEU: 24
; NumVGPRsForWavesPerEU: 33
; AccumOffset: 36
; Occupancy: 8
; WaveLimiterHint : 1
; COMPUTE_PGM_RSRC2:SCRATCH_EN: 0
; COMPUTE_PGM_RSRC2:USER_SGPR: 6
; COMPUTE_PGM_RSRC2:TRAP_HANDLER: 0
; COMPUTE_PGM_RSRC2:TGID_X_EN: 1
; COMPUTE_PGM_RSRC2:TGID_Y_EN: 0
; COMPUTE_PGM_RSRC2:TGID_Z_EN: 1
; COMPUTE_PGM_RSRC2:TIDIG_COMP_CNT: 1
; COMPUTE_PGM_RSRC3_GFX90A:ACCUM_OFFSET: 8
; COMPUTE_PGM_RSRC3_GFX90A:TG_SPLIT: 0
	.section	.text._ZL9moe_vec_qIN3c104HalfELi256ELi8E13block_iq2_xxsLi1EXadL_ZL20vec_dot_iq2_xxs_q8_1PKvPK10block_q8_1RKiEEEvS4_S4_PT_PS8_iiii,"axG",@progbits,_ZL9moe_vec_qIN3c104HalfELi256ELi8E13block_iq2_xxsLi1EXadL_ZL20vec_dot_iq2_xxs_q8_1PKvPK10block_q8_1RKiEEEvS4_S4_PT_PS8_iiii,comdat
	.globl	_ZL9moe_vec_qIN3c104HalfELi256ELi8E13block_iq2_xxsLi1EXadL_ZL20vec_dot_iq2_xxs_q8_1PKvPK10block_q8_1RKiEEEvS4_S4_PT_PS8_iiii ; -- Begin function _ZL9moe_vec_qIN3c104HalfELi256ELi8E13block_iq2_xxsLi1EXadL_ZL20vec_dot_iq2_xxs_q8_1PKvPK10block_q8_1RKiEEEvS4_S4_PT_PS8_iiii
	.p2align	8
	.type	_ZL9moe_vec_qIN3c104HalfELi256ELi8E13block_iq2_xxsLi1EXadL_ZL20vec_dot_iq2_xxs_q8_1PKvPK10block_q8_1RKiEEEvS4_S4_PT_PS8_iiii,@function
_ZL9moe_vec_qIN3c104HalfELi256ELi8E13block_iq2_xxsLi1EXadL_ZL20vec_dot_iq2_xxs_q8_1PKvPK10block_q8_1RKiEEEvS4_S4_PT_PS8_iiii: ; @_ZL9moe_vec_qIN3c104HalfELi256ELi8E13block_iq2_xxsLi1EXadL_ZL20vec_dot_iq2_xxs_q8_1PKvPK10block_q8_1RKiEEEvS4_S4_PT_PS8_iiii
; %bb.0:
	s_load_dword s0, s[4:5], 0x3c
	s_load_dwordx4 s[48:51], s[4:5], 0x20
	v_bfe_u32 v1, v0, 10, 10
	s_waitcnt lgkmcnt(0)
	s_lshr_b32 s0, s0, 16
	s_mul_i32 s6, s6, s0
	v_add_u32_e32 v6, s6, v1
	v_cmp_gt_u32_e32 vcc, s50, v6
	s_and_saveexec_b64 s[0:1], vcc
	s_cbranch_execz .LBB266_7
; %bb.1:
	s_load_dwordx2 s[54:55], s[4:5], 0x10
	s_ashr_i32 s0, s49, 31
	s_lshr_b32 s0, s0, 24
	s_add_i32 s0, s49, s0
	v_and_b32_e32 v7, 0x3ff, v0
	s_ashr_i32 s33, s0, 8
	v_lshrrev_b32_e32 v8, 3, v7
	s_mov_b32 s52, s7
	v_cmp_gt_u32_e32 vcc, s33, v8
	v_mov_b32_e32 v9, 0
	s_and_saveexec_b64 s[56:57], vcc
	s_cbranch_execz .LBB266_5
; %bb.2:
	s_load_dwordx2 s[0:1], s[4:5], 0x18
	v_cvt_f32_u32_e32 v0, s48
	s_mov_b32 s53, 0
	s_lshl_b64 s[2:3], s[52:53], 2
	s_movk_i32 s60, 0x42
	s_waitcnt lgkmcnt(0)
	s_add_u32 s6, s0, s2
	v_rcp_iflag_f32_e32 v0, v0
	s_addc_u32 s7, s1, s3
	s_load_dword s8, s[6:7], 0x0
	s_load_dwordx4 s[0:3], s[4:5], 0x0
	s_mul_i32 s4, s33, s50
	v_mul_f32_e32 v0, 0x4f7ffffe, v0
	v_cvt_u32_f32_e32 v0, v0
	s_waitcnt lgkmcnt(0)
	s_mul_i32 s4, s4, s8
	s_mul_hi_i32 s5, s4, 0x42
	s_mulk_i32 s4, 0x42
	s_add_u32 s0, s0, s4
	s_addc_u32 s1, s1, s5
	s_sub_i32 s4, 0, s48
	v_readfirstlane_b32 s5, v0
	s_mul_i32 s4, s4, s5
	s_mul_hi_u32 s4, s5, s4
	s_add_i32 s5, s5, s4
	s_mul_hi_u32 s4, s52, s5
	s_mul_i32 s5, s4, s48
	s_sub_i32 s5, s52, s5
	s_add_i32 s6, s4, 1
	s_sub_i32 s7, s5, s48
	s_cmp_ge_u32 s5, s48
	s_cselect_b32 s4, s6, s4
	s_cselect_b32 s5, s7, s5
	s_add_i32 s6, s4, 1
	s_cmp_ge_u32 s5, s48
	s_cselect_b32 s4, s6, s4
	s_mul_i32 s4, s4, s51
	s_mov_b32 s5, s53
	s_lshl_b64 s[4:5], s[4:5], 2
	s_add_u32 s2, s2, s4
	v_and_b32_e32 v0, 7, v7
	s_addc_u32 s3, s3, s5
	v_lshlrev_b32_e32 v4, 2, v0
	v_mul_lo_u32 v10, v6, s33
	v_mov_b32_e32 v9, 0
	v_mad_u64_u32 v[0:1], s[2:3], v0, 36, s[2:3]
	v_lshlrev_b32_e32 v11, 3, v8
	s_mov_b64 s[58:59], 0
	v_pk_mov_b32 v[2:3], s[0:1], s[0:1] op_sel:[0,1]
	v_lshlrev_b32_e32 v12, 1, v4
	s_mov_b32 s51, 0xffff
	v_mov_b32_e32 v13, 3
.LBB266_3:                              ; =>This Inner Loop Header: Depth=1
	v_add_u32_e32 v14, v10, v8
	v_mad_i64_i32 v[4:5], s[0:1], v11, 36, v[0:1]
	s_getpc_b64 s[2:3]
	s_add_u32 s2, s2, _ZL11iq2xxs_grid@rel32@lo+4
	s_addc_u32 s3, s3, _ZL11iq2xxs_grid@rel32@hi+12
	v_add_u32_e32 v8, 8, v8
	v_mad_i64_i32 v[22:23], s[0:1], v14, s60, v[2:3]
	s_getpc_b64 s[6:7]
	s_add_u32 s6, s6, _ZL12ksigns_iq2xs@rel32@lo+4
	s_addc_u32 s7, s7, _ZL12ksigns_iq2xs@rel32@hi+12
	global_load_dwordx4 v[14:17], v[4:5], off offset:20
	global_load_dwordx4 v[18:21], v[4:5], off offset:4
	global_load_ushort v24, v[4:5], off
	v_cmp_le_u32_e32 vcc, s33, v8
	v_add_co_u32_e64 v4, s[0:1], v22, v12
	s_or_b64 s[58:59], vcc, s[58:59]
	v_addc_co_u32_e64 v5, vcc, 0, v23, s[0:1]
	global_load_ushort v22, v[22:23], off
	s_nop 0
	global_load_dword v23, v[4:5], off offset:2
	global_load_dword v28, v[4:5], off offset:6
	v_add_u32_e32 v11, 64, v11
	s_waitcnt vmcnt(3)
	v_cvt_f32_f16_e32 v29, v24
	s_waitcnt vmcnt(1)
	v_lshlrev_b32_sdwa v31, v13, v23 dst_sel:DWORD dst_unused:UNUSED_PAD src0_sel:DWORD src1_sel:BYTE_0
	v_cvt_f32_f16_e32 v30, v22
	v_lshlrev_b32_sdwa v33, v13, v23 dst_sel:DWORD dst_unused:UNUSED_PAD src0_sel:DWORD src1_sel:BYTE_1
	v_lshlrev_b32_sdwa v35, v13, v23 dst_sel:DWORD dst_unused:UNUSED_PAD src0_sel:DWORD src1_sel:BYTE_2
	v_lshlrev_b32_sdwa v36, v13, v23 dst_sel:DWORD dst_unused:UNUSED_PAD src0_sel:DWORD src1_sel:BYTE_3
	global_load_dwordx2 v[4:5], v31, s[2:3]
	global_load_dwordx2 v[22:23], v33, s[2:3]
	;; [unrolled: 1-line block ×4, first 2 shown]
	s_waitcnt vmcnt(4)
	v_and_b32_e32 v32, 0x7f, v28
	v_bfe_u32 v34, v28, 7, 7
	v_bfe_u32 v37, v28, 21, 7
	global_load_sbyte v52, v32, s[6:7]
	global_load_sbyte v53, v34, s[6:7]
	;; [unrolled: 1-line block ×3, first 2 shown]
	v_lshrrev_b32_e32 v51, 28, v28
	v_cmp_gt_u32_e64 s[0:1], 64, v32
	v_cmp_gt_u32_e32 vcc, 64, v37
	v_cmp_gt_u32_e64 s[2:3], 64, v34
	s_waitcnt vmcnt(6)
	v_mul_i32_i24_sdwa v31, v4, sext(v18) dst_sel:DWORD dst_unused:UNUSED_PAD src0_sel:BYTE_0 src1_sel:BYTE_0
	v_mul_i32_i24_sdwa v33, v4, sext(v18) dst_sel:DWORD dst_unused:UNUSED_PAD src0_sel:BYTE_1 src1_sel:BYTE_1
	v_mul_i32_i24_sdwa v35, v4, sext(v18) dst_sel:DWORD dst_unused:UNUSED_PAD src0_sel:BYTE_2 src1_sel:BYTE_2
	v_mul_i32_i24_sdwa v4, v4, sext(v18) dst_sel:DWORD dst_unused:UNUSED_PAD src0_sel:BYTE_3 src1_sel:BYTE_3
	v_mul_i32_i24_sdwa v18, v5, sext(v19) dst_sel:DWORD dst_unused:UNUSED_PAD src0_sel:BYTE_0 src1_sel:BYTE_0
	v_mul_i32_i24_sdwa v36, v5, sext(v19) dst_sel:DWORD dst_unused:UNUSED_PAD src0_sel:BYTE_1 src1_sel:BYTE_1
	v_mul_i32_i24_sdwa v38, v5, sext(v19) dst_sel:DWORD dst_unused:UNUSED_PAD src0_sel:BYTE_2 src1_sel:BYTE_2
	v_mul_i32_i24_sdwa v5, v5, sext(v19) dst_sel:DWORD dst_unused:UNUSED_PAD src0_sel:BYTE_3 src1_sel:BYTE_3
	s_waitcnt vmcnt(5)
	v_mul_i32_i24_sdwa v19, v22, sext(v20) dst_sel:DWORD dst_unused:UNUSED_PAD src0_sel:BYTE_0 src1_sel:BYTE_0
	v_mul_i32_i24_sdwa v39, v22, sext(v20) dst_sel:DWORD dst_unused:UNUSED_PAD src0_sel:BYTE_1 src1_sel:BYTE_1
	v_mul_i32_i24_sdwa v40, v22, sext(v20) dst_sel:DWORD dst_unused:UNUSED_PAD src0_sel:BYTE_2 src1_sel:BYTE_2
	v_mul_i32_i24_sdwa v20, v22, sext(v20) dst_sel:DWORD dst_unused:UNUSED_PAD src0_sel:BYTE_3 src1_sel:BYTE_3
	v_mul_i32_i24_sdwa v22, v23, sext(v21) dst_sel:DWORD dst_unused:UNUSED_PAD src0_sel:BYTE_0 src1_sel:BYTE_0
	v_mul_i32_i24_sdwa v41, v23, sext(v21) dst_sel:DWORD dst_unused:UNUSED_PAD src0_sel:BYTE_1 src1_sel:BYTE_1
	v_mul_i32_i24_sdwa v42, v23, sext(v21) dst_sel:DWORD dst_unused:UNUSED_PAD src0_sel:BYTE_2 src1_sel:BYTE_2
	v_mul_i32_i24_sdwa v21, v23, sext(v21) dst_sel:DWORD dst_unused:UNUSED_PAD src0_sel:BYTE_3 src1_sel:BYTE_3
	;; [unrolled: 9-line block ×4, first 2 shown]
	v_and_b32_e32 v27, 0xffff0000, v28
	v_and_or_b32 v27, v28, s51, v27
	v_bfe_u32 v27, v27, 14, 7
	v_cmp_gt_u32_e64 s[4:5], 64, v27
	global_load_sbyte v27, v27, s[6:7]
	s_waitcnt vmcnt(3)
	v_and_b32_e32 v32, 2, v52
	v_and_b32_e32 v37, 8, v52
	v_cvt_f32_ubyte0_e32 v28, v51
	v_and_b32_e32 v34, 4, v52
	v_and_b32_e32 v51, 16, v52
	v_cmp_eq_u16_e64 s[6:7], 0, v32
	v_and_b32_e32 v32, 32, v52
	v_cmp_eq_u16_e64 s[10:11], 0, v37
	s_waitcnt vmcnt(2)
	v_and_b32_e32 v37, 2, v53
	v_cmp_eq_u16_e64 s[8:9], 0, v34
	v_and_b32_e32 v34, 1, v53
	v_cmp_eq_u16_e64 s[12:13], 0, v51
	;; [unrolled: 2-line block ×4, first 2 shown]
	s_waitcnt vmcnt(1)
	v_and_b32_e32 v37, 1, v54
	v_cmp_gt_i16_e64 s[34:35], 0, v52
	v_and_b32_e32 v52, 1, v52
	v_cmp_eq_u16_e64 s[16:17], 0, v34
	v_and_b32_e32 v34, 16, v53
	v_cmp_gt_i16_e64 s[18:19], 0, v53
	v_and_b32_e32 v53, 32, v53
	v_cmp_eq_u16_e64 s[22:23], 0, v51
	v_and_b32_e32 v51, 2, v54
	v_cmp_eq_u16_e64 s[24:25], 0, v32
	;; [unrolled: 2-line block ×3, first 2 shown]
	v_sub_u32_e32 v37, 0, v33
	v_cmp_eq_u16_e64 s[48:49], 0, v52
	v_sub_u32_e32 v52, 0, v31
	v_cmp_eq_u16_e64 s[26:27], 0, v34
	v_and_b32_e32 v34, 8, v54
	v_cmp_eq_u16_e64 s[28:29], 0, v53
	v_and_b32_e32 v53, 16, v54
	v_cmp_gt_i16_e64 s[30:31], 0, v54
	v_and_b32_e32 v54, 32, v54
	v_cmp_eq_u16_e64 s[38:39], 0, v51
	v_sub_u32_e32 v51, 0, v35
	v_cmp_eq_u16_e64 s[40:41], 0, v32
	v_sub_u32_e32 v32, 0, v4
	v_cndmask_b32_e64 v31, v52, v31, s[48:49]
	v_sub_u32_e32 v52, 0, v19
	v_cndmask_b32_e64 v33, v37, v33, s[6:7]
	v_cmp_eq_u16_e64 s[42:43], 0, v34
	v_sub_u32_e32 v34, 0, v18
	v_cmp_eq_u16_e64 s[44:45], 0, v53
	v_sub_u32_e32 v53, 0, v36
	;; [unrolled: 2-line block ×3, first 2 shown]
	v_cndmask_b32_e64 v35, v51, v35, s[8:9]
	v_cndmask_b32_e64 v4, v32, v4, s[10:11]
	;; [unrolled: 1-line block ×3, first 2 shown]
	v_sub_u32_e32 v52, 0, v21
	v_add_u32_e32 v31, v33, v31
	v_cndmask_b32_e64 v18, v34, v18, s[12:13]
	v_cndmask_b32_e64 v36, v53, v36, s[14:15]
	;; [unrolled: 1-line block ×3, first 2 shown]
	v_sub_u32_e32 v54, 0, v5
	v_cndmask_b32_e64 v21, v21, v52, s[18:19]
	v_sub_u32_e32 v52, 0, v46
	v_add3_u32 v4, v31, v35, v4
	v_sub_u32_e32 v37, 0, v39
	v_cndmask_b32_e64 v5, v5, v54, s[34:35]
	v_cndmask_b32_e64 v46, v52, v46, s[4:5]
	v_sub_u32_e32 v52, 0, v50
	v_add3_u32 v4, v4, v18, v36
	v_sub_u32_e32 v51, 0, v40
	v_sub_u32_e32 v32, 0, v20
	v_cndmask_b32_e64 v37, v37, v39, s[20:21]
	v_cndmask_b32_e32 v50, v52, v50, vcc
	v_sub_u32_e32 v52, 0, v15
	v_add3_u32 v4, v4, v38, v5
	v_sub_u32_e32 v34, 0, v22
	v_sub_u32_e32 v53, 0, v41
	v_cndmask_b32_e64 v40, v51, v40, s[22:23]
	v_cndmask_b32_e64 v20, v32, v20, s[24:25]
	v_add3_u32 v4, v4, v19, v37
	v_sub_u32_e32 v54, 0, v42
	s_waitcnt vmcnt(0)
	v_cmp_gt_i16_e32 vcc, 0, v27
	v_cndmask_b32_e32 v15, v15, v52, vcc
	v_and_b32_e32 v52, 1, v27
	v_sub_u32_e32 v51, 0, v47
	v_sub_u32_e32 v32, 0, v48
	v_cndmask_b32_e64 v22, v34, v22, s[26:27]
	v_cndmask_b32_e64 v41, v53, v41, s[28:29]
	v_and_b32_e32 v33, 2, v27
	v_cmp_eq_u16_e32 vcc, 0, v52
	v_and_b32_e32 v52, 4, v27
	v_add3_u32 v4, v4, v40, v20
	v_sub_u32_e32 v39, 0, v25
	v_sub_u32_e32 v34, 0, v16
	;; [unrolled: 1-line block ×3, first 2 shown]
	v_cndmask_b32_e64 v42, v54, v42, s[2:3]
	v_cndmask_b32_e64 v47, v51, v47, s[38:39]
	v_sub_u32_e32 v51, 0, v23
	v_cndmask_b32_e64 v32, v32, v48, s[40:41]
	v_sub_u32_e32 v48, 0, v43
	v_cmp_eq_u16_e64 s[0:1], 0, v33
	v_and_b32_e32 v33, 8, v27
	v_cmp_eq_u16_e64 s[2:3], 0, v52
	v_and_b32_e32 v52, 16, v27
	v_and_b32_e32 v27, 32, v27
	v_add3_u32 v4, v4, v22, v41
	v_sub_u32_e32 v54, 0, v49
	v_cndmask_b32_e64 v25, v39, v25, s[36:37]
	v_sub_u32_e32 v39, 0, v17
	v_cndmask_b32_e64 v16, v34, v16, s[42:43]
	;; [unrolled: 2-line block ×3, first 2 shown]
	v_sub_u32_e32 v53, 0, v14
	v_cmp_eq_u16_e64 s[4:5], 0, v33
	v_cmp_eq_u16_e64 s[8:9], 0, v27
	v_cndmask_b32_e32 v23, v51, v23, vcc
	v_cndmask_b32_e64 v27, v48, v43, s[0:1]
	v_add3_u32 v4, v4, v42, v21
	v_cndmask_b32_e64 v49, v54, v49, s[46:47]
	v_sub_u32_e32 v54, 0, v24
	v_cndmask_b32_e64 v17, v17, v39, s[30:31]
	v_sub_u32_e32 v39, 0, v45
	v_cmp_eq_u16_e64 s[6:7], 0, v52
	v_cndmask_b32_e64 v33, v34, v44, s[2:3]
	v_cndmask_b32_e64 v14, v53, v14, s[4:5]
	v_add3_u32 v4, v4, v23, v27
	v_cndmask_b32_e64 v24, v54, v24, s[6:7]
	v_cndmask_b32_e64 v34, v39, v45, s[8:9]
	v_add3_u32 v4, v4, v33, v14
	v_add3_u32 v4, v4, v24, v34
	;; [unrolled: 1-line block ×7, first 2 shown]
	v_add_f32_e32 v28, 0.5, v28
	v_cvt_f32_i32_e32 v4, v4
	v_mul_f32_e32 v5, v28, v30
	v_mul_f32_e32 v5, v5, v29
	;; [unrolled: 1-line block ×3, first 2 shown]
	v_fmac_f32_e32 v9, v5, v4
	s_andn2_b64 exec, exec, s[58:59]
	s_cbranch_execnz .LBB266_3
; %bb.4:
	s_or_b64 exec, exec, s[58:59]
.LBB266_5:
	s_or_b64 exec, exec, s[56:57]
	v_mbcnt_lo_u32_b32 v0, -1, 0
	v_mbcnt_hi_u32_b32 v1, -1, v0
	v_and_b32_e32 v0, 64, v1
	v_add_u32_e32 v2, 64, v0
	v_xor_b32_e32 v0, 32, v1
	v_cmp_lt_i32_e32 vcc, v0, v2
	v_cndmask_b32_e32 v0, v1, v0, vcc
	v_lshlrev_b32_e32 v0, 2, v0
	ds_bpermute_b32 v0, v0, v9
	v_xor_b32_e32 v3, 16, v1
	v_cmp_lt_i32_e32 vcc, v3, v2
	v_cndmask_b32_e32 v3, v1, v3, vcc
	v_lshlrev_b32_e32 v3, 2, v3
	s_waitcnt lgkmcnt(0)
	v_add_f32_e32 v0, v9, v0
	ds_bpermute_b32 v3, v3, v0
	v_xor_b32_e32 v4, 8, v1
	v_cmp_lt_i32_e32 vcc, v4, v2
	s_waitcnt lgkmcnt(0)
	v_add_f32_e32 v0, v0, v3
	v_cndmask_b32_e32 v3, v1, v4, vcc
	v_lshlrev_b32_e32 v3, 2, v3
	ds_bpermute_b32 v3, v3, v0
	v_xor_b32_e32 v4, 4, v1
	v_cmp_lt_i32_e32 vcc, v4, v2
	s_waitcnt lgkmcnt(0)
	v_add_f32_e32 v0, v0, v3
	v_cndmask_b32_e32 v3, v1, v4, vcc
	v_lshlrev_b32_e32 v3, 2, v3
	;; [unrolled: 7-line block ×3, first 2 shown]
	ds_bpermute_b32 v3, v3, v0
	v_xor_b32_e32 v4, 1, v1
	v_cmp_lt_i32_e32 vcc, v4, v2
	v_cndmask_b32_e32 v1, v1, v4, vcc
	v_lshlrev_b32_e32 v1, 2, v1
	s_waitcnt lgkmcnt(0)
	v_add_f32_e32 v0, v0, v3
	ds_bpermute_b32 v1, v1, v0
	v_cmp_eq_u32_e32 vcc, 0, v7
	s_and_b64 exec, exec, vcc
	s_cbranch_execz .LBB266_7
; %bb.6:
	s_waitcnt lgkmcnt(0)
	v_add_f32_e32 v0, v0, v1
	s_mul_i32 s0, s52, s50
	v_cvt_f16_f32_e32 v2, v0
	v_add_u32_e32 v0, s0, v6
	v_mov_b32_e32 v1, 0
	v_lshlrev_b64 v[0:1], 1, v[0:1]
	v_mov_b32_e32 v3, s55
	v_add_co_u32_e32 v0, vcc, s54, v0
	v_addc_co_u32_e32 v1, vcc, v3, v1, vcc
	global_store_short v[0:1], v2, off
.LBB266_7:
	s_endpgm
	.section	.rodata,"a",@progbits
	.p2align	6, 0x0
	.amdhsa_kernel _ZL9moe_vec_qIN3c104HalfELi256ELi8E13block_iq2_xxsLi1EXadL_ZL20vec_dot_iq2_xxs_q8_1PKvPK10block_q8_1RKiEEEvS4_S4_PT_PS8_iiii
		.amdhsa_group_segment_fixed_size 0
		.amdhsa_private_segment_fixed_size 0
		.amdhsa_kernarg_size 304
		.amdhsa_user_sgpr_count 6
		.amdhsa_user_sgpr_private_segment_buffer 1
		.amdhsa_user_sgpr_dispatch_ptr 0
		.amdhsa_user_sgpr_queue_ptr 0
		.amdhsa_user_sgpr_kernarg_segment_ptr 1
		.amdhsa_user_sgpr_dispatch_id 0
		.amdhsa_user_sgpr_flat_scratch_init 0
		.amdhsa_user_sgpr_kernarg_preload_length 0
		.amdhsa_user_sgpr_kernarg_preload_offset 0
		.amdhsa_user_sgpr_private_segment_size 0
		.amdhsa_uses_dynamic_stack 0
		.amdhsa_system_sgpr_private_segment_wavefront_offset 0
		.amdhsa_system_sgpr_workgroup_id_x 1
		.amdhsa_system_sgpr_workgroup_id_y 0
		.amdhsa_system_sgpr_workgroup_id_z 1
		.amdhsa_system_sgpr_workgroup_info 0
		.amdhsa_system_vgpr_workitem_id 1
		.amdhsa_next_free_vgpr 55
		.amdhsa_next_free_sgpr 61
		.amdhsa_accum_offset 56
		.amdhsa_reserve_vcc 1
		.amdhsa_reserve_flat_scratch 0
		.amdhsa_float_round_mode_32 0
		.amdhsa_float_round_mode_16_64 0
		.amdhsa_float_denorm_mode_32 3
		.amdhsa_float_denorm_mode_16_64 3
		.amdhsa_dx10_clamp 1
		.amdhsa_ieee_mode 1
		.amdhsa_fp16_overflow 0
		.amdhsa_tg_split 0
		.amdhsa_exception_fp_ieee_invalid_op 0
		.amdhsa_exception_fp_denorm_src 0
		.amdhsa_exception_fp_ieee_div_zero 0
		.amdhsa_exception_fp_ieee_overflow 0
		.amdhsa_exception_fp_ieee_underflow 0
		.amdhsa_exception_fp_ieee_inexact 0
		.amdhsa_exception_int_div_zero 0
	.end_amdhsa_kernel
	.section	.text._ZL9moe_vec_qIN3c104HalfELi256ELi8E13block_iq2_xxsLi1EXadL_ZL20vec_dot_iq2_xxs_q8_1PKvPK10block_q8_1RKiEEEvS4_S4_PT_PS8_iiii,"axG",@progbits,_ZL9moe_vec_qIN3c104HalfELi256ELi8E13block_iq2_xxsLi1EXadL_ZL20vec_dot_iq2_xxs_q8_1PKvPK10block_q8_1RKiEEEvS4_S4_PT_PS8_iiii,comdat
.Lfunc_end266:
	.size	_ZL9moe_vec_qIN3c104HalfELi256ELi8E13block_iq2_xxsLi1EXadL_ZL20vec_dot_iq2_xxs_q8_1PKvPK10block_q8_1RKiEEEvS4_S4_PT_PS8_iiii, .Lfunc_end266-_ZL9moe_vec_qIN3c104HalfELi256ELi8E13block_iq2_xxsLi1EXadL_ZL20vec_dot_iq2_xxs_q8_1PKvPK10block_q8_1RKiEEEvS4_S4_PT_PS8_iiii
                                        ; -- End function
	.section	.AMDGPU.csdata,"",@progbits
; Kernel info:
; codeLenInByte = 2112
; NumSgprs: 65
; NumVgprs: 55
; NumAgprs: 0
; TotalNumVgprs: 55
; ScratchSize: 0
; MemoryBound: 0
; FloatMode: 240
; IeeeMode: 1
; LDSByteSize: 0 bytes/workgroup (compile time only)
; SGPRBlocks: 8
; VGPRBlocks: 6
; NumSGPRsForWavesPerEU: 65
; NumVGPRsForWavesPerEU: 55
; AccumOffset: 56
; Occupancy: 8
; WaveLimiterHint : 1
; COMPUTE_PGM_RSRC2:SCRATCH_EN: 0
; COMPUTE_PGM_RSRC2:USER_SGPR: 6
; COMPUTE_PGM_RSRC2:TRAP_HANDLER: 0
; COMPUTE_PGM_RSRC2:TGID_X_EN: 1
; COMPUTE_PGM_RSRC2:TGID_Y_EN: 0
; COMPUTE_PGM_RSRC2:TGID_Z_EN: 1
; COMPUTE_PGM_RSRC2:TIDIG_COMP_CNT: 1
; COMPUTE_PGM_RSRC3_GFX90A:ACCUM_OFFSET: 13
; COMPUTE_PGM_RSRC3_GFX90A:TG_SPLIT: 0
	.section	.text._ZL9moe_vec_qIN3c104HalfELi256ELi8E12block_iq2_xsLi1EXadL_ZL19vec_dot_iq2_xs_q8_1PKvPK10block_q8_1RKiEEEvS4_S4_PT_PS8_iiii,"axG",@progbits,_ZL9moe_vec_qIN3c104HalfELi256ELi8E12block_iq2_xsLi1EXadL_ZL19vec_dot_iq2_xs_q8_1PKvPK10block_q8_1RKiEEEvS4_S4_PT_PS8_iiii,comdat
	.globl	_ZL9moe_vec_qIN3c104HalfELi256ELi8E12block_iq2_xsLi1EXadL_ZL19vec_dot_iq2_xs_q8_1PKvPK10block_q8_1RKiEEEvS4_S4_PT_PS8_iiii ; -- Begin function _ZL9moe_vec_qIN3c104HalfELi256ELi8E12block_iq2_xsLi1EXadL_ZL19vec_dot_iq2_xs_q8_1PKvPK10block_q8_1RKiEEEvS4_S4_PT_PS8_iiii
	.p2align	8
	.type	_ZL9moe_vec_qIN3c104HalfELi256ELi8E12block_iq2_xsLi1EXadL_ZL19vec_dot_iq2_xs_q8_1PKvPK10block_q8_1RKiEEEvS4_S4_PT_PS8_iiii,@function
_ZL9moe_vec_qIN3c104HalfELi256ELi8E12block_iq2_xsLi1EXadL_ZL19vec_dot_iq2_xs_q8_1PKvPK10block_q8_1RKiEEEvS4_S4_PT_PS8_iiii: ; @_ZL9moe_vec_qIN3c104HalfELi256ELi8E12block_iq2_xsLi1EXadL_ZL19vec_dot_iq2_xs_q8_1PKvPK10block_q8_1RKiEEEvS4_S4_PT_PS8_iiii
; %bb.0:
	s_load_dword s0, s[4:5], 0x3c
	s_load_dwordx4 s[64:67], s[4:5], 0x20
	v_bfe_u32 v1, v0, 10, 10
	s_waitcnt lgkmcnt(0)
	s_lshr_b32 s0, s0, 16
	s_mul_i32 s6, s6, s0
	v_add_u32_e32 v9, s6, v1
	v_cmp_gt_u32_e32 vcc, s66, v9
	s_and_saveexec_b64 s[0:1], vcc
	s_cbranch_execz .LBB267_7
; %bb.1:
	s_load_dwordx2 s[70:71], s[4:5], 0x10
	s_ashr_i32 s0, s65, 31
	s_lshr_b32 s0, s0, 24
	s_add_i32 s0, s65, s0
	v_and_b32_e32 v16, 0x3ff, v0
	s_ashr_i32 s33, s0, 8
	v_lshrrev_b32_e32 v17, 3, v16
	s_mov_b32 s68, s7
	v_cmp_gt_u32_e32 vcc, s33, v17
	v_mov_b32_e32 v18, 0
	s_and_saveexec_b64 s[72:73], vcc
	s_cbranch_execz .LBB267_5
; %bb.2:
	s_load_dwordx2 s[0:1], s[4:5], 0x18
	v_cvt_f32_u32_e32 v0, s64
	s_mov_b32 s69, 0
	s_lshl_b64 s[2:3], s[68:69], 2
	v_and_b32_e32 v8, 7, v16
	s_waitcnt lgkmcnt(0)
	s_add_u32 s6, s0, s2
	v_rcp_iflag_f32_e32 v0, v0
	s_addc_u32 s7, s1, s3
	s_load_dword s8, s[6:7], 0x0
	s_load_dwordx4 s[0:3], s[4:5], 0x0
	s_mul_i32 s4, s33, s66
	v_mul_f32_e32 v0, 0x4f7ffffe, v0
	v_cvt_u32_f32_e32 v0, v0
	s_waitcnt lgkmcnt(0)
	s_mul_i32 s4, s4, s8
	s_mul_hi_i32 s5, s4, 0x4a
	s_mulk_i32 s4, 0x4a
	s_add_u32 s0, s0, s4
	s_addc_u32 s1, s1, s5
	s_sub_i32 s4, 0, s64
	v_readfirstlane_b32 s5, v0
	s_mul_i32 s4, s4, s5
	s_mul_hi_u32 s4, s5, s4
	s_add_i32 s5, s5, s4
	s_mul_hi_u32 s4, s68, s5
	s_mul_i32 s5, s4, s64
	s_sub_i32 s5, s68, s5
	s_add_i32 s6, s4, 1
	s_sub_i32 s7, s5, s64
	s_cmp_ge_u32 s5, s64
	s_cselect_b32 s4, s6, s4
	s_cselect_b32 s5, s7, s5
	s_add_i32 s6, s4, 1
	s_cmp_ge_u32 s5, s64
	s_cselect_b32 s4, s6, s4
	s_mul_i32 s4, s4, s67
	s_mov_b32 s5, s69
	s_lshl_b64 s[4:5], s[4:5], 2
	s_add_u32 s2, s2, s4
	s_addc_u32 s3, s3, s5
	v_lshlrev_b32_e32 v0, 2, v8
	s_movk_i32 s74, 0x4a
	v_mul_lo_u32 v19, v9, s33
	v_mov_b32_e32 v20, 0
	v_mad_u64_u32 v[10:11], s[2:3], v8, 36, s[2:3]
	v_lshlrev_b32_e32 v21, 3, v17
	s_mov_b64 s[64:65], 0
	v_pk_mov_b32 v[12:13], s[0:1], s[0:1] op_sel:[0,1]
	v_lshlrev_b32_e32 v22, 1, v0
	v_mov_b32_e32 v18, 0
.LBB267_3:                              ; =>This Inner Loop Header: Depth=1
	v_add_u32_e32 v0, v19, v17
	v_mad_i64_i32 v[26:27], s[4:5], v0, s74, v[12:13]
	v_add_co_u32_e32 v28, vcc, v26, v22
	v_addc_co_u32_e32 v29, vcc, 0, v27, vcc
	v_mad_i64_i32 v[14:15], s[0:1], v21, 36, v[10:11]
	v_add_co_u32_e32 v30, vcc, v26, v8
	global_load_dwordx4 v[0:3], v[14:15], off offset:20
	global_load_dwordx4 v[4:7], v[14:15], off offset:4
	global_load_ushort v23, v[14:15], off
	v_addc_co_u32_e32 v31, vcc, 0, v27, vcc
	global_load_ushort v25, v[26:27], off
	global_load_dwordx2 v[14:15], v[28:29], off offset:2
	global_load_ubyte v24, v[30:31], off offset:66
	s_getpc_b64 s[0:1]
	s_add_u32 s0, s0, _ZL10iq2xs_grid@rel32@lo+4
	s_addc_u32 s1, s1, _ZL10iq2xs_grid@rel32@hi+12
	s_getpc_b64 s[2:3]
	s_add_u32 s2, s2, _ZL12ksigns_iq2xs@rel32@lo+4
	s_addc_u32 s3, s3, _ZL12ksigns_iq2xs@rel32@hi+12
	v_add_u32_e32 v17, 8, v17
	v_add_u32_e32 v21, 64, v21
	s_waitcnt vmcnt(3)
	v_cvt_f32_f16_e32 v23, v23
	s_waitcnt vmcnt(2)
	v_cvt_f32_f16_e32 v25, v25
	s_waitcnt vmcnt(1)
	v_bfe_u32 v27, v14, 9, 7
	v_and_b32_e32 v26, 0x1ff, v14
	v_lshrrev_b32_e32 v28, 13, v14
	v_lshrrev_b32_e32 v29, 25, v14
	v_and_b32_e32 v30, 0x1ff, v15
	v_bfe_u32 v31, v15, 9, 7
	v_lshrrev_b32_e32 v32, 13, v15
	v_lshrrev_b32_e32 v34, 25, v15
	global_load_sbyte v35, v27, s[2:3]
	global_load_sbyte v36, v29, s[2:3]
	;; [unrolled: 1-line block ×3, first 2 shown]
	v_lshlrev_b32_e32 v38, 3, v26
	v_and_b32_e32 v39, 0xff8, v28
	v_lshlrev_b32_e32 v40, 3, v30
	v_and_b32_e32 v41, 0xff8, v32
	global_load_sbyte v42, v34, s[2:3]
	global_load_dwordx2 v[26:27], v38, s[0:1]
	global_load_dwordx2 v[28:29], v39, s[0:1]
	;; [unrolled: 1-line block ×4, first 2 shown]
	v_cmp_gt_i16_e64 s[0:1], 0, v15
	v_cmp_lt_i16_sdwa vcc, v15, v20 src0_sel:WORD_1 src1_sel:DWORD
	v_cmp_gt_i16_e64 s[4:5], 0, v14
	v_cmp_lt_i16_sdwa s[2:3], v14, v20 src0_sel:WORD_1 src1_sel:DWORD
	s_waitcnt vmcnt(7)
	v_and_b32_e32 v34, 2, v35
	s_waitcnt vmcnt(6)
	v_and_b32_e32 v45, 4, v36
	v_and_b32_e32 v46, 8, v36
	;; [unrolled: 1-line block ×3, first 2 shown]
	s_waitcnt vmcnt(5)
	v_and_b32_e32 v49, 1, v37
	v_and_b32_e32 v50, 2, v37
	s_waitcnt vmcnt(3)
	v_mul_i32_i24_sdwa v56, v26, sext(v4) dst_sel:DWORD dst_unused:UNUSED_PAD src0_sel:BYTE_0 src1_sel:BYTE_0
	v_mul_i32_i24_sdwa v57, v26, sext(v4) dst_sel:DWORD dst_unused:UNUSED_PAD src0_sel:BYTE_1 src1_sel:BYTE_1
	v_mul_i32_i24_sdwa v58, v26, sext(v4) dst_sel:DWORD dst_unused:UNUSED_PAD src0_sel:BYTE_2 src1_sel:BYTE_2
	v_mul_i32_i24_sdwa v4, v26, sext(v4) dst_sel:DWORD dst_unused:UNUSED_PAD src0_sel:BYTE_3 src1_sel:BYTE_3
	v_mul_i32_i24_sdwa v26, v27, sext(v5) dst_sel:DWORD dst_unused:UNUSED_PAD src0_sel:BYTE_0 src1_sel:BYTE_0
	v_mul_i32_i24_sdwa v59, v27, sext(v5) dst_sel:DWORD dst_unused:UNUSED_PAD src0_sel:BYTE_1 src1_sel:BYTE_1
	v_mul_i32_i24_sdwa v60, v27, sext(v5) dst_sel:DWORD dst_unused:UNUSED_PAD src0_sel:BYTE_2 src1_sel:BYTE_2
	v_mul_i32_i24_sdwa v5, v27, sext(v5) dst_sel:DWORD dst_unused:UNUSED_PAD src0_sel:BYTE_3 src1_sel:BYTE_3
	s_waitcnt vmcnt(2)
	v_mul_i32_i24_sdwa v27, v28, sext(v6) dst_sel:DWORD dst_unused:UNUSED_PAD src0_sel:BYTE_0 src1_sel:BYTE_0
	v_mul_i32_i24_sdwa v61, v28, sext(v6) dst_sel:DWORD dst_unused:UNUSED_PAD src0_sel:BYTE_1 src1_sel:BYTE_1
	v_mul_i32_i24_sdwa v62, v28, sext(v6) dst_sel:DWORD dst_unused:UNUSED_PAD src0_sel:BYTE_2 src1_sel:BYTE_2
	v_mul_i32_i24_sdwa v6, v28, sext(v6) dst_sel:DWORD dst_unused:UNUSED_PAD src0_sel:BYTE_3 src1_sel:BYTE_3
	v_mul_i32_i24_sdwa v28, v29, sext(v7) dst_sel:DWORD dst_unused:UNUSED_PAD src0_sel:BYTE_0 src1_sel:BYTE_0
	v_mul_i32_i24_sdwa v63, v29, sext(v7) dst_sel:DWORD dst_unused:UNUSED_PAD src0_sel:BYTE_1 src1_sel:BYTE_1
	v_mul_i32_i24_sdwa v64, v29, sext(v7) dst_sel:DWORD dst_unused:UNUSED_PAD src0_sel:BYTE_2 src1_sel:BYTE_2
	v_mul_i32_i24_sdwa v7, v29, sext(v7) dst_sel:DWORD dst_unused:UNUSED_PAD src0_sel:BYTE_3 src1_sel:BYTE_3
	s_waitcnt vmcnt(1)
	v_mul_i32_i24_sdwa v29, v30, sext(v0) dst_sel:DWORD dst_unused:UNUSED_PAD src0_sel:BYTE_0 src1_sel:BYTE_0
	v_mul_i32_i24_sdwa v65, v30, sext(v0) dst_sel:DWORD dst_unused:UNUSED_PAD src0_sel:BYTE_1 src1_sel:BYTE_1
	v_and_b32_e32 v15, 4, v42
	v_and_b32_e32 v38, 4, v35
	v_and_b32_e32 v39, 8, v35
	v_and_b32_e32 v40, 16, v35
	v_and_b32_e32 v41, 32, v35
	v_and_b32_e32 v47, 16, v36
	v_and_b32_e32 v51, 4, v37
	v_and_b32_e32 v52, 8, v37
	v_mul_i32_i24_sdwa v66, v30, sext(v0) dst_sel:DWORD dst_unused:UNUSED_PAD src0_sel:BYTE_2 src1_sel:BYTE_2
	v_mul_i32_i24_sdwa v0, v30, sext(v0) dst_sel:DWORD dst_unused:UNUSED_PAD src0_sel:BYTE_3 src1_sel:BYTE_3
	v_cmp_eq_u16_e64 s[24:25], 0, v45
	v_sub_u32_e32 v45, 0, v6
	v_cmp_eq_u16_e64 s[26:27], 0, v46
	v_cmp_eq_u16_e64 s[30:31], 0, v48
	v_sub_u32_e32 v48, 0, v29
	v_cmp_eq_u16_e64 s[34:35], 0, v49
	v_sub_u32_e32 v49, 0, v65
	v_cmp_eq_u16_e64 s[36:37], 0, v50
	v_cmp_eq_u16_e64 s[50:51], 0, v15
	v_and_b32_e32 v15, 8, v42
	v_cmp_gt_i16_e64 s[60:61], 0, v35
	v_and_b32_e32 v35, 1, v35
	v_and_b32_e32 v43, 1, v36
	;; [unrolled: 1-line block ×5, first 2 shown]
	v_mul_i32_i24_sdwa v30, v31, sext(v1) dst_sel:DWORD dst_unused:UNUSED_PAD src0_sel:BYTE_0 src1_sel:BYTE_0
	v_mul_i32_i24_sdwa v67, v31, sext(v1) dst_sel:DWORD dst_unused:UNUSED_PAD src0_sel:BYTE_1 src1_sel:BYTE_1
	v_mul_i32_i24_sdwa v68, v31, sext(v1) dst_sel:DWORD dst_unused:UNUSED_PAD src0_sel:BYTE_2 src1_sel:BYTE_2
	v_mul_i32_i24_sdwa v1, v31, sext(v1) dst_sel:DWORD dst_unused:UNUSED_PAD src0_sel:BYTE_3 src1_sel:BYTE_3
	s_waitcnt vmcnt(0)
	v_mul_i32_i24_sdwa v31, v32, sext(v2) dst_sel:DWORD dst_unused:UNUSED_PAD src0_sel:BYTE_0 src1_sel:BYTE_0
	v_mul_i32_i24_sdwa v69, v32, sext(v2) dst_sel:DWORD dst_unused:UNUSED_PAD src0_sel:BYTE_1 src1_sel:BYTE_1
	v_mul_i32_i24_sdwa v70, v32, sext(v2) dst_sel:DWORD dst_unused:UNUSED_PAD src0_sel:BYTE_2 src1_sel:BYTE_2
	v_mul_i32_i24_sdwa v2, v32, sext(v2) dst_sel:DWORD dst_unused:UNUSED_PAD src0_sel:BYTE_3 src1_sel:BYTE_3
	v_mul_i32_i24_sdwa v32, v33, sext(v3) dst_sel:DWORD dst_unused:UNUSED_PAD src0_sel:BYTE_0 src1_sel:BYTE_0
	v_mul_i32_i24_sdwa v71, v33, sext(v3) dst_sel:DWORD dst_unused:UNUSED_PAD src0_sel:BYTE_1 src1_sel:BYTE_1
	v_mul_i32_i24_sdwa v72, v33, sext(v3) dst_sel:DWORD dst_unused:UNUSED_PAD src0_sel:BYTE_2 src1_sel:BYTE_2
	v_mul_i32_i24_sdwa v3, v33, sext(v3) dst_sel:DWORD dst_unused:UNUSED_PAD src0_sel:BYTE_3 src1_sel:BYTE_3
	v_cmp_gt_i16_e64 s[8:9], 0, v37
	v_sub_u32_e32 v37, 0, v57
	v_cmp_eq_u16_e64 s[10:11], 0, v34
	v_sub_u32_e32 v46, 0, v28
	v_cmp_eq_u16_e64 s[28:29], 0, v47
	;; [unrolled: 2-line block ×4, first 2 shown]
	v_cmp_eq_u16_e64 s[52:53], 0, v15
	v_and_b32_e32 v15, 16, v42
	v_sub_u32_e32 v80, 0, v56
	v_cmp_eq_u16_e64 s[62:63], 0, v35
	v_cndmask_b32_e64 v6, v45, v6, s[26:27]
	v_cndmask_b32_e64 v29, v48, v29, s[34:35]
	;; [unrolled: 1-line block ×3, first 2 shown]
	v_sub_u32_e32 v34, 0, v58
	v_cmp_eq_u16_e64 s[12:13], 0, v38
	v_sub_u32_e32 v38, 0, v4
	v_cmp_eq_u16_e64 s[14:15], 0, v39
	v_cmp_eq_u16_e64 s[18:19], 0, v41
	v_sub_u32_e32 v41, 0, v27
	v_cmp_eq_u16_e64 s[20:21], 0, v43
	v_sub_u32_e32 v43, 0, v61
	;; [unrolled: 2-line block ×3, first 2 shown]
	v_sub_u32_e32 v52, 0, v30
	v_cmp_eq_u16_e64 s[42:43], 0, v53
	v_sub_u32_e32 v53, 0, v67
	v_cmp_eq_u16_e64 s[44:45], 0, v54
	v_cmp_eq_u16_e64 s[54:55], 0, v15
	v_sub_u32_e32 v15, 0, v3
	v_cmp_gt_i16_e64 s[56:57], 0, v42
	v_cndmask_b32_e64 v35, v80, v56, s[62:63]
	v_cndmask_b32_e64 v37, v37, v57, s[10:11]
	;; [unrolled: 1-line block ×5, first 2 shown]
	v_add_u32_e32 v29, v45, v29
	v_and_b32_e32 v55, 1, v42
	v_and_b32_e32 v33, 2, v42
	v_sub_u32_e32 v14, 0, v68
	v_cmp_gt_i16_e64 s[6:7], 0, v36
	v_sub_u32_e32 v36, 0, v1
	v_sub_u32_e32 v39, 0, v26
	v_cmp_eq_u16_e64 s[16:17], 0, v40
	v_sub_u32_e32 v40, 0, v59
	v_and_b32_e32 v42, 32, v42
	v_cndmask_b32_e64 v34, v34, v58, s[12:13]
	v_cndmask_b32_e64 v4, v38, v4, s[14:15]
	;; [unrolled: 1-line block ×8, first 2 shown]
	v_add_u32_e32 v15, v37, v35
	v_add3_u32 v0, v29, v46, v0
	v_sub_u32_e32 v73, 0, v60
	v_sub_u32_e32 v54, 0, v31
	v_cmp_eq_u16_e64 s[46:47], 0, v55
	v_sub_u32_e32 v55, 0, v69
	v_cmp_eq_u16_e64 s[48:49], 0, v33
	v_cmp_eq_u16_e64 s[58:59], 0, v42
	v_sub_u32_e32 v42, 0, v5
	v_cndmask_b32_e64 v26, v39, v26, s[16:17]
	v_cndmask_b32_e64 v39, v40, v59, s[18:19]
	;; [unrolled: 1-line block ×4, first 2 shown]
	v_add3_u32 v4, v15, v34, v4
	v_add3_u32 v0, v0, v30, v47
	v_sub_u32_e32 v33, 0, v70
	v_sub_u32_e32 v77, 0, v2
	v_cndmask_b32_e64 v40, v60, v73, s[4:5]
	v_cndmask_b32_e64 v5, v5, v42, s[60:61]
	;; [unrolled: 1-line block ×4, first 2 shown]
	v_add3_u32 v4, v4, v26, v39
	v_add3_u32 v0, v0, v14, v1
	v_sub_u32_e32 v44, 0, v62
	v_sub_u32_e32 v78, 0, v32
	;; [unrolled: 1-line block ×3, first 2 shown]
	v_cndmask_b32_e64 v33, v33, v70, s[50:51]
	v_cndmask_b32_e64 v2, v77, v2, s[52:53]
	v_add3_u32 v4, v4, v40, v5
	v_add3_u32 v0, v0, v31, v36
	v_sub_u32_e32 v75, 0, v72
	v_cndmask_b32_e64 v42, v44, v62, s[24:25]
	v_cndmask_b32_e64 v32, v78, v32, s[54:55]
	;; [unrolled: 1-line block ×3, first 2 shown]
	v_add3_u32 v1, v4, v27, v41
	v_add3_u32 v0, v0, v33, v2
	v_sub_u32_e32 v74, 0, v64
	v_sub_u32_e32 v76, 0, v7
	v_cndmask_b32_e32 v49, v72, v75, vcc
	v_add3_u32 v1, v1, v42, v6
	v_add3_u32 v0, v0, v32, v48
	v_cndmask_b32_e64 v44, v64, v74, s[2:3]
	v_cndmask_b32_e64 v7, v7, v76, s[6:7]
	v_add3_u32 v1, v1, v28, v43
	v_add3_u32 v0, v0, v49, v3
	;; [unrolled: 1-line block ×3, first 2 shown]
	v_cvt_f32_i32_e32 v0, v0
	v_lshrrev_b16_e32 v38, 4, v24
	v_cvt_f32_i32_e32 v1, v1
	v_and_b32_e32 v24, 15, v24
	v_cvt_f32_ubyte0_e32 v38, v38
	v_cvt_f32_ubyte0_e32 v24, v24
	v_add_f32_e32 v38, 0.5, v38
	v_add_f32_e32 v24, 0.5, v24
	v_mul_f32_e32 v2, v25, v23
	v_mul_f32_e32 v0, v38, v0
	v_cmp_le_u32_e64 s[10:11], s33, v17
	v_mul_f32_e32 v2, 0x3e800000, v2
	v_fmac_f32_e32 v0, v24, v1
	s_or_b64 s[64:65], s[10:11], s[64:65]
	v_fmac_f32_e32 v18, v2, v0
	s_andn2_b64 exec, exec, s[64:65]
	s_cbranch_execnz .LBB267_3
; %bb.4:
	s_or_b64 exec, exec, s[64:65]
.LBB267_5:
	s_or_b64 exec, exec, s[72:73]
	v_mbcnt_lo_u32_b32 v0, -1, 0
	v_mbcnt_hi_u32_b32 v1, -1, v0
	v_and_b32_e32 v0, 64, v1
	v_add_u32_e32 v2, 64, v0
	v_xor_b32_e32 v0, 32, v1
	v_cmp_lt_i32_e32 vcc, v0, v2
	v_cndmask_b32_e32 v0, v1, v0, vcc
	v_lshlrev_b32_e32 v0, 2, v0
	ds_bpermute_b32 v0, v0, v18
	v_xor_b32_e32 v3, 16, v1
	v_cmp_lt_i32_e32 vcc, v3, v2
	v_cndmask_b32_e32 v3, v1, v3, vcc
	v_lshlrev_b32_e32 v3, 2, v3
	s_waitcnt lgkmcnt(0)
	v_add_f32_e32 v0, v18, v0
	ds_bpermute_b32 v3, v3, v0
	v_xor_b32_e32 v4, 8, v1
	v_cmp_lt_i32_e32 vcc, v4, v2
	s_waitcnt lgkmcnt(0)
	v_add_f32_e32 v0, v0, v3
	v_cndmask_b32_e32 v3, v1, v4, vcc
	v_lshlrev_b32_e32 v3, 2, v3
	ds_bpermute_b32 v3, v3, v0
	v_xor_b32_e32 v4, 4, v1
	v_cmp_lt_i32_e32 vcc, v4, v2
	s_waitcnt lgkmcnt(0)
	v_add_f32_e32 v0, v0, v3
	v_cndmask_b32_e32 v3, v1, v4, vcc
	v_lshlrev_b32_e32 v3, 2, v3
	;; [unrolled: 7-line block ×3, first 2 shown]
	ds_bpermute_b32 v3, v3, v0
	v_xor_b32_e32 v4, 1, v1
	v_cmp_lt_i32_e32 vcc, v4, v2
	v_cndmask_b32_e32 v1, v1, v4, vcc
	v_lshlrev_b32_e32 v1, 2, v1
	s_waitcnt lgkmcnt(0)
	v_add_f32_e32 v0, v0, v3
	ds_bpermute_b32 v1, v1, v0
	v_cmp_eq_u32_e32 vcc, 0, v16
	s_and_b64 exec, exec, vcc
	s_cbranch_execz .LBB267_7
; %bb.6:
	s_waitcnt lgkmcnt(0)
	v_add_f32_e32 v0, v0, v1
	s_mul_i32 s0, s68, s66
	v_cvt_f16_f32_e32 v2, v0
	v_add_u32_e32 v0, s0, v9
	v_mov_b32_e32 v1, 0
	v_lshlrev_b64 v[0:1], 1, v[0:1]
	v_mov_b32_e32 v3, s71
	v_add_co_u32_e32 v0, vcc, s70, v0
	v_addc_co_u32_e32 v1, vcc, v3, v1, vcc
	global_store_short v[0:1], v2, off
.LBB267_7:
	s_endpgm
	.section	.rodata,"a",@progbits
	.p2align	6, 0x0
	.amdhsa_kernel _ZL9moe_vec_qIN3c104HalfELi256ELi8E12block_iq2_xsLi1EXadL_ZL19vec_dot_iq2_xs_q8_1PKvPK10block_q8_1RKiEEEvS4_S4_PT_PS8_iiii
		.amdhsa_group_segment_fixed_size 0
		.amdhsa_private_segment_fixed_size 0
		.amdhsa_kernarg_size 304
		.amdhsa_user_sgpr_count 6
		.amdhsa_user_sgpr_private_segment_buffer 1
		.amdhsa_user_sgpr_dispatch_ptr 0
		.amdhsa_user_sgpr_queue_ptr 0
		.amdhsa_user_sgpr_kernarg_segment_ptr 1
		.amdhsa_user_sgpr_dispatch_id 0
		.amdhsa_user_sgpr_flat_scratch_init 0
		.amdhsa_user_sgpr_kernarg_preload_length 0
		.amdhsa_user_sgpr_kernarg_preload_offset 0
		.amdhsa_user_sgpr_private_segment_size 0
		.amdhsa_uses_dynamic_stack 0
		.amdhsa_system_sgpr_private_segment_wavefront_offset 0
		.amdhsa_system_sgpr_workgroup_id_x 1
		.amdhsa_system_sgpr_workgroup_id_y 0
		.amdhsa_system_sgpr_workgroup_id_z 1
		.amdhsa_system_sgpr_workgroup_info 0
		.amdhsa_system_vgpr_workitem_id 1
		.amdhsa_next_free_vgpr 81
		.amdhsa_next_free_sgpr 75
		.amdhsa_accum_offset 84
		.amdhsa_reserve_vcc 1
		.amdhsa_reserve_flat_scratch 0
		.amdhsa_float_round_mode_32 0
		.amdhsa_float_round_mode_16_64 0
		.amdhsa_float_denorm_mode_32 3
		.amdhsa_float_denorm_mode_16_64 3
		.amdhsa_dx10_clamp 1
		.amdhsa_ieee_mode 1
		.amdhsa_fp16_overflow 0
		.amdhsa_tg_split 0
		.amdhsa_exception_fp_ieee_invalid_op 0
		.amdhsa_exception_fp_denorm_src 0
		.amdhsa_exception_fp_ieee_div_zero 0
		.amdhsa_exception_fp_ieee_overflow 0
		.amdhsa_exception_fp_ieee_underflow 0
		.amdhsa_exception_fp_ieee_inexact 0
		.amdhsa_exception_int_div_zero 0
	.end_amdhsa_kernel
	.section	.text._ZL9moe_vec_qIN3c104HalfELi256ELi8E12block_iq2_xsLi1EXadL_ZL19vec_dot_iq2_xs_q8_1PKvPK10block_q8_1RKiEEEvS4_S4_PT_PS8_iiii,"axG",@progbits,_ZL9moe_vec_qIN3c104HalfELi256ELi8E12block_iq2_xsLi1EXadL_ZL19vec_dot_iq2_xs_q8_1PKvPK10block_q8_1RKiEEEvS4_S4_PT_PS8_iiii,comdat
.Lfunc_end267:
	.size	_ZL9moe_vec_qIN3c104HalfELi256ELi8E12block_iq2_xsLi1EXadL_ZL19vec_dot_iq2_xs_q8_1PKvPK10block_q8_1RKiEEEvS4_S4_PT_PS8_iiii, .Lfunc_end267-_ZL9moe_vec_qIN3c104HalfELi256ELi8E12block_iq2_xsLi1EXadL_ZL19vec_dot_iq2_xs_q8_1PKvPK10block_q8_1RKiEEEvS4_S4_PT_PS8_iiii
                                        ; -- End function
	.section	.AMDGPU.csdata,"",@progbits
; Kernel info:
; codeLenInByte = 2128
; NumSgprs: 79
; NumVgprs: 81
; NumAgprs: 0
; TotalNumVgprs: 81
; ScratchSize: 0
; MemoryBound: 0
; FloatMode: 240
; IeeeMode: 1
; LDSByteSize: 0 bytes/workgroup (compile time only)
; SGPRBlocks: 9
; VGPRBlocks: 10
; NumSGPRsForWavesPerEU: 79
; NumVGPRsForWavesPerEU: 81
; AccumOffset: 84
; Occupancy: 5
; WaveLimiterHint : 1
; COMPUTE_PGM_RSRC2:SCRATCH_EN: 0
; COMPUTE_PGM_RSRC2:USER_SGPR: 6
; COMPUTE_PGM_RSRC2:TRAP_HANDLER: 0
; COMPUTE_PGM_RSRC2:TGID_X_EN: 1
; COMPUTE_PGM_RSRC2:TGID_Y_EN: 0
; COMPUTE_PGM_RSRC2:TGID_Z_EN: 1
; COMPUTE_PGM_RSRC2:TIDIG_COMP_CNT: 1
; COMPUTE_PGM_RSRC3_GFX90A:ACCUM_OFFSET: 20
; COMPUTE_PGM_RSRC3_GFX90A:TG_SPLIT: 0
	.section	.text._ZL9moe_vec_qIN3c104HalfELi256ELi8E13block_iq3_xxsLi1EXadL_ZL20vec_dot_iq3_xxs_q8_1PKvPK10block_q8_1RKiEEEvS4_S4_PT_PS8_iiii,"axG",@progbits,_ZL9moe_vec_qIN3c104HalfELi256ELi8E13block_iq3_xxsLi1EXadL_ZL20vec_dot_iq3_xxs_q8_1PKvPK10block_q8_1RKiEEEvS4_S4_PT_PS8_iiii,comdat
	.globl	_ZL9moe_vec_qIN3c104HalfELi256ELi8E13block_iq3_xxsLi1EXadL_ZL20vec_dot_iq3_xxs_q8_1PKvPK10block_q8_1RKiEEEvS4_S4_PT_PS8_iiii ; -- Begin function _ZL9moe_vec_qIN3c104HalfELi256ELi8E13block_iq3_xxsLi1EXadL_ZL20vec_dot_iq3_xxs_q8_1PKvPK10block_q8_1RKiEEEvS4_S4_PT_PS8_iiii
	.p2align	8
	.type	_ZL9moe_vec_qIN3c104HalfELi256ELi8E13block_iq3_xxsLi1EXadL_ZL20vec_dot_iq3_xxs_q8_1PKvPK10block_q8_1RKiEEEvS4_S4_PT_PS8_iiii,@function
_ZL9moe_vec_qIN3c104HalfELi256ELi8E13block_iq3_xxsLi1EXadL_ZL20vec_dot_iq3_xxs_q8_1PKvPK10block_q8_1RKiEEEvS4_S4_PT_PS8_iiii: ; @_ZL9moe_vec_qIN3c104HalfELi256ELi8E13block_iq3_xxsLi1EXadL_ZL20vec_dot_iq3_xxs_q8_1PKvPK10block_q8_1RKiEEEvS4_S4_PT_PS8_iiii
; %bb.0:
	s_mov_b32 s8, s7
	s_load_dword s7, s[4:5], 0x3c
	s_load_dwordx4 s[0:3], s[4:5], 0x20
	v_bfe_u32 v1, v0, 10, 10
	s_waitcnt lgkmcnt(0)
	s_lshr_b32 s7, s7, 16
	s_mul_i32 s6, s6, s7
	v_add_u32_e32 v9, s6, v1
	v_cmp_gt_u32_e32 vcc, s2, v9
	s_and_saveexec_b64 s[6:7], vcc
	s_cbranch_execz .LBB268_7
; %bb.1:
	s_load_dwordx2 s[6:7], s[4:5], 0x10
	s_ashr_i32 s9, s1, 31
	s_lshr_b32 s9, s9, 24
	s_add_i32 s1, s1, s9
	v_and_b32_e32 v16, 0x3ff, v0
	s_ashr_i32 s16, s1, 8
	v_lshrrev_b32_e32 v17, 3, v16
	v_cmp_gt_u32_e32 vcc, s16, v17
	v_mov_b32_e32 v18, 0
	s_and_saveexec_b64 s[10:11], vcc
	s_cbranch_execz .LBB268_5
; %bb.2:
	s_load_dwordx2 s[12:13], s[4:5], 0x18
	v_cvt_f32_u32_e32 v0, s0
	s_mov_b32 s9, 0
	s_lshl_b64 s[14:15], s[8:9], 2
	v_and_b32_e32 v1, 7, v16
	s_waitcnt lgkmcnt(0)
	s_add_u32 s18, s12, s14
	v_rcp_iflag_f32_e32 v0, v0
	s_addc_u32 s19, s13, s15
	s_load_dword s1, s[18:19], 0x0
	s_load_dwordx4 s[12:15], s[4:5], 0x0
	s_mul_i32 s4, s16, s2
	v_mul_f32_e32 v0, 0x4f7ffffe, v0
	v_cvt_u32_f32_e32 v0, v0
	s_waitcnt lgkmcnt(0)
	s_mul_i32 s1, s4, s1
	s_mul_hi_i32 s4, s1, 0x62
	s_mulk_i32 s1, 0x62
	s_add_u32 s12, s12, s1
	s_addc_u32 s13, s13, s4
	s_sub_i32 s1, 0, s0
	v_readfirstlane_b32 s4, v0
	s_mul_i32 s1, s1, s4
	s_mul_hi_u32 s1, s4, s1
	s_add_i32 s4, s4, s1
	s_mul_hi_u32 s1, s8, s4
	s_mul_i32 s4, s1, s0
	s_sub_i32 s4, s8, s4
	s_add_i32 s5, s1, 1
	s_sub_i32 s18, s4, s0
	s_cmp_ge_u32 s4, s0
	s_cselect_b32 s1, s5, s1
	s_cselect_b32 s4, s18, s4
	s_add_i32 s5, s1, 1
	s_cmp_ge_u32 s4, s0
	s_cselect_b32 s0, s5, s1
	s_mul_i32 s0, s0, s3
	s_mov_b32 s1, s9
	s_lshl_b64 s[0:1], s[0:1], 2
	s_add_u32 s0, s14, s0
	s_addc_u32 s1, s15, s1
	v_lshlrev_b32_e32 v0, 1, v1
	s_movk_i32 s17, 0x62
	v_mul_lo_u32 v19, v9, s16
	v_lshlrev_b32_e32 v8, 3, v1
	v_mov_b32_e32 v18, 0
	v_mad_u64_u32 v[10:11], s[0:1], v1, 36, s[0:1]
	v_lshlrev_b32_e32 v20, 3, v17
	s_mov_b64 s[4:5], 0
	v_pk_mov_b32 v[12:13], s[12:13], s[12:13] op_sel:[0,1]
	v_lshlrev_b32_e32 v21, 1, v0
	s_mov_b32 s3, 0xffff
	s_mov_b32 s9, 0xc060c00
	v_mov_b32_e32 v22, 2
	s_getpc_b64 s[14:15]
	s_add_u32 s14, s14, _ZL11iq3xxs_grid@rel32@lo+4
	s_addc_u32 s15, s15, _ZL11iq3xxs_grid@rel32@hi+12
	s_getpc_b64 s[12:13]
	s_add_u32 s12, s12, _ZL8ksigns64@rel32@lo+4
	s_addc_u32 s13, s13, _ZL8ksigns64@rel32@hi+12
.LBB268_3:                              ; =>This Inner Loop Header: Depth=1
	v_add_u32_e32 v0, v19, v17
	v_mad_i64_i32 v[14:15], s[0:1], v20, 36, v[10:11]
	v_mad_i64_i32 v[24:25], s[0:1], v0, s17, v[12:13]
	global_load_dword v30, v[14:15], off offset:32
	global_load_dwordx4 v[4:7], v[14:15], off
	global_load_dwordx4 v[0:3], v[14:15], off offset:16
	v_add_co_u32_e64 v14, s[0:1], v24, v8
	v_addc_co_u32_e64 v15, s[0:1], 0, v25, s[0:1]
	v_add_co_u32_e64 v26, s[0:1], v24, v21
	v_addc_co_u32_e64 v27, s[0:1], 0, v25, s[0:1]
	global_load_dword v31, v[26:27], off offset:66
	global_load_dwordx2 v[28:29], v[14:15], off offset:2
	global_load_ushort v32, v[24:25], off
	v_mov_b32_e32 v23, 0
	v_add_u32_e32 v17, 8, v17
	v_cmp_le_u32_e32 vcc, s16, v17
	v_add_u32_e32 v20, 64, v20
	s_or_b64 s[4:5], vcc, s[4:5]
	s_waitcnt vmcnt(4)
	v_cvt_f32_f16_e32 v4, v4
	s_waitcnt vmcnt(2)
	v_and_b32_e32 v25, 0x7f, v31
	v_and_b32_e32 v14, 0xffff0000, v31
	s_waitcnt vmcnt(1)
	v_lshlrev_b32_sdwa v15, v22, v28 dst_sel:DWORD dst_unused:UNUSED_PAD src0_sel:DWORD src1_sel:BYTE_0
	v_lshlrev_b32_sdwa v24, v22, v28 dst_sel:DWORD dst_unused:UNUSED_PAD src0_sel:DWORD src1_sel:BYTE_1
	v_lshlrev_b32_sdwa v26, v22, v28 dst_sel:DWORD dst_unused:UNUSED_PAD src0_sel:DWORD src1_sel:BYTE_2
	v_lshlrev_b32_sdwa v27, v22, v28 dst_sel:DWORD dst_unused:UNUSED_PAD src0_sel:DWORD src1_sel:BYTE_3
	v_lshrrev_b32_e32 v28, 4, v31
	v_lshlrev_b32_sdwa v33, v22, v29 dst_sel:DWORD dst_unused:UNUSED_PAD src0_sel:DWORD src1_sel:BYTE_0
	v_lshlrev_b32_sdwa v34, v22, v29 dst_sel:DWORD dst_unused:UNUSED_PAD src0_sel:DWORD src1_sel:BYTE_1
	v_lshlrev_b32_sdwa v35, v22, v29 dst_sel:DWORD dst_unused:UNUSED_PAD src0_sel:DWORD src1_sel:BYTE_2
	v_lshrrev_b32_e32 v36, 18, v31
	v_lshlrev_b32_e32 v38, 3, v25
	v_lshlrev_b32_sdwa v29, v22, v29 dst_sel:DWORD dst_unused:UNUSED_PAD src0_sel:DWORD src1_sel:BYTE_3
	v_lshrrev_b32_e32 v37, 28, v31
	v_and_or_b32 v31, v31, s3, v14
	global_load_dword v39, v15, s[14:15]
	global_load_dword v40, v24, s[14:15]
	v_and_b32_e32 v28, 0x3f8, v28
	global_load_dword v41, v26, s[14:15]
	global_load_dword v42, v27, s[14:15]
	global_load_dword v43, v33, s[14:15]
	global_load_dword v44, v34, s[14:15]
	v_and_b32_e32 v33, 0x3f8, v36
	global_load_dword v34, v35, s[14:15]
	global_load_dword v36, v29, s[14:15]
	global_load_dwordx2 v[14:15], v38, s[12:13]
	global_load_dwordx2 v[24:25], v28, s[12:13]
	;; [unrolled: 1-line block ×3, first 2 shown]
	v_lshrrev_b32_e32 v28, 11, v31
	v_cvt_f32_ubyte0_e32 v29, v37
	v_and_b32_e32 v28, 0x3f8, v28
	v_add_f32_e32 v31, 0.5, v29
	global_load_dwordx2 v[28:29], v28, s[12:13]
	s_waitcnt vmcnt(12)
	v_cvt_f32_f16_e32 v32, v32
	s_waitcnt vmcnt(3)
	v_and_b32_e32 v35, 0xff000000, v14
	v_xor_b32_e32 v33, v14, v39
	v_and_b32_e32 v37, 0xff0000, v14
	v_and_b32_e32 v38, 0xff00, v14
	v_xor_b32_e32 v39, v15, v40
	v_and_b32_e32 v40, 0xff000000, v15
	v_and_b32_e32 v45, 0xff0000, v15
	;; [unrolled: 1-line block ×3, first 2 shown]
	s_waitcnt vmcnt(2)
	v_xor_b32_e32 v41, v24, v41
	v_and_b32_e32 v47, 0xff000000, v24
	v_and_b32_e32 v48, 0xff0000, v24
	;; [unrolled: 1-line block ×3, first 2 shown]
	v_xor_b32_e32 v42, v25, v42
	v_and_b32_e32 v50, 0xff000000, v25
	v_and_b32_e32 v51, 0xff0000, v25
	;; [unrolled: 1-line block ×3, first 2 shown]
	s_waitcnt vmcnt(1)
	v_xor_b32_e32 v34, v26, v34
	v_and_b32_e32 v53, 0xff000000, v26
	v_and_b32_e32 v54, 0xff0000, v26
	;; [unrolled: 1-line block ×3, first 2 shown]
	v_xor_b32_e32 v36, v27, v36
	v_and_b32_e32 v56, 0xff000000, v27
	v_and_b32_e32 v57, 0xff0000, v27
	;; [unrolled: 1-line block ×3, first 2 shown]
	v_sub_u32_e32 v35, v33, v35
	v_sub_u32_e32 v37, v33, v37
	;; [unrolled: 1-line block ×24, first 2 shown]
	v_and_b32_e32 v35, 0xff000000, v35
	v_and_b32_e32 v36, 0xff00, v38
	v_perm_b32 v14, v37, v14, s9
	v_and_b32_e32 v33, 0xff000000, v33
	v_and_b32_e32 v37, 0xff00, v45
	v_perm_b32 v15, v40, v15, s9
	v_or3_b32 v14, v14, v35, v36
	v_and_b32_e32 v38, 0xff000000, v39
	v_and_b32_e32 v39, 0xff00, v47
	v_perm_b32 v24, v46, v24, s9
	s_waitcnt vmcnt(0)
	v_xor_b32_e32 v43, v28, v43
	v_and_b32_e32 v45, 0xff000000, v28
	v_and_b32_e32 v46, 0xff0000, v28
	;; [unrolled: 1-line block ×3, first 2 shown]
	v_or3_b32 v15, v15, v33, v37
	v_dot4c_i32_i8_e32 v23, v14, v5
	v_and_b32_e32 v40, 0xff000000, v41
	v_and_b32_e32 v41, 0xff00, v49
	v_perm_b32 v25, v48, v25, s9
	v_xor_b32_e32 v44, v29, v44
	v_and_b32_e32 v48, 0xff000000, v29
	v_and_b32_e32 v49, 0xff0000, v29
	;; [unrolled: 1-line block ×3, first 2 shown]
	v_or3_b32 v24, v24, v38, v39
	v_sub_u32_e32 v33, v43, v45
	v_sub_u32_e32 v35, v43, v46
	;; [unrolled: 1-line block ×4, first 2 shown]
	v_dot4c_i32_i8_e32 v23, v15, v6
	v_perm_b32 v26, v50, v26, s9
	v_and_b32_e32 v34, 0xff000000, v34
	v_and_b32_e32 v50, 0xff00, v53
	v_perm_b32 v27, v52, v27, s9
	v_or3_b32 v25, v25, v40, v41
	v_sub_u32_e32 v37, v44, v48
	v_sub_u32_e32 v38, v44, v49
	;; [unrolled: 1-line block ×4, first 2 shown]
	v_and_b32_e32 v5, 0xff000000, v33
	v_and_b32_e32 v14, 0xff00, v36
	v_perm_b32 v28, v35, v28, s9
	v_dot4c_i32_i8_e32 v23, v24, v7
	v_or3_b32 v27, v27, v34, v50
	v_and_b32_e32 v33, 0xff000000, v37
	v_and_b32_e32 v34, 0xff00, v39
	v_perm_b32 v29, v38, v29, s9
	v_or3_b32 v5, v28, v5, v14
	v_dot4c_i32_i8_e32 v23, v25, v0
	v_and_b32_e32 v42, 0xff000000, v42
	v_and_b32_e32 v51, 0xff00, v51
	v_or3_b32 v6, v29, v33, v34
	v_dot4c_i32_i8_e32 v23, v5, v1
	v_or3_b32 v26, v26, v42, v51
	v_dot4c_i32_i8_e32 v23, v6, v2
	v_dot4c_i32_i8_e32 v23, v26, v3
	;; [unrolled: 1-line block ×3, first 2 shown]
	v_mul_f32_e32 v1, v31, v32
	v_mul_f32_e32 v1, v1, v4
	v_mul_f32_e32 v1, 0.5, v1
	v_cvt_f32_i32_e32 v0, v23
	v_fmac_f32_e32 v18, v1, v0
	s_andn2_b64 exec, exec, s[4:5]
	s_cbranch_execnz .LBB268_3
; %bb.4:
	s_or_b64 exec, exec, s[4:5]
.LBB268_5:
	s_or_b64 exec, exec, s[10:11]
	v_mbcnt_lo_u32_b32 v0, -1, 0
	v_mbcnt_hi_u32_b32 v1, -1, v0
	v_and_b32_e32 v0, 64, v1
	v_add_u32_e32 v2, 64, v0
	v_xor_b32_e32 v0, 32, v1
	v_cmp_lt_i32_e32 vcc, v0, v2
	v_cndmask_b32_e32 v0, v1, v0, vcc
	v_lshlrev_b32_e32 v0, 2, v0
	ds_bpermute_b32 v0, v0, v18
	v_xor_b32_e32 v3, 16, v1
	v_cmp_lt_i32_e32 vcc, v3, v2
	v_cndmask_b32_e32 v3, v1, v3, vcc
	v_lshlrev_b32_e32 v3, 2, v3
	s_waitcnt lgkmcnt(0)
	v_add_f32_e32 v0, v18, v0
	ds_bpermute_b32 v3, v3, v0
	v_xor_b32_e32 v4, 8, v1
	v_cmp_lt_i32_e32 vcc, v4, v2
	s_waitcnt lgkmcnt(0)
	v_add_f32_e32 v0, v0, v3
	v_cndmask_b32_e32 v3, v1, v4, vcc
	v_lshlrev_b32_e32 v3, 2, v3
	ds_bpermute_b32 v3, v3, v0
	v_xor_b32_e32 v4, 4, v1
	v_cmp_lt_i32_e32 vcc, v4, v2
	s_waitcnt lgkmcnt(0)
	v_add_f32_e32 v0, v0, v3
	v_cndmask_b32_e32 v3, v1, v4, vcc
	v_lshlrev_b32_e32 v3, 2, v3
	;; [unrolled: 7-line block ×3, first 2 shown]
	ds_bpermute_b32 v3, v3, v0
	v_xor_b32_e32 v4, 1, v1
	v_cmp_lt_i32_e32 vcc, v4, v2
	v_cndmask_b32_e32 v1, v1, v4, vcc
	v_lshlrev_b32_e32 v1, 2, v1
	s_waitcnt lgkmcnt(0)
	v_add_f32_e32 v0, v0, v3
	ds_bpermute_b32 v1, v1, v0
	v_cmp_eq_u32_e32 vcc, 0, v16
	s_and_b64 exec, exec, vcc
	s_cbranch_execz .LBB268_7
; %bb.6:
	s_waitcnt lgkmcnt(0)
	v_add_f32_e32 v0, v0, v1
	s_mul_i32 s0, s8, s2
	v_cvt_f16_f32_e32 v2, v0
	v_add_u32_e32 v0, s0, v9
	v_mov_b32_e32 v1, 0
	v_lshlrev_b64 v[0:1], 1, v[0:1]
	v_mov_b32_e32 v3, s7
	v_add_co_u32_e32 v0, vcc, s6, v0
	v_addc_co_u32_e32 v1, vcc, v3, v1, vcc
	global_store_short v[0:1], v2, off
.LBB268_7:
	s_endpgm
	.section	.rodata,"a",@progbits
	.p2align	6, 0x0
	.amdhsa_kernel _ZL9moe_vec_qIN3c104HalfELi256ELi8E13block_iq3_xxsLi1EXadL_ZL20vec_dot_iq3_xxs_q8_1PKvPK10block_q8_1RKiEEEvS4_S4_PT_PS8_iiii
		.amdhsa_group_segment_fixed_size 0
		.amdhsa_private_segment_fixed_size 0
		.amdhsa_kernarg_size 304
		.amdhsa_user_sgpr_count 6
		.amdhsa_user_sgpr_private_segment_buffer 1
		.amdhsa_user_sgpr_dispatch_ptr 0
		.amdhsa_user_sgpr_queue_ptr 0
		.amdhsa_user_sgpr_kernarg_segment_ptr 1
		.amdhsa_user_sgpr_dispatch_id 0
		.amdhsa_user_sgpr_flat_scratch_init 0
		.amdhsa_user_sgpr_kernarg_preload_length 0
		.amdhsa_user_sgpr_kernarg_preload_offset 0
		.amdhsa_user_sgpr_private_segment_size 0
		.amdhsa_uses_dynamic_stack 0
		.amdhsa_system_sgpr_private_segment_wavefront_offset 0
		.amdhsa_system_sgpr_workgroup_id_x 1
		.amdhsa_system_sgpr_workgroup_id_y 0
		.amdhsa_system_sgpr_workgroup_id_z 1
		.amdhsa_system_sgpr_workgroup_info 0
		.amdhsa_system_vgpr_workitem_id 1
		.amdhsa_next_free_vgpr 59
		.amdhsa_next_free_sgpr 20
		.amdhsa_accum_offset 60
		.amdhsa_reserve_vcc 1
		.amdhsa_reserve_flat_scratch 0
		.amdhsa_float_round_mode_32 0
		.amdhsa_float_round_mode_16_64 0
		.amdhsa_float_denorm_mode_32 3
		.amdhsa_float_denorm_mode_16_64 3
		.amdhsa_dx10_clamp 1
		.amdhsa_ieee_mode 1
		.amdhsa_fp16_overflow 0
		.amdhsa_tg_split 0
		.amdhsa_exception_fp_ieee_invalid_op 0
		.amdhsa_exception_fp_denorm_src 0
		.amdhsa_exception_fp_ieee_div_zero 0
		.amdhsa_exception_fp_ieee_overflow 0
		.amdhsa_exception_fp_ieee_underflow 0
		.amdhsa_exception_fp_ieee_inexact 0
		.amdhsa_exception_int_div_zero 0
	.end_amdhsa_kernel
	.section	.text._ZL9moe_vec_qIN3c104HalfELi256ELi8E13block_iq3_xxsLi1EXadL_ZL20vec_dot_iq3_xxs_q8_1PKvPK10block_q8_1RKiEEEvS4_S4_PT_PS8_iiii,"axG",@progbits,_ZL9moe_vec_qIN3c104HalfELi256ELi8E13block_iq3_xxsLi1EXadL_ZL20vec_dot_iq3_xxs_q8_1PKvPK10block_q8_1RKiEEEvS4_S4_PT_PS8_iiii,comdat
.Lfunc_end268:
	.size	_ZL9moe_vec_qIN3c104HalfELi256ELi8E13block_iq3_xxsLi1EXadL_ZL20vec_dot_iq3_xxs_q8_1PKvPK10block_q8_1RKiEEEvS4_S4_PT_PS8_iiii, .Lfunc_end268-_ZL9moe_vec_qIN3c104HalfELi256ELi8E13block_iq3_xxsLi1EXadL_ZL20vec_dot_iq3_xxs_q8_1PKvPK10block_q8_1RKiEEEvS4_S4_PT_PS8_iiii
                                        ; -- End function
	.section	.AMDGPU.csdata,"",@progbits
; Kernel info:
; codeLenInByte = 1752
; NumSgprs: 24
; NumVgprs: 59
; NumAgprs: 0
; TotalNumVgprs: 59
; ScratchSize: 0
; MemoryBound: 0
; FloatMode: 240
; IeeeMode: 1
; LDSByteSize: 0 bytes/workgroup (compile time only)
; SGPRBlocks: 2
; VGPRBlocks: 7
; NumSGPRsForWavesPerEU: 24
; NumVGPRsForWavesPerEU: 59
; AccumOffset: 60
; Occupancy: 8
; WaveLimiterHint : 1
; COMPUTE_PGM_RSRC2:SCRATCH_EN: 0
; COMPUTE_PGM_RSRC2:USER_SGPR: 6
; COMPUTE_PGM_RSRC2:TRAP_HANDLER: 0
; COMPUTE_PGM_RSRC2:TGID_X_EN: 1
; COMPUTE_PGM_RSRC2:TGID_Y_EN: 0
; COMPUTE_PGM_RSRC2:TGID_Z_EN: 1
; COMPUTE_PGM_RSRC2:TIDIG_COMP_CNT: 1
; COMPUTE_PGM_RSRC3_GFX90A:ACCUM_OFFSET: 14
; COMPUTE_PGM_RSRC3_GFX90A:TG_SPLIT: 0
	.section	.text._ZL9moe_vec_qIN3c104HalfELi256ELi8E11block_iq1_sLi1EXadL_ZL18vec_dot_iq1_s_q8_1PKvPK10block_q8_1RKiEEEvS4_S4_PT_PS8_iiii,"axG",@progbits,_ZL9moe_vec_qIN3c104HalfELi256ELi8E11block_iq1_sLi1EXadL_ZL18vec_dot_iq1_s_q8_1PKvPK10block_q8_1RKiEEEvS4_S4_PT_PS8_iiii,comdat
	.globl	_ZL9moe_vec_qIN3c104HalfELi256ELi8E11block_iq1_sLi1EXadL_ZL18vec_dot_iq1_s_q8_1PKvPK10block_q8_1RKiEEEvS4_S4_PT_PS8_iiii ; -- Begin function _ZL9moe_vec_qIN3c104HalfELi256ELi8E11block_iq1_sLi1EXadL_ZL18vec_dot_iq1_s_q8_1PKvPK10block_q8_1RKiEEEvS4_S4_PT_PS8_iiii
	.p2align	8
	.type	_ZL9moe_vec_qIN3c104HalfELi256ELi8E11block_iq1_sLi1EXadL_ZL18vec_dot_iq1_s_q8_1PKvPK10block_q8_1RKiEEEvS4_S4_PT_PS8_iiii,@function
_ZL9moe_vec_qIN3c104HalfELi256ELi8E11block_iq1_sLi1EXadL_ZL18vec_dot_iq1_s_q8_1PKvPK10block_q8_1RKiEEEvS4_S4_PT_PS8_iiii: ; @_ZL9moe_vec_qIN3c104HalfELi256ELi8E11block_iq1_sLi1EXadL_ZL18vec_dot_iq1_s_q8_1PKvPK10block_q8_1RKiEEEvS4_S4_PT_PS8_iiii
; %bb.0:
	s_mov_b32 s8, s7
	s_load_dword s7, s[4:5], 0x3c
	s_load_dwordx4 s[0:3], s[4:5], 0x20
	v_bfe_u32 v1, v0, 10, 10
	s_waitcnt lgkmcnt(0)
	s_lshr_b32 s7, s7, 16
	s_mul_i32 s6, s6, s7
	v_add_u32_e32 v1, s6, v1
	v_cmp_gt_u32_e32 vcc, s2, v1
	s_and_saveexec_b64 s[6:7], vcc
	s_cbranch_execz .LBB269_7
; %bb.1:
	v_cvt_f32_u32_e32 v2, s0
	s_load_dwordx2 s[6:7], s[4:5], 0x10
	s_ashr_i32 s9, s1, 31
	s_lshr_b32 s9, s9, 24
	v_rcp_iflag_f32_e32 v4, v2
	v_and_b32_e32 v2, 0x3ff, v0
	s_add_i32 s1, s1, s9
	v_lshrrev_b32_e32 v3, 3, v2
	v_mul_f32_e32 v0, 0x4f7ffffe, v4
	v_cvt_u32_f32_e32 v0, v0
	s_ashr_i32 s14, s1, 8
	v_cmp_gt_u32_e32 vcc, s14, v3
	v_mov_b32_e32 v4, 0
	v_readfirstlane_b32 s1, v0
	s_and_saveexec_b64 s[10:11], vcc
	s_cbranch_execz .LBB269_5
; %bb.2:
	s_sub_i32 s12, 0, s0
	s_mul_i32 s15, s12, s1
	s_load_dwordx4 s[16:19], s[4:5], 0x0
	s_load_dwordx2 s[12:13], s[4:5], 0x18
	s_mov_b32 s9, 0
	s_mul_hi_u32 s4, s1, s15
	s_add_i32 s1, s1, s4
	s_lshl_b64 s[4:5], s[8:9], 2
	s_waitcnt lgkmcnt(0)
	s_add_u32 s4, s12, s4
	s_mul_hi_u32 s1, s8, s1
	s_addc_u32 s5, s13, s5
	s_load_dword s4, s[4:5], 0x0
	s_mul_i32 s5, s1, s0
	s_sub_i32 s5, s8, s5
	s_add_i32 s12, s1, 1
	s_sub_i32 s13, s5, s0
	s_cmp_ge_u32 s5, s0
	s_cselect_b32 s1, s12, s1
	s_cselect_b32 s5, s13, s5
	s_add_i32 s12, s1, 1
	s_cmp_ge_u32 s5, s0
	s_mul_i32 s0, s14, s2
	s_waitcnt lgkmcnt(0)
	s_mul_i32 s0, s0, s4
	s_cselect_b32 s5, s12, s1
	s_mul_hi_i32 s1, s0, 50
	s_mul_i32 s0, s0, 50
	s_add_u32 s0, s16, s0
	s_mul_i32 s4, s5, s3
	s_mov_b32 s5, s9
	s_addc_u32 s1, s17, s1
	s_lshl_b64 s[4:5], s[4:5], 2
	v_and_b32_e32 v0, 7, v2
	s_add_u32 s4, s18, s4
	v_lshlrev_b32_e32 v8, 1, v0
	s_addc_u32 s5, s19, s5
	v_mul_lo_u32 v5, v1, s14
	v_mov_b32_e32 v4, 0
	v_lshlrev_b32_e32 v6, 3, v3
	s_mov_b64 s[12:13], 0
	v_lshlrev_b32_e32 v7, 1, v8
	v_lshlrev_b32_e32 v8, 1, v0
	s_movk_i32 s3, 0x700
.LBB269_3:                              ; =>This Inner Loop Header: Depth=1
	v_add_u32_e32 v9, v5, v3
	v_mad_i64_i32 v[18:19], s[16:17], v9, 50, s[0:1]
	v_add_co_u32_e32 v10, vcc, v18, v7
	v_addc_co_u32_e32 v11, vcc, 0, v19, vcc
	v_add_co_u32_e32 v12, vcc, v18, v8
	v_addc_co_u32_e32 v13, vcc, 0, v19, vcc
	global_load_dword v9, v[10:11], off offset:2
	global_load_ushort v22, v[12:13], off offset:34
	v_mad_i64_i32 v[10:11], s[16:17], v6, 36, s[4:5]
	v_mad_u64_u32 v[20:21], s[18:19], v0, 36, v[10:11]
	global_load_dwordx4 v[10:13], v[20:21], off
	global_load_dwordx4 v[14:17], v[20:21], off offset:16
	global_load_ushort v23, v[18:19], off
	s_getpc_b64 s[16:17]
	s_add_u32 s16, s16, _ZL13iq1s_grid_gpu@rel32@lo+4
	s_addc_u32 s17, s17, _ZL13iq1s_grid_gpu@rel32@hi+12
	v_add_u32_e32 v3, 8, v3
	v_cmp_le_u32_e32 vcc, s14, v3
	v_add_u32_e32 v6, 64, v6
	s_or_b64 s[12:13], vcc, s[12:13]
	s_waitcnt vmcnt(4)
	v_and_b32_e32 v24, 0xff, v9
	s_waitcnt vmcnt(3)
	v_lshlrev_b32_e32 v25, 8, v22
	v_lshrrev_b16_e32 v18, 8, v9
	v_lshrrev_b32_e32 v19, 24, v9
	v_lshlrev_b32_e32 v26, 5, v22
	v_bfe_u32 v9, v9, 16, 8
	v_lshlrev_b32_e32 v27, 2, v22
	v_lshrrev_b32_e32 v28, 1, v22
	v_and_or_b32 v24, v25, s3, v24
	v_and_or_b32 v18, v26, s3, v18
	v_and_or_b32 v9, v27, s3, v9
	v_and_or_b32 v19, v28, s3, v19
	v_lshlrev_b32_e32 v24, 3, v24
	v_lshlrev_b32_e32 v18, 3, v18
	;; [unrolled: 1-line block ×4, first 2 shown]
	global_load_dword v25, v24, s[16:17]
	global_load_dword v26, v18, s[16:17]
	;; [unrolled: 1-line block ×4, first 2 shown]
	global_load_dword v29, v[20:21], off offset:32
	v_lshrrev_b32_e32 v18, 11, v22
	v_mov_b32_e32 v9, 0
	s_waitcnt vmcnt(7)
	v_cvt_f32_f16_e32 v20, v10
	v_cvt_f32_f16_sdwa v21, v10 dst_sel:DWORD dst_unused:UNUSED_PAD src0_sel:WORD_1
	s_waitcnt vmcnt(5)
	v_cvt_f32_f16_e32 v10, v23
	v_and_or_b32 v23, v18, 14, 1
	v_and_b32_e32 v22, 0x8000, v22
	v_cvt_f32_u32_e32 v22, v22
	v_mov_b32_e32 v19, 0xbf600000
	v_fmac_f32_e32 v19, 0xb7000000, v22
	s_waitcnt vmcnt(4)
	v_and_b32_e32 v18, 0xf0f0f0f, v25
	v_lshrrev_b32_e32 v24, 4, v25
	v_and_b32_e32 v24, 0xf0f0f0f, v24
	v_dot4c_i32_i8_e32 v9, v18, v11
	s_waitcnt vmcnt(3)
	v_and_b32_e32 v25, 0xf0f0f0f, v26
	v_lshrrev_b32_e32 v26, 4, v26
	v_dot4c_i32_i8_e32 v9, v24, v12
	v_and_b32_e32 v11, 0xf0f0f0f, v26
	v_dot4c_i32_i8_e32 v9, v25, v13
	s_waitcnt vmcnt(2)
	v_and_b32_e32 v30, 0xf0f0f0f, v27
	v_lshrrev_b32_e32 v27, 4, v27
	v_dot4c_i32_i8_e32 v9, v11, v14
	;; [unrolled: 6-line block ×3, first 2 shown]
	v_and_b32_e32 v26, 0xf0f0f0f, v28
	v_dot4c_i32_i8_e32 v9, v31, v17
	s_waitcnt vmcnt(0)
	v_dot4c_i32_i8_e32 v9, v26, v29
	s_nop 2
	v_cvt_f32_i32_e32 v18, v9
	v_cvt_f32_ubyte0_e32 v9, v23
	v_mul_f32_e32 v9, v9, v10
	v_pk_mul_f32 v[10:11], v[18:19], v[20:21]
	v_add_f32_e32 v10, v10, v11
	v_fmac_f32_e32 v4, v9, v10
	s_andn2_b64 exec, exec, s[12:13]
	s_cbranch_execnz .LBB269_3
; %bb.4:
	s_or_b64 exec, exec, s[12:13]
.LBB269_5:
	s_or_b64 exec, exec, s[10:11]
	v_mbcnt_lo_u32_b32 v0, -1, 0
	v_mbcnt_hi_u32_b32 v3, -1, v0
	v_and_b32_e32 v0, 64, v3
	v_add_u32_e32 v5, 64, v0
	v_xor_b32_e32 v0, 32, v3
	v_cmp_lt_i32_e32 vcc, v0, v5
	v_cndmask_b32_e32 v0, v3, v0, vcc
	v_lshlrev_b32_e32 v0, 2, v0
	ds_bpermute_b32 v0, v0, v4
	v_xor_b32_e32 v6, 16, v3
	v_cmp_lt_i32_e32 vcc, v6, v5
	s_waitcnt lgkmcnt(0)
	v_add_f32_e32 v0, v4, v0
	v_cndmask_b32_e32 v4, v3, v6, vcc
	v_lshlrev_b32_e32 v4, 2, v4
	ds_bpermute_b32 v4, v4, v0
	v_xor_b32_e32 v6, 8, v3
	v_cmp_lt_i32_e32 vcc, v6, v5
	s_waitcnt lgkmcnt(0)
	v_add_f32_e32 v0, v0, v4
	;; [unrolled: 7-line block ×4, first 2 shown]
	v_cndmask_b32_e32 v4, v3, v6, vcc
	v_lshlrev_b32_e32 v4, 2, v4
	ds_bpermute_b32 v4, v4, v0
	v_xor_b32_e32 v6, 1, v3
	v_cmp_lt_i32_e32 vcc, v6, v5
	v_cndmask_b32_e32 v3, v3, v6, vcc
	v_lshlrev_b32_e32 v3, 2, v3
	s_waitcnt lgkmcnt(0)
	v_add_f32_e32 v0, v0, v4
	ds_bpermute_b32 v3, v3, v0
	v_cmp_eq_u32_e32 vcc, 0, v2
	s_and_b64 exec, exec, vcc
	s_cbranch_execz .LBB269_7
; %bb.6:
	s_waitcnt lgkmcnt(0)
	v_add_f32_e32 v0, v0, v3
	s_mul_i32 s0, s8, s2
	v_cvt_f16_f32_e32 v2, v0
	v_add_u32_e32 v0, s0, v1
	v_mov_b32_e32 v1, 0
	v_lshlrev_b64 v[0:1], 1, v[0:1]
	v_mov_b32_e32 v3, s7
	v_add_co_u32_e32 v0, vcc, s6, v0
	v_addc_co_u32_e32 v1, vcc, v3, v1, vcc
	global_store_short v[0:1], v2, off
.LBB269_7:
	s_endpgm
	.section	.rodata,"a",@progbits
	.p2align	6, 0x0
	.amdhsa_kernel _ZL9moe_vec_qIN3c104HalfELi256ELi8E11block_iq1_sLi1EXadL_ZL18vec_dot_iq1_s_q8_1PKvPK10block_q8_1RKiEEEvS4_S4_PT_PS8_iiii
		.amdhsa_group_segment_fixed_size 0
		.amdhsa_private_segment_fixed_size 0
		.amdhsa_kernarg_size 304
		.amdhsa_user_sgpr_count 6
		.amdhsa_user_sgpr_private_segment_buffer 1
		.amdhsa_user_sgpr_dispatch_ptr 0
		.amdhsa_user_sgpr_queue_ptr 0
		.amdhsa_user_sgpr_kernarg_segment_ptr 1
		.amdhsa_user_sgpr_dispatch_id 0
		.amdhsa_user_sgpr_flat_scratch_init 0
		.amdhsa_user_sgpr_kernarg_preload_length 0
		.amdhsa_user_sgpr_kernarg_preload_offset 0
		.amdhsa_user_sgpr_private_segment_size 0
		.amdhsa_uses_dynamic_stack 0
		.amdhsa_system_sgpr_private_segment_wavefront_offset 0
		.amdhsa_system_sgpr_workgroup_id_x 1
		.amdhsa_system_sgpr_workgroup_id_y 0
		.amdhsa_system_sgpr_workgroup_id_z 1
		.amdhsa_system_sgpr_workgroup_info 0
		.amdhsa_system_vgpr_workitem_id 1
		.amdhsa_next_free_vgpr 32
		.amdhsa_next_free_sgpr 20
		.amdhsa_accum_offset 32
		.amdhsa_reserve_vcc 1
		.amdhsa_reserve_flat_scratch 0
		.amdhsa_float_round_mode_32 0
		.amdhsa_float_round_mode_16_64 0
		.amdhsa_float_denorm_mode_32 3
		.amdhsa_float_denorm_mode_16_64 3
		.amdhsa_dx10_clamp 1
		.amdhsa_ieee_mode 1
		.amdhsa_fp16_overflow 0
		.amdhsa_tg_split 0
		.amdhsa_exception_fp_ieee_invalid_op 0
		.amdhsa_exception_fp_denorm_src 0
		.amdhsa_exception_fp_ieee_div_zero 0
		.amdhsa_exception_fp_ieee_overflow 0
		.amdhsa_exception_fp_ieee_underflow 0
		.amdhsa_exception_fp_ieee_inexact 0
		.amdhsa_exception_int_div_zero 0
	.end_amdhsa_kernel
	.section	.text._ZL9moe_vec_qIN3c104HalfELi256ELi8E11block_iq1_sLi1EXadL_ZL18vec_dot_iq1_s_q8_1PKvPK10block_q8_1RKiEEEvS4_S4_PT_PS8_iiii,"axG",@progbits,_ZL9moe_vec_qIN3c104HalfELi256ELi8E11block_iq1_sLi1EXadL_ZL18vec_dot_iq1_s_q8_1PKvPK10block_q8_1RKiEEEvS4_S4_PT_PS8_iiii,comdat
.Lfunc_end269:
	.size	_ZL9moe_vec_qIN3c104HalfELi256ELi8E11block_iq1_sLi1EXadL_ZL18vec_dot_iq1_s_q8_1PKvPK10block_q8_1RKiEEEvS4_S4_PT_PS8_iiii, .Lfunc_end269-_ZL9moe_vec_qIN3c104HalfELi256ELi8E11block_iq1_sLi1EXadL_ZL18vec_dot_iq1_s_q8_1PKvPK10block_q8_1RKiEEEvS4_S4_PT_PS8_iiii
                                        ; -- End function
	.section	.AMDGPU.csdata,"",@progbits
; Kernel info:
; codeLenInByte = 1104
; NumSgprs: 24
; NumVgprs: 32
; NumAgprs: 0
; TotalNumVgprs: 32
; ScratchSize: 0
; MemoryBound: 0
; FloatMode: 240
; IeeeMode: 1
; LDSByteSize: 0 bytes/workgroup (compile time only)
; SGPRBlocks: 2
; VGPRBlocks: 3
; NumSGPRsForWavesPerEU: 24
; NumVGPRsForWavesPerEU: 32
; AccumOffset: 32
; Occupancy: 8
; WaveLimiterHint : 1
; COMPUTE_PGM_RSRC2:SCRATCH_EN: 0
; COMPUTE_PGM_RSRC2:USER_SGPR: 6
; COMPUTE_PGM_RSRC2:TRAP_HANDLER: 0
; COMPUTE_PGM_RSRC2:TGID_X_EN: 1
; COMPUTE_PGM_RSRC2:TGID_Y_EN: 0
; COMPUTE_PGM_RSRC2:TGID_Z_EN: 1
; COMPUTE_PGM_RSRC2:TIDIG_COMP_CNT: 1
; COMPUTE_PGM_RSRC3_GFX90A:ACCUM_OFFSET: 7
; COMPUTE_PGM_RSRC3_GFX90A:TG_SPLIT: 0
	.section	.text._ZL9moe_vec_qIN3c104HalfELi32ELi4E12block_iq4_nlLi2EXadL_ZL19vec_dot_iq4_nl_q8_1PKvPK10block_q8_1RKiEEEvS4_S4_PT_PS8_iiii,"axG",@progbits,_ZL9moe_vec_qIN3c104HalfELi32ELi4E12block_iq4_nlLi2EXadL_ZL19vec_dot_iq4_nl_q8_1PKvPK10block_q8_1RKiEEEvS4_S4_PT_PS8_iiii,comdat
	.globl	_ZL9moe_vec_qIN3c104HalfELi32ELi4E12block_iq4_nlLi2EXadL_ZL19vec_dot_iq4_nl_q8_1PKvPK10block_q8_1RKiEEEvS4_S4_PT_PS8_iiii ; -- Begin function _ZL9moe_vec_qIN3c104HalfELi32ELi4E12block_iq4_nlLi2EXadL_ZL19vec_dot_iq4_nl_q8_1PKvPK10block_q8_1RKiEEEvS4_S4_PT_PS8_iiii
	.p2align	8
	.type	_ZL9moe_vec_qIN3c104HalfELi32ELi4E12block_iq4_nlLi2EXadL_ZL19vec_dot_iq4_nl_q8_1PKvPK10block_q8_1RKiEEEvS4_S4_PT_PS8_iiii,@function
_ZL9moe_vec_qIN3c104HalfELi32ELi4E12block_iq4_nlLi2EXadL_ZL19vec_dot_iq4_nl_q8_1PKvPK10block_q8_1RKiEEEvS4_S4_PT_PS8_iiii: ; @_ZL9moe_vec_qIN3c104HalfELi32ELi4E12block_iq4_nlLi2EXadL_ZL19vec_dot_iq4_nl_q8_1PKvPK10block_q8_1RKiEEEvS4_S4_PT_PS8_iiii
; %bb.0:
	s_mov_b32 s8, s7
	s_load_dword s7, s[4:5], 0x3c
	s_load_dwordx4 s[0:3], s[4:5], 0x20
	v_bfe_u32 v1, v0, 10, 10
	s_waitcnt lgkmcnt(0)
	s_lshr_b32 s7, s7, 16
	s_mul_i32 s6, s6, s7
	v_add_u32_e32 v1, s6, v1
	v_cmp_gt_u32_e32 vcc, s2, v1
	s_and_saveexec_b64 s[6:7], vcc
	s_cbranch_execz .LBB270_7
; %bb.1:
	v_cvt_f32_u32_e32 v2, s0
	s_load_dwordx2 s[6:7], s[4:5], 0x10
	s_ashr_i32 s9, s1, 31
	s_lshr_b32 s9, s9, 27
	v_rcp_iflag_f32_e32 v3, v2
	v_and_b32_e32 v0, 0x3ff, v0
	s_add_i32 s1, s1, s9
	v_lshrrev_b32_e32 v2, 1, v0
	v_mul_f32_e32 v3, 0x4f7ffffe, v3
	v_cvt_u32_f32_e32 v3, v3
	s_ashr_i32 s16, s1, 5
	v_cmp_gt_u32_e32 vcc, s16, v2
	v_readfirstlane_b32 s1, v3
	v_mov_b32_e32 v3, 0
	s_and_saveexec_b64 s[10:11], vcc
	s_cbranch_execz .LBB270_5
; %bb.2:
	s_sub_i32 s12, 0, s0
	s_mul_i32 s17, s12, s1
	s_load_dwordx4 s[12:15], s[4:5], 0x0
	s_load_dwordx2 s[18:19], s[4:5], 0x18
	s_mov_b32 s9, 0
	s_mul_hi_u32 s4, s1, s17
	s_add_i32 s1, s1, s4
	s_lshl_b64 s[4:5], s[8:9], 2
	s_waitcnt lgkmcnt(0)
	s_add_u32 s4, s18, s4
	s_mul_hi_u32 s1, s8, s1
	s_addc_u32 s5, s19, s5
	s_load_dword s4, s[4:5], 0x0
	s_mul_i32 s5, s1, s0
	s_sub_i32 s5, s8, s5
	s_add_i32 s17, s1, 1
	s_sub_i32 s18, s5, s0
	s_cmp_ge_u32 s5, s0
	s_cselect_b32 s1, s17, s1
	s_cselect_b32 s5, s18, s5
	s_add_i32 s17, s1, 1
	s_cmp_ge_u32 s5, s0
	s_mul_i32 s0, s16, s2
	s_waitcnt lgkmcnt(0)
	s_mul_i32 s0, s0, s4
	s_cselect_b32 s5, s17, s1
	s_mul_hi_i32 s1, s0, 18
	s_mul_i32 s0, s0, 18
	s_add_u32 s0, s12, s0
	s_mul_i32 s4, s5, s3
	s_mov_b32 s5, s9
	v_lshlrev_b32_e32 v3, 1, v0
	s_addc_u32 s1, s13, s1
	s_lshl_b64 s[4:5], s[4:5], 2
	v_and_b32_e32 v6, 2, v3
	s_add_u32 s4, s14, s4
	v_lshlrev_b32_e32 v8, 1, v6
	s_addc_u32 s5, s15, s5
	v_mul_lo_u32 v4, v1, s16
	v_mov_b32_e32 v3, 0
	s_mov_b64 s[12:13], 0
	v_lshlrev_b32_e32 v5, 1, v8
	v_lshlrev_b32_e32 v6, 2, v6
.LBB270_3:                              ; =>This Inner Loop Header: Depth=1
	v_add_u32_e32 v7, v4, v2
	v_mad_i64_i32 v[8:9], s[14:15], v7, 18, s[0:1]
	v_add_co_u32_e32 v10, vcc, v8, v5
	v_addc_co_u32_e32 v11, vcc, 0, v9, vcc
	global_load_dwordx2 v[10:11], v[10:11], off offset:2
	v_mad_i64_i32 v[12:13], s[14:15], v2, 36, s[4:5]
	v_add_co_u32_e32 v14, vcc, v12, v6
	v_addc_co_u32_e32 v15, vcc, 0, v13, vcc
	s_getpc_b64 s[14:15]
	s_add_u32 s14, s14, _ZL13kvalues_iq4nl@rel32@lo+4
	s_addc_u32 s15, s15, _ZL13kvalues_iq4nl@rel32@hi+12
	global_load_dword v7, v[12:13], off
	global_load_dwordx2 v[16:17], v[14:15], off offset:4
	global_load_dwordx2 v[18:19], v[14:15], off offset:20
	v_add_u32_e32 v2, 32, v2
	v_cmp_le_u32_e32 vcc, s16, v2
	s_or_b64 s[12:13], vcc, s[12:13]
	s_waitcnt vmcnt(3)
	v_bfe_u32 v12, v10, 24, 4
	v_and_b32_e32 v13, 15, v10
	v_bfe_u32 v14, v10, 8, 4
	v_bfe_u32 v15, v10, 16, 4
	;; [unrolled: 1-line block ×4, first 2 shown]
	v_lshrrev_b32_e32 v22, 28, v10
	v_bfe_u32 v10, v10, 4, 4
	v_bfe_u32 v23, v11, 24, 4
	v_and_b32_e32 v24, 15, v11
	v_bfe_u32 v25, v11, 8, 4
	v_bfe_u32 v26, v11, 16, 4
	;; [unrolled: 1-line block ×4, first 2 shown]
	v_lshrrev_b32_e32 v29, 28, v11
	v_bfe_u32 v11, v11, 4, 4
	global_load_ubyte v30, v14, s[14:15]
	global_load_ubyte v31, v15, s[14:15]
	;; [unrolled: 1-line block ×15, first 2 shown]
                                        ; kill: killed $vgpr28
                                        ; kill: killed $vgpr15
                                        ; kill: killed $vgpr12
                                        ; kill: killed $vgpr14
                                        ; kill: killed $vgpr20
                                        ; kill: killed $vgpr29
                                        ; kill: killed $vgpr22
                                        ; kill: killed $vgpr27
                                        ; kill: killed $vgpr26
                                        ; kill: killed $vgpr21
                                        ; kill: killed $vgpr25
                                        ; kill: killed $vgpr11
                                        ; kill: killed $vgpr13
                                        ; kill: killed $vgpr10
                                        ; kill: killed $vgpr24
	global_load_ubyte v10, v23, s[14:15]
	s_nop 0
	global_load_ushort v11, v[8:9], off
	v_mov_b32_e32 v8, 0
	v_mov_b32_e32 v9, 0
	s_waitcnt vmcnt(19)
	v_cvt_f32_f16_e32 v7, v7
	s_waitcnt vmcnt(15)
	v_lshlrev_b32_e32 v13, 16, v31
	s_waitcnt vmcnt(13)
	v_lshlrev_b32_e32 v20, 16, v33
	s_waitcnt vmcnt(12)
	v_lshl_or_b32 v21, v32, 8, v34
	s_waitcnt vmcnt(11)
	v_lshlrev_b32_e32 v15, 24, v35
	s_waitcnt vmcnt(10)
	v_lshl_or_b32 v14, v30, 8, v36
	s_waitcnt vmcnt(9)
	v_lshlrev_b32_e32 v12, 24, v37
	v_or3_b32 v12, v14, v13, v12
	s_waitcnt vmcnt(7)
	v_lshlrev_b32_e32 v22, 16, v39
	v_or3_b32 v13, v21, v20, v15
	s_waitcnt vmcnt(5)
	v_lshlrev_b32_e32 v25, 16, v41
	s_waitcnt vmcnt(4)
	v_lshl_or_b32 v26, v40, 8, v42
	s_waitcnt vmcnt(3)
	v_lshlrev_b32_e32 v24, 24, v43
	s_waitcnt vmcnt(2)
	v_lshl_or_b32 v23, v38, 8, v44
	v_or3_b32 v14, v26, v25, v24
	v_dot4c_i32_i8_e32 v8, v12, v16
	v_dot4c_i32_i8_e32 v9, v13, v18
	;; [unrolled: 1-line block ×3, first 2 shown]
	s_waitcnt vmcnt(1)
	v_lshlrev_b32_e32 v10, 24, v10
	v_or3_b32 v10, v23, v22, v10
	v_dot4c_i32_i8_e32 v8, v10, v17
	s_waitcnt vmcnt(0)
	v_cvt_f32_f16_e32 v11, v11
	v_mul_f32_e32 v7, v11, v7
	v_add_u32_e32 v8, v9, v8
	v_cvt_f32_i32_e32 v8, v8
	v_fmac_f32_e32 v3, v7, v8
	s_andn2_b64 exec, exec, s[12:13]
	s_cbranch_execnz .LBB270_3
; %bb.4:
	s_or_b64 exec, exec, s[12:13]
.LBB270_5:
	s_or_b64 exec, exec, s[10:11]
	v_mbcnt_lo_u32_b32 v2, -1, 0
	v_mbcnt_hi_u32_b32 v4, -1, v2
	v_and_b32_e32 v2, 64, v4
	v_add_u32_e32 v5, 64, v2
	v_xor_b32_e32 v2, 32, v4
	v_cmp_lt_i32_e32 vcc, v2, v5
	v_cndmask_b32_e32 v2, v4, v2, vcc
	v_lshlrev_b32_e32 v2, 2, v2
	ds_bpermute_b32 v2, v2, v3
	v_xor_b32_e32 v6, 16, v4
	v_cmp_lt_i32_e32 vcc, v6, v5
	s_waitcnt lgkmcnt(0)
	v_add_f32_e32 v2, v3, v2
	v_cndmask_b32_e32 v3, v4, v6, vcc
	v_lshlrev_b32_e32 v3, 2, v3
	ds_bpermute_b32 v3, v3, v2
	v_xor_b32_e32 v6, 8, v4
	v_cmp_lt_i32_e32 vcc, v6, v5
	s_waitcnt lgkmcnt(0)
	v_add_f32_e32 v2, v2, v3
	;; [unrolled: 7-line block ×5, first 2 shown]
	v_cndmask_b32_e32 v3, v4, v6, vcc
	v_lshlrev_b32_e32 v3, 2, v3
	ds_bpermute_b32 v3, v3, v2
	v_cmp_eq_u32_e32 vcc, 0, v0
	s_and_b64 exec, exec, vcc
	s_cbranch_execz .LBB270_7
; %bb.6:
	s_waitcnt lgkmcnt(0)
	v_add_f32_e32 v0, v2, v3
	s_mul_i32 s0, s8, s2
	v_cvt_f16_f32_e32 v2, v0
	v_add_u32_e32 v0, s0, v1
	v_mov_b32_e32 v1, 0
	v_lshlrev_b64 v[0:1], 1, v[0:1]
	v_mov_b32_e32 v3, s7
	v_add_co_u32_e32 v0, vcc, s6, v0
	v_addc_co_u32_e32 v1, vcc, v3, v1, vcc
	global_store_short v[0:1], v2, off
.LBB270_7:
	s_endpgm
	.section	.rodata,"a",@progbits
	.p2align	6, 0x0
	.amdhsa_kernel _ZL9moe_vec_qIN3c104HalfELi32ELi4E12block_iq4_nlLi2EXadL_ZL19vec_dot_iq4_nl_q8_1PKvPK10block_q8_1RKiEEEvS4_S4_PT_PS8_iiii
		.amdhsa_group_segment_fixed_size 0
		.amdhsa_private_segment_fixed_size 0
		.amdhsa_kernarg_size 304
		.amdhsa_user_sgpr_count 6
		.amdhsa_user_sgpr_private_segment_buffer 1
		.amdhsa_user_sgpr_dispatch_ptr 0
		.amdhsa_user_sgpr_queue_ptr 0
		.amdhsa_user_sgpr_kernarg_segment_ptr 1
		.amdhsa_user_sgpr_dispatch_id 0
		.amdhsa_user_sgpr_flat_scratch_init 0
		.amdhsa_user_sgpr_kernarg_preload_length 0
		.amdhsa_user_sgpr_kernarg_preload_offset 0
		.amdhsa_user_sgpr_private_segment_size 0
		.amdhsa_uses_dynamic_stack 0
		.amdhsa_system_sgpr_private_segment_wavefront_offset 0
		.amdhsa_system_sgpr_workgroup_id_x 1
		.amdhsa_system_sgpr_workgroup_id_y 0
		.amdhsa_system_sgpr_workgroup_id_z 1
		.amdhsa_system_sgpr_workgroup_info 0
		.amdhsa_system_vgpr_workitem_id 1
		.amdhsa_next_free_vgpr 45
		.amdhsa_next_free_sgpr 20
		.amdhsa_accum_offset 48
		.amdhsa_reserve_vcc 1
		.amdhsa_reserve_flat_scratch 0
		.amdhsa_float_round_mode_32 0
		.amdhsa_float_round_mode_16_64 0
		.amdhsa_float_denorm_mode_32 3
		.amdhsa_float_denorm_mode_16_64 3
		.amdhsa_dx10_clamp 1
		.amdhsa_ieee_mode 1
		.amdhsa_fp16_overflow 0
		.amdhsa_tg_split 0
		.amdhsa_exception_fp_ieee_invalid_op 0
		.amdhsa_exception_fp_denorm_src 0
		.amdhsa_exception_fp_ieee_div_zero 0
		.amdhsa_exception_fp_ieee_overflow 0
		.amdhsa_exception_fp_ieee_underflow 0
		.amdhsa_exception_fp_ieee_inexact 0
		.amdhsa_exception_int_div_zero 0
	.end_amdhsa_kernel
	.section	.text._ZL9moe_vec_qIN3c104HalfELi32ELi4E12block_iq4_nlLi2EXadL_ZL19vec_dot_iq4_nl_q8_1PKvPK10block_q8_1RKiEEEvS4_S4_PT_PS8_iiii,"axG",@progbits,_ZL9moe_vec_qIN3c104HalfELi32ELi4E12block_iq4_nlLi2EXadL_ZL19vec_dot_iq4_nl_q8_1PKvPK10block_q8_1RKiEEEvS4_S4_PT_PS8_iiii,comdat
.Lfunc_end270:
	.size	_ZL9moe_vec_qIN3c104HalfELi32ELi4E12block_iq4_nlLi2EXadL_ZL19vec_dot_iq4_nl_q8_1PKvPK10block_q8_1RKiEEEvS4_S4_PT_PS8_iiii, .Lfunc_end270-_ZL9moe_vec_qIN3c104HalfELi32ELi4E12block_iq4_nlLi2EXadL_ZL19vec_dot_iq4_nl_q8_1PKvPK10block_q8_1RKiEEEvS4_S4_PT_PS8_iiii
                                        ; -- End function
	.section	.AMDGPU.csdata,"",@progbits
; Kernel info:
; codeLenInByte = 1168
; NumSgprs: 24
; NumVgprs: 45
; NumAgprs: 0
; TotalNumVgprs: 45
; ScratchSize: 0
; MemoryBound: 0
; FloatMode: 240
; IeeeMode: 1
; LDSByteSize: 0 bytes/workgroup (compile time only)
; SGPRBlocks: 2
; VGPRBlocks: 5
; NumSGPRsForWavesPerEU: 24
; NumVGPRsForWavesPerEU: 45
; AccumOffset: 48
; Occupancy: 8
; WaveLimiterHint : 1
; COMPUTE_PGM_RSRC2:SCRATCH_EN: 0
; COMPUTE_PGM_RSRC2:USER_SGPR: 6
; COMPUTE_PGM_RSRC2:TRAP_HANDLER: 0
; COMPUTE_PGM_RSRC2:TGID_X_EN: 1
; COMPUTE_PGM_RSRC2:TGID_Y_EN: 0
; COMPUTE_PGM_RSRC2:TGID_Z_EN: 1
; COMPUTE_PGM_RSRC2:TIDIG_COMP_CNT: 1
; COMPUTE_PGM_RSRC3_GFX90A:ACCUM_OFFSET: 11
; COMPUTE_PGM_RSRC3_GFX90A:TG_SPLIT: 0
	.section	.text._ZL9moe_vec_qIN3c104HalfELi256ELi8E11block_iq3_sLi1EXadL_ZL18vec_dot_iq3_s_q8_1PKvPK10block_q8_1RKiEEEvS4_S4_PT_PS8_iiii,"axG",@progbits,_ZL9moe_vec_qIN3c104HalfELi256ELi8E11block_iq3_sLi1EXadL_ZL18vec_dot_iq3_s_q8_1PKvPK10block_q8_1RKiEEEvS4_S4_PT_PS8_iiii,comdat
	.globl	_ZL9moe_vec_qIN3c104HalfELi256ELi8E11block_iq3_sLi1EXadL_ZL18vec_dot_iq3_s_q8_1PKvPK10block_q8_1RKiEEEvS4_S4_PT_PS8_iiii ; -- Begin function _ZL9moe_vec_qIN3c104HalfELi256ELi8E11block_iq3_sLi1EXadL_ZL18vec_dot_iq3_s_q8_1PKvPK10block_q8_1RKiEEEvS4_S4_PT_PS8_iiii
	.p2align	8
	.type	_ZL9moe_vec_qIN3c104HalfELi256ELi8E11block_iq3_sLi1EXadL_ZL18vec_dot_iq3_s_q8_1PKvPK10block_q8_1RKiEEEvS4_S4_PT_PS8_iiii,@function
_ZL9moe_vec_qIN3c104HalfELi256ELi8E11block_iq3_sLi1EXadL_ZL18vec_dot_iq3_s_q8_1PKvPK10block_q8_1RKiEEEvS4_S4_PT_PS8_iiii: ; @_ZL9moe_vec_qIN3c104HalfELi256ELi8E11block_iq3_sLi1EXadL_ZL18vec_dot_iq3_s_q8_1PKvPK10block_q8_1RKiEEEvS4_S4_PT_PS8_iiii
; %bb.0:
	s_mov_b32 s8, s7
	s_load_dword s7, s[4:5], 0x3c
	s_load_dwordx4 s[0:3], s[4:5], 0x20
	v_bfe_u32 v1, v0, 10, 10
	s_waitcnt lgkmcnt(0)
	s_lshr_b32 s7, s7, 16
	s_mul_i32 s6, s6, s7
	v_add_u32_e32 v1, s6, v1
	v_cmp_gt_u32_e32 vcc, s2, v1
	s_and_saveexec_b64 s[6:7], vcc
	s_cbranch_execz .LBB271_9
; %bb.1:
	s_load_dwordx2 s[6:7], s[4:5], 0x10
	s_ashr_i32 s9, s1, 31
	s_lshr_b32 s9, s9, 24
	s_add_i32 s1, s1, s9
	v_and_b32_e32 v5, 0x3ff, v0
	s_ashr_i32 s12, s1, 8
	v_lshrrev_b32_e32 v22, 3, v5
	v_cmp_gt_u32_e32 vcc, s12, v22
	v_mov_b32_e32 v23, 0
	s_and_saveexec_b64 s[10:11], vcc
	s_cbranch_execz .LBB271_7
; %bb.2:
	s_load_dwordx2 s[14:15], s[4:5], 0x18
	v_cvt_f32_u32_e32 v0, s0
	s_mov_b32 s9, 0
	s_lshl_b64 s[16:17], s[8:9], 2
	v_lshlrev_b32_e32 v6, 2, v5
	s_waitcnt lgkmcnt(0)
	s_add_u32 s14, s14, s16
	v_rcp_iflag_f32_e32 v0, v0
	s_addc_u32 s15, s15, s17
	s_load_dword s1, s[14:15], 0x0
	s_load_dwordx4 s[16:19], s[4:5], 0x0
	s_mul_i32 s5, s12, s2
	v_mul_f32_e32 v0, 0x4f7ffffe, v0
	v_cvt_u32_f32_e32 v0, v0
	s_waitcnt lgkmcnt(0)
	s_mul_i32 s1, s5, s1
	s_mul_hi_i32 s5, s1, 0x6e
	s_mulk_i32 s1, 0x6e
	s_add_u32 s14, s16, s1
	s_addc_u32 s15, s17, s5
	s_sub_i32 s1, 0, s0
	v_readfirstlane_b32 s5, v0
	s_mul_i32 s1, s1, s5
	s_mul_hi_u32 s1, s5, s1
	s_add_i32 s5, s5, s1
	s_mul_hi_u32 s1, s8, s5
	s_mul_i32 s5, s1, s0
	s_sub_i32 s5, s8, s5
	s_add_i32 s13, s1, 1
	s_sub_i32 s16, s5, s0
	s_cmp_ge_u32 s5, s0
	s_cselect_b32 s1, s13, s1
	s_cselect_b32 s5, s16, s5
	s_add_i32 s13, s1, 1
	s_cmp_ge_u32 s5, s0
	s_cselect_b32 s0, s13, s1
	s_mul_i32 s0, s0, s3
	s_mov_b32 s1, s9
	s_lshl_b64 s[0:1], s[0:1], 2
	s_add_u32 s0, s18, s0
	v_and_b32_e32 v0, 7, v5
	s_addc_u32 s1, s19, s1
	v_and_b32_e32 v25, 4, v6
	v_lshlrev_b32_e32 v6, 2, v0
	v_mad_u64_u32 v[2:3], s[0:1], v0, 36, s[0:1]
	v_mov_b32_e32 v7, s15
	v_add_co_u32_e32 v6, vcc, s14, v6
	v_addc_co_u32_e32 v7, vcc, 0, v7, vcc
	s_movk_i32 s0, 0x4a
	v_add_co_u32_e32 v6, vcc, s0, v6
	v_lshlrev_b32_e32 v8, 3, v0
	v_addc_co_u32_e32 v7, vcc, 0, v7, vcc
	v_mov_b32_e32 v9, s15
	v_add_co_u32_e32 v8, vcc, s14, v8
	v_addc_co_u32_e32 v9, vcc, 0, v9, vcc
	v_mul_lo_u32 v24, v1, s12
	v_add_co_u32_e32 v8, vcc, 2, v8
	s_movk_i32 s4, 0x6e
	v_mov_b32_e32 v23, 0
	v_bfe_u32 v4, v5, 1, 2
	v_add_u32_e32 v26, v22, v24
	v_addc_co_u32_e32 v9, vcc, 0, v9, vcc
	s_mov_b64 s[0:1], 0
	v_pk_mov_b32 v[10:11], s[14:15], s[14:15] op_sel:[0,1]
	s_movk_i32 s3, 0x100
	s_mov_b32 s5, 0x1010101
	s_mov_b32 s9, 0x1000000
	v_mov_b32_e32 v27, 0xff0000
	v_mov_b32_e32 v28, 0xff00
	;; [unrolled: 1-line block ×3, first 2 shown]
	s_mov_b32 s13, 0xc060c00
	s_getpc_b64 s[16:17]
	s_add_u32 s16, s16, _ZL10iq3xs_grid@rel32@lo+4
	s_addc_u32 s17, s17, _ZL10iq3xs_grid@rel32@hi+12
.LBB271_3:                              ; =>This Loop Header: Depth=1
                                        ;     Child Loop BB271_4 Depth 2
	v_add_u32_e32 v12, v22, v24
	v_mad_i64_i32 v[12:13], s[14:15], v12, s4, v[10:11]
	v_add_co_u32_e32 v14, vcc, v12, v0
	v_addc_co_u32_e32 v15, vcc, 0, v13, vcc
	global_load_ubyte v31, v[14:15], off offset:66
	v_lshlrev_b32_e32 v14, 3, v22
	v_mad_i64_i32 v[14:15], s[14:15], v14, 36, v[2:3]
	v_mad_i64_i32 v[16:17], s[14:15], v26, s4, v[6:7]
	;; [unrolled: 1-line block ×3, first 2 shown]
	v_add_co_u32_e32 v20, vcc, 4, v14
	v_addc_co_u32_e32 v21, vcc, 0, v15, vcc
	s_mov_b32 s14, 7
	v_mov_b32_e32 v30, 0
.LBB271_4:                              ;   Parent Loop BB271_3 Depth=1
                                        ; =>  This Inner Loop Header: Depth=2
	global_load_ushort v32, v[18:19], off
	global_load_ubyte v34, v[16:17], off
	s_add_i32 s15, s14, 1
	s_waitcnt vmcnt(2)
	v_lshlrev_b32_e32 v35, s15, v31
	v_lshlrev_b32_e32 v33, s14, v31
	s_add_i32 s14, s14, -2
	s_cmp_lg_u32 s14, -1
	s_waitcnt vmcnt(1)
	v_and_b32_e32 v36, 0xff, v32
	v_lshrrev_b16_e32 v32, 8, v32
	v_and_or_b32 v35, v35, s3, v36
	v_and_or_b32 v32, v33, s3, v32
	v_lshlrev_b32_e32 v35, 2, v35
	v_lshlrev_b32_e32 v36, 2, v32
	global_load_dword v37, v35, s[16:17]
	global_load_dword v38, v36, s[16:17]
	global_load_dwordx2 v[32:33], v[20:21], off
	v_add_co_u32_e32 v20, vcc, 8, v20
	v_addc_co_u32_e32 v21, vcc, 0, v21, vcc
	v_add_co_u32_e32 v16, vcc, 1, v16
	s_waitcnt vmcnt(3)
	v_and_b32_e32 v35, 15, v34
	v_lshrrev_b16_e32 v34, 4, v34
	v_addc_co_u32_e32 v17, vcc, 0, v17, vcc
	v_mul_lo_u32 v34, v34, s5
	v_add_co_u32_e32 v18, vcc, 2, v18
	v_not_b32_e32 v34, v34
	v_addc_co_u32_e32 v19, vcc, 0, v19, vcc
	v_and_b32_e32 v36, 0x8040201, v34
	v_and_b32_e32 v35, 0xffff, v35
	;; [unrolled: 1-line block ×3, first 2 shown]
	v_cmp_gt_u32_e32 vcc, s9, v36
	v_mul_lo_u32 v35, v35, s5
	v_and_b32_e32 v40, 0x200, v34
	v_cndmask_b32_e64 v36, 0, -1, vcc
	v_cmp_eq_u32_e32 vcc, 0, v39
	v_not_b32_e32 v35, v35
	v_and_b32_e32 v34, 1, v34
	v_cndmask_b32_e32 v39, 0, v27, vcc
	v_cmp_eq_u32_e32 vcc, 0, v40
	v_and_b32_e32 v41, 0x8040201, v35
	v_cndmask_b32_e32 v40, 0, v28, vcc
	v_cmp_eq_u32_e32 vcc, 0, v34
	v_and_b32_e32 v42, 0x40000, v35
	v_cndmask_b32_e32 v34, 0, v29, vcc
	v_cmp_gt_u32_e32 vcc, s9, v41
	v_and_b32_e32 v43, 0x200, v35
	v_cndmask_b32_e64 v41, 0, -1, vcc
	v_cmp_eq_u32_e32 vcc, 0, v42
	v_and_b32_e32 v35, 1, v35
	v_cndmask_b32_e32 v42, 0, v27, vcc
	v_cmp_eq_u32_e32 vcc, 0, v43
	v_cndmask_b32_e32 v43, 0, v28, vcc
	v_cmp_eq_u32_e32 vcc, 0, v35
	v_cndmask_b32_e32 v35, 0, v29, vcc
	v_lshlrev_b32_e32 v41, 24, v41
	v_or_b32_e32 v45, v43, v35
	v_lshlrev_b32_e32 v36, 24, v36
	v_or_b32_e32 v44, v40, v34
	v_or3_b32 v45, v45, v42, v41
	v_or3_b32 v44, v44, v39, v36
	s_waitcnt vmcnt(2)
	v_xor_b32_e32 v37, v45, v37
	s_waitcnt vmcnt(1)
	v_xor_b32_e32 v38, v44, v38
	v_sub_u32_e32 v41, v37, v41
	v_sub_u32_e32 v42, v37, v42
	;; [unrolled: 1-line block ×8, first 2 shown]
	v_and_b32_e32 v38, 0xff000000, v41
	v_and_b32_e32 v40, 0xff00, v43
	v_perm_b32 v35, v42, v35, s13
	v_and_b32_e32 v36, 0xff000000, v36
	v_and_b32_e32 v39, 0xff00, v39
	v_perm_b32 v34, v37, v34, s13
	v_or3_b32 v35, v35, v38, v40
	v_or3_b32 v34, v34, v36, v39
	s_waitcnt vmcnt(0)
	v_dot4c_i32_i8_e32 v30, v35, v32
	v_dot4c_i32_i8_e32 v30, v34, v33
	s_cbranch_scc1 .LBB271_4
; %bb.5:                                ;   in Loop: Header=BB271_3 Depth=1
	global_load_ushort v16, v[12:13], off
	v_add_co_u32_e32 v12, vcc, v12, v4
	v_addc_co_u32_e32 v13, vcc, 0, v13, vcc
	global_load_dword v17, v[14:15], off
	global_load_ubyte v18, v[12:13], off offset:106
	v_cvt_f32_i32_e32 v12, v30
	v_add_u32_e32 v22, 8, v22
	v_cmp_le_u32_e32 vcc, s12, v22
	s_or_b64 s[0:1], vcc, s[0:1]
	v_add_u32_e32 v26, 8, v26
	s_waitcnt vmcnt(2)
	v_cvt_f32_f16_e32 v13, v16
	s_waitcnt vmcnt(1)
	v_cvt_f32_f16_e32 v14, v17
	s_waitcnt vmcnt(0)
	v_bfe_u32 v15, v18, v25, 4
	v_cvt_f32_ubyte0_e32 v15, v15
	v_add_f32_e32 v15, 0.5, v15
	v_mul_f32_e32 v13, v15, v13
	v_mul_f32_e32 v13, v13, v14
	v_mul_f32_e32 v13, 0.5, v13
	v_fmac_f32_e32 v23, v13, v12
	s_andn2_b64 exec, exec, s[0:1]
	s_cbranch_execnz .LBB271_3
; %bb.6:
	s_or_b64 exec, exec, s[0:1]
.LBB271_7:
	s_or_b64 exec, exec, s[10:11]
	v_mbcnt_lo_u32_b32 v0, -1, 0
	v_mbcnt_hi_u32_b32 v2, -1, v0
	v_and_b32_e32 v0, 64, v2
	v_add_u32_e32 v3, 64, v0
	v_xor_b32_e32 v0, 32, v2
	v_cmp_lt_i32_e32 vcc, v0, v3
	v_cndmask_b32_e32 v0, v2, v0, vcc
	v_lshlrev_b32_e32 v0, 2, v0
	ds_bpermute_b32 v0, v0, v23
	v_xor_b32_e32 v4, 16, v2
	v_cmp_lt_i32_e32 vcc, v4, v3
	v_cndmask_b32_e32 v4, v2, v4, vcc
	v_lshlrev_b32_e32 v4, 2, v4
	s_waitcnt lgkmcnt(0)
	v_add_f32_e32 v0, v23, v0
	ds_bpermute_b32 v4, v4, v0
	v_xor_b32_e32 v6, 8, v2
	v_cmp_lt_i32_e32 vcc, v6, v3
	s_waitcnt lgkmcnt(0)
	v_add_f32_e32 v0, v0, v4
	v_cndmask_b32_e32 v4, v2, v6, vcc
	v_lshlrev_b32_e32 v4, 2, v4
	ds_bpermute_b32 v4, v4, v0
	v_xor_b32_e32 v6, 4, v2
	v_cmp_lt_i32_e32 vcc, v6, v3
	s_waitcnt lgkmcnt(0)
	v_add_f32_e32 v0, v0, v4
	v_cndmask_b32_e32 v4, v2, v6, vcc
	v_lshlrev_b32_e32 v4, 2, v4
	;; [unrolled: 7-line block ×3, first 2 shown]
	ds_bpermute_b32 v4, v4, v0
	v_xor_b32_e32 v6, 1, v2
	v_cmp_lt_i32_e32 vcc, v6, v3
	v_cndmask_b32_e32 v2, v2, v6, vcc
	v_lshlrev_b32_e32 v2, 2, v2
	s_waitcnt lgkmcnt(0)
	v_add_f32_e32 v0, v0, v4
	ds_bpermute_b32 v2, v2, v0
	v_cmp_eq_u32_e32 vcc, 0, v5
	s_and_b64 exec, exec, vcc
	s_cbranch_execz .LBB271_9
; %bb.8:
	s_waitcnt lgkmcnt(0)
	v_add_f32_e32 v0, v0, v2
	s_mul_i32 s0, s8, s2
	v_cvt_f16_f32_e32 v2, v0
	v_add_u32_e32 v0, s0, v1
	v_mov_b32_e32 v1, 0
	v_lshlrev_b64 v[0:1], 1, v[0:1]
	v_mov_b32_e32 v3, s7
	v_add_co_u32_e32 v0, vcc, s6, v0
	v_addc_co_u32_e32 v1, vcc, v3, v1, vcc
	global_store_short v[0:1], v2, off
.LBB271_9:
	s_endpgm
	.section	.rodata,"a",@progbits
	.p2align	6, 0x0
	.amdhsa_kernel _ZL9moe_vec_qIN3c104HalfELi256ELi8E11block_iq3_sLi1EXadL_ZL18vec_dot_iq3_s_q8_1PKvPK10block_q8_1RKiEEEvS4_S4_PT_PS8_iiii
		.amdhsa_group_segment_fixed_size 0
		.amdhsa_private_segment_fixed_size 0
		.amdhsa_kernarg_size 304
		.amdhsa_user_sgpr_count 6
		.amdhsa_user_sgpr_private_segment_buffer 1
		.amdhsa_user_sgpr_dispatch_ptr 0
		.amdhsa_user_sgpr_queue_ptr 0
		.amdhsa_user_sgpr_kernarg_segment_ptr 1
		.amdhsa_user_sgpr_dispatch_id 0
		.amdhsa_user_sgpr_flat_scratch_init 0
		.amdhsa_user_sgpr_kernarg_preload_length 0
		.amdhsa_user_sgpr_kernarg_preload_offset 0
		.amdhsa_user_sgpr_private_segment_size 0
		.amdhsa_uses_dynamic_stack 0
		.amdhsa_system_sgpr_private_segment_wavefront_offset 0
		.amdhsa_system_sgpr_workgroup_id_x 1
		.amdhsa_system_sgpr_workgroup_id_y 0
		.amdhsa_system_sgpr_workgroup_id_z 1
		.amdhsa_system_sgpr_workgroup_info 0
		.amdhsa_system_vgpr_workitem_id 1
		.amdhsa_next_free_vgpr 46
		.amdhsa_next_free_sgpr 20
		.amdhsa_accum_offset 48
		.amdhsa_reserve_vcc 1
		.amdhsa_reserve_flat_scratch 0
		.amdhsa_float_round_mode_32 0
		.amdhsa_float_round_mode_16_64 0
		.amdhsa_float_denorm_mode_32 3
		.amdhsa_float_denorm_mode_16_64 3
		.amdhsa_dx10_clamp 1
		.amdhsa_ieee_mode 1
		.amdhsa_fp16_overflow 0
		.amdhsa_tg_split 0
		.amdhsa_exception_fp_ieee_invalid_op 0
		.amdhsa_exception_fp_denorm_src 0
		.amdhsa_exception_fp_ieee_div_zero 0
		.amdhsa_exception_fp_ieee_overflow 0
		.amdhsa_exception_fp_ieee_underflow 0
		.amdhsa_exception_fp_ieee_inexact 0
		.amdhsa_exception_int_div_zero 0
	.end_amdhsa_kernel
	.section	.text._ZL9moe_vec_qIN3c104HalfELi256ELi8E11block_iq3_sLi1EXadL_ZL18vec_dot_iq3_s_q8_1PKvPK10block_q8_1RKiEEEvS4_S4_PT_PS8_iiii,"axG",@progbits,_ZL9moe_vec_qIN3c104HalfELi256ELi8E11block_iq3_sLi1EXadL_ZL18vec_dot_iq3_s_q8_1PKvPK10block_q8_1RKiEEEvS4_S4_PT_PS8_iiii,comdat
.Lfunc_end271:
	.size	_ZL9moe_vec_qIN3c104HalfELi256ELi8E11block_iq3_sLi1EXadL_ZL18vec_dot_iq3_s_q8_1PKvPK10block_q8_1RKiEEEvS4_S4_PT_PS8_iiii, .Lfunc_end271-_ZL9moe_vec_qIN3c104HalfELi256ELi8E11block_iq3_sLi1EXadL_ZL18vec_dot_iq3_s_q8_1PKvPK10block_q8_1RKiEEEvS4_S4_PT_PS8_iiii
                                        ; -- End function
	.section	.AMDGPU.csdata,"",@progbits
; Kernel info:
; codeLenInByte = 1400
; NumSgprs: 24
; NumVgprs: 46
; NumAgprs: 0
; TotalNumVgprs: 46
; ScratchSize: 0
; MemoryBound: 0
; FloatMode: 240
; IeeeMode: 1
; LDSByteSize: 0 bytes/workgroup (compile time only)
; SGPRBlocks: 2
; VGPRBlocks: 5
; NumSGPRsForWavesPerEU: 24
; NumVGPRsForWavesPerEU: 46
; AccumOffset: 48
; Occupancy: 8
; WaveLimiterHint : 1
; COMPUTE_PGM_RSRC2:SCRATCH_EN: 0
; COMPUTE_PGM_RSRC2:USER_SGPR: 6
; COMPUTE_PGM_RSRC2:TRAP_HANDLER: 0
; COMPUTE_PGM_RSRC2:TGID_X_EN: 1
; COMPUTE_PGM_RSRC2:TGID_Y_EN: 0
; COMPUTE_PGM_RSRC2:TGID_Z_EN: 1
; COMPUTE_PGM_RSRC2:TIDIG_COMP_CNT: 1
; COMPUTE_PGM_RSRC3_GFX90A:ACCUM_OFFSET: 11
; COMPUTE_PGM_RSRC3_GFX90A:TG_SPLIT: 0
	.section	.text._ZL9moe_vec_qIN3c104HalfELi256ELi8E11block_iq2_sLi1EXadL_ZL18vec_dot_iq2_s_q8_1PKvPK10block_q8_1RKiEEEvS4_S4_PT_PS8_iiii,"axG",@progbits,_ZL9moe_vec_qIN3c104HalfELi256ELi8E11block_iq2_sLi1EXadL_ZL18vec_dot_iq2_s_q8_1PKvPK10block_q8_1RKiEEEvS4_S4_PT_PS8_iiii,comdat
	.globl	_ZL9moe_vec_qIN3c104HalfELi256ELi8E11block_iq2_sLi1EXadL_ZL18vec_dot_iq2_s_q8_1PKvPK10block_q8_1RKiEEEvS4_S4_PT_PS8_iiii ; -- Begin function _ZL9moe_vec_qIN3c104HalfELi256ELi8E11block_iq2_sLi1EXadL_ZL18vec_dot_iq2_s_q8_1PKvPK10block_q8_1RKiEEEvS4_S4_PT_PS8_iiii
	.p2align	8
	.type	_ZL9moe_vec_qIN3c104HalfELi256ELi8E11block_iq2_sLi1EXadL_ZL18vec_dot_iq2_s_q8_1PKvPK10block_q8_1RKiEEEvS4_S4_PT_PS8_iiii,@function
_ZL9moe_vec_qIN3c104HalfELi256ELi8E11block_iq2_sLi1EXadL_ZL18vec_dot_iq2_s_q8_1PKvPK10block_q8_1RKiEEEvS4_S4_PT_PS8_iiii: ; @_ZL9moe_vec_qIN3c104HalfELi256ELi8E11block_iq2_sLi1EXadL_ZL18vec_dot_iq2_s_q8_1PKvPK10block_q8_1RKiEEEvS4_S4_PT_PS8_iiii
; %bb.0:
	s_mov_b32 s8, s7
	s_load_dword s7, s[4:5], 0x3c
	s_load_dwordx4 s[0:3], s[4:5], 0x20
	v_bfe_u32 v1, v0, 10, 10
	s_waitcnt lgkmcnt(0)
	s_lshr_b32 s7, s7, 16
	s_mul_i32 s6, s6, s7
	v_add_u32_e32 v1, s6, v1
	v_cmp_gt_u32_e32 vcc, s2, v1
	s_and_saveexec_b64 s[6:7], vcc
	s_cbranch_execz .LBB272_7
; %bb.1:
	s_load_dwordx2 s[6:7], s[4:5], 0x10
	s_ashr_i32 s9, s1, 31
	s_lshr_b32 s9, s9, 24
	s_add_i32 s1, s1, s9
	v_and_b32_e32 v5, 0x3ff, v0
	s_ashr_i32 s12, s1, 8
	v_lshrrev_b32_e32 v14, 3, v5
	v_cmp_gt_u32_e32 vcc, s12, v14
	v_mov_b32_e32 v15, 0
	s_and_saveexec_b64 s[10:11], vcc
	s_cbranch_execz .LBB272_5
; %bb.2:
	s_load_dwordx2 s[14:15], s[4:5], 0x18
	v_cvt_f32_u32_e32 v0, s0
	s_mov_b32 s9, 0
	s_lshl_b64 s[16:17], s[8:9], 2
	s_movk_i32 s13, 0x52
	s_waitcnt lgkmcnt(0)
	s_add_u32 s14, s14, s16
	v_rcp_iflag_f32_e32 v0, v0
	s_addc_u32 s15, s15, s17
	s_load_dword s1, s[14:15], 0x0
	s_load_dwordx4 s[16:19], s[4:5], 0x0
	s_mul_i32 s4, s12, s2
	v_mul_f32_e32 v0, 0x4f7ffffe, v0
	v_cvt_u32_f32_e32 v0, v0
	s_waitcnt lgkmcnt(0)
	s_mul_i32 s1, s4, s1
	s_mul_hi_i32 s4, s1, 0x52
	s_mulk_i32 s1, 0x52
	s_add_u32 s14, s16, s1
	s_addc_u32 s15, s17, s4
	s_sub_i32 s1, 0, s0
	v_readfirstlane_b32 s4, v0
	s_mul_i32 s1, s1, s4
	s_mul_hi_u32 s1, s4, s1
	s_add_i32 s4, s4, s1
	s_mul_hi_u32 s1, s8, s4
	s_mul_i32 s4, s1, s0
	s_sub_i32 s4, s8, s4
	s_add_i32 s5, s1, 1
	s_sub_i32 s16, s4, s0
	s_cmp_ge_u32 s4, s0
	s_cselect_b32 s1, s5, s1
	s_cselect_b32 s4, s16, s4
	s_add_i32 s5, s1, 1
	s_cmp_ge_u32 s4, s0
	s_cselect_b32 s0, s5, s1
	s_mul_i32 s0, s0, s3
	s_mov_b32 s1, s9
	s_lshl_b64 s[0:1], s[0:1], 2
	s_add_u32 s0, s18, s0
	s_addc_u32 s1, s19, s1
	v_and_b32_e32 v0, 7, v5
	v_mul_lo_u32 v16, v1, s12
	v_mov_b32_e32 v15, 0
	v_mad_u64_u32 v[2:3], s[0:1], v0, 36, s[0:1]
	v_lshlrev_b32_e32 v4, 2, v0
	v_lshlrev_b32_e32 v17, 3, v14
	s_mov_b64 s[4:5], 0
	v_pk_mov_b32 v[6:7], s[14:15], s[14:15] op_sel:[0,1]
	s_movk_i32 s3, 0x300
	s_mov_b32 s9, 0x1010101
	s_mov_b32 s14, 0x1000000
	v_mov_b32_e32 v18, 0xff0000
	v_mov_b32_e32 v19, 0xff00
	;; [unrolled: 1-line block ×3, first 2 shown]
	s_mov_b32 s15, 0xc060c00
	v_mov_b32_e32 v21, 4
.LBB272_3:                              ; =>This Inner Loop Header: Depth=1
	v_add_u32_e32 v8, v16, v14
	v_mad_i64_i32 v[8:9], s[16:17], v8, s13, v[6:7]
	v_add_co_u32_e32 v10, vcc, v8, v4
	v_addc_co_u32_e32 v11, vcc, 0, v9, vcc
	v_add_co_u32_e32 v12, vcc, v8, v0
	v_addc_co_u32_e32 v13, vcc, 0, v9, vcc
	global_load_ushort v26, v[8:9], off
	global_load_dword v22, v[10:11], off offset:2
	global_load_ubyte v23, v[12:13], off offset:66
	global_load_dword v24, v[10:11], off offset:34
	global_load_ubyte v27, v[12:13], off offset:74
	s_getpc_b64 s[0:1]
	s_add_u32 s0, s0, _ZL9iq2s_grid@rel32@lo+4
	s_addc_u32 s1, s1, _ZL9iq2s_grid@rel32@hi+12
	v_add_u32_e32 v14, 8, v14
	s_waitcnt vmcnt(4)
	v_cvt_f32_f16_e32 v26, v26
	s_waitcnt vmcnt(3)
	v_lshrrev_b32_e32 v8, 24, v22
	v_and_b32_e32 v9, 0xff, v22
	s_waitcnt vmcnt(2)
	v_lshlrev_b32_e32 v10, 8, v23
	s_waitcnt vmcnt(1)
	v_lshrrev_b32_e32 v11, 8, v24
	v_and_b32_e32 v12, 15, v24
	v_lshrrev_b16_e32 v13, 4, v24
	v_bfe_u32 v25, v22, 8, 8
	v_lshlrev_b32_e32 v28, 6, v23
	v_bfe_u32 v29, v24, 8, 4
	v_bfe_u32 v22, v22, 16, 8
	v_lshlrev_b32_e32 v30, 4, v23
	v_bfe_u32 v31, v24, 16, 4
	;; [unrolled: 3-line block ×3, first 2 shown]
	v_lshrrev_b16_sdwa v24, v21, v24 dst_sel:DWORD dst_unused:UNUSED_PAD src0_sel:DWORD src1_sel:BYTE_3
	v_and_or_b32 v9, v10, s3, v9
	v_mul_lo_u32 v10, v12, s9
	v_and_b32_e32 v12, 15, v13
	v_and_or_b32 v13, v28, s3, v25
	v_mul_lo_u32 v25, v29, s9
	v_lshrrev_b16_e32 v11, 4, v11
	v_and_or_b32 v22, v30, s3, v22
	v_mul_lo_u32 v28, v31, s9
	v_mul_lo_u32 v29, v32, s9
	v_and_or_b32 v8, v23, s3, v8
	v_mul_lo_u32 v23, v33, s9
	v_mul_lo_u32 v24, v24, s9
	v_lshlrev_b32_e32 v30, 3, v9
	v_not_b32_e32 v9, v10
	v_and_b32_e32 v10, 0xffff, v12
	v_lshlrev_b32_e32 v31, 3, v13
	v_not_b32_e32 v12, v25
	v_and_b32_e32 v11, 15, v11
	v_lshlrev_b32_e32 v25, 3, v22
	v_not_b32_e32 v13, v28
	v_not_b32_e32 v22, v29
	v_lshlrev_b32_e32 v28, 3, v8
	v_not_b32_e32 v8, v23
	v_not_b32_e32 v23, v24
	v_and_b32_e32 v24, 0x8040201, v9
	v_and_b32_e32 v29, 0x40000, v9
	;; [unrolled: 1-line block ×4, first 2 shown]
	v_mul_lo_u32 v34, v10, s9
	v_and_b32_e32 v35, 0x8040201, v12
	v_and_b32_e32 v36, 0x40000, v12
	v_and_b32_e32 v37, 0x200, v12
	v_and_b32_e32 v38, 1, v12
	v_and_b32_e32 v39, 0xffff, v11
	v_and_b32_e32 v40, 0x8040201, v13
	v_and_b32_e32 v41, 0x40000, v13
	v_and_b32_e32 v42, 0x200, v13
	v_and_b32_e32 v43, 1, v13
	v_and_b32_e32 v44, 0x8040201, v22
	v_and_b32_e32 v45, 0x40000, v22
	v_and_b32_e32 v46, 0x200, v22
	v_and_b32_e32 v47, 1, v22
	v_and_b32_e32 v48, 0x8040201, v8
	v_and_b32_e32 v49, 0x40000, v8
	v_and_b32_e32 v50, 0x200, v8
	v_and_b32_e32 v51, 1, v8
	v_and_b32_e32 v52, 0x8040201, v23
	v_and_b32_e32 v53, 0x40000, v23
	v_and_b32_e32 v54, 0x200, v23
	v_and_b32_e32 v55, 1, v23
	global_load_dwordx2 v[8:9], v30, s[0:1]
	global_load_dwordx2 v[10:11], v31, s[0:1]
	global_load_dwordx2 v[12:13], v25, s[0:1]
	global_load_dwordx2 v[22:23], v28, s[0:1]
	v_cmp_gt_u32_e32 vcc, s14, v24
	v_cndmask_b32_e64 v24, 0, -1, vcc
	v_cmp_eq_u32_e32 vcc, 0, v29
	v_cndmask_b32_e32 v25, 0, v18, vcc
	v_cmp_eq_u32_e32 vcc, 0, v32
	v_cndmask_b32_e32 v28, 0, v19, vcc
	;; [unrolled: 2-line block ×3, first 2 shown]
	v_cmp_gt_u32_e32 vcc, s14, v35
	v_cndmask_b32_e64 v31, 0, -1, vcc
	v_cmp_eq_u32_e32 vcc, 0, v36
	v_cndmask_b32_e32 v32, 0, v18, vcc
	v_cmp_eq_u32_e32 vcc, 0, v37
	v_cndmask_b32_e32 v33, 0, v19, vcc
	v_cmp_eq_u32_e32 vcc, 0, v38
	v_not_b32_e32 v30, v34
	v_cndmask_b32_e32 v34, 0, v20, vcc
	v_cmp_gt_u32_e32 vcc, s14, v40
	v_cndmask_b32_e64 v36, 0, -1, vcc
	v_cmp_eq_u32_e32 vcc, 0, v41
	v_cndmask_b32_e32 v37, 0, v18, vcc
	v_cmp_eq_u32_e32 vcc, 0, v42
	v_cndmask_b32_e32 v38, 0, v19, vcc
	v_cmp_eq_u32_e32 vcc, 0, v43
	v_mul_lo_u32 v35, v39, s9
	v_cndmask_b32_e32 v39, 0, v20, vcc
	v_cmp_gt_u32_e32 vcc, s14, v44
	v_cndmask_b32_e64 v40, 0, -1, vcc
	v_cmp_eq_u32_e32 vcc, 0, v45
	v_cndmask_b32_e32 v41, 0, v18, vcc
	v_cmp_eq_u32_e32 vcc, 0, v46
	v_cndmask_b32_e32 v42, 0, v19, vcc
	v_cmp_eq_u32_e32 vcc, 0, v47
	v_cndmask_b32_e32 v43, 0, v20, vcc
	v_cmp_gt_u32_e32 vcc, s14, v48
	v_cndmask_b32_e64 v44, 0, -1, vcc
	v_cmp_eq_u32_e32 vcc, 0, v49
	v_cndmask_b32_e32 v45, 0, v18, vcc
	v_cmp_eq_u32_e32 vcc, 0, v50
	v_cndmask_b32_e32 v46, 0, v19, vcc
	v_cmp_eq_u32_e32 vcc, 0, v51
	;; [unrolled: 8-line block ×3, first 2 shown]
	v_and_b32_e32 v53, 0x8040201, v30
	v_cndmask_b32_e32 v51, 0, v20, vcc
	v_and_b32_e32 v54, 0x40000, v30
	v_cmp_gt_u32_e32 vcc, s14, v53
	v_and_b32_e32 v55, 0x200, v30
	v_cndmask_b32_e64 v53, 0, -1, vcc
	v_cmp_eq_u32_e32 vcc, 0, v54
	v_and_b32_e32 v30, 1, v30
	v_not_b32_e32 v35, v35
	v_cndmask_b32_e32 v54, 0, v18, vcc
	v_cmp_eq_u32_e32 vcc, 0, v55
	v_cndmask_b32_e32 v55, 0, v19, vcc
	v_cmp_eq_u32_e32 vcc, 0, v30
	v_and_b32_e32 v57, 0x8040201, v35
	v_cndmask_b32_e32 v30, 0, v20, vcc
	v_and_b32_e32 v58, 0x40000, v35
	v_and_b32_e32 v59, 0x200, v35
	;; [unrolled: 1-line block ×3, first 2 shown]
	v_cmp_gt_u32_e64 s[0:1], s14, v57
	v_lshlrev_b32_e32 v53, 24, v53
	v_cmp_eq_u32_e32 vcc, 0, v35
	v_or_b32_e32 v35, v55, v30
	v_cndmask_b32_e64 v57, 0, -1, s[0:1]
	v_cmp_eq_u32_e64 s[0:1], 0, v58
	v_lshlrev_b32_e32 v24, 24, v24
	v_or_b32_e32 v52, v28, v29
	v_cndmask_b32_e64 v58, 0, v18, s[0:1]
	v_cmp_eq_u32_e64 s[0:1], 0, v59
	v_or3_b32 v35, v35, v54, v53
	v_or3_b32 v52, v52, v25, v24
	v_cndmask_b32_e64 v59, 0, v19, s[0:1]
	s_waitcnt vmcnt(3)
	v_xor_b32_e32 v9, v35, v9
	v_cndmask_b32_e32 v35, 0, v20, vcc
	v_lshlrev_b32_e32 v31, 24, v31
	v_or_b32_e32 v56, v33, v34
	v_xor_b32_e32 v8, v52, v8
	v_lshlrev_b32_e32 v52, 24, v57
	v_or_b32_e32 v57, v59, v35
	v_or3_b32 v56, v56, v32, v31
	v_or3_b32 v57, v57, v58, v52
	v_lshlrev_b32_e32 v36, 24, v36
	s_waitcnt vmcnt(2)
	v_xor_b32_e32 v10, v56, v10
	v_xor_b32_e32 v11, v57, v11
	v_or_b32_e32 v56, v38, v39
	v_lshlrev_b32_e32 v40, 24, v40
	v_or_b32_e32 v57, v42, v43
	v_or3_b32 v56, v56, v37, v36
	v_or3_b32 v57, v57, v41, v40
	v_lshlrev_b32_e32 v44, 24, v44
	s_waitcnt vmcnt(1)
	v_xor_b32_e32 v56, v56, v12
	v_xor_b32_e32 v57, v57, v13
	v_or_b32_e32 v12, v46, v47
	v_lshlrev_b32_e32 v48, 24, v48
	v_or_b32_e32 v13, v50, v51
	v_or3_b32 v12, v12, v45, v44
	v_or3_b32 v13, v13, v49, v48
	s_waitcnt vmcnt(0)
	v_xor_b32_e32 v22, v12, v22
	v_xor_b32_e32 v60, v13, v23
	v_mad_i64_i32 v[12:13], s[0:1], v17, 36, v[2:3]
	v_sub_u32_e32 v61, v8, v24
	v_sub_u32_e32 v62, v8, v25
	;; [unrolled: 1-line block ×16, first 2 shown]
	global_load_dwordx4 v[8:11], v[12:13], off
	v_sub_u32_e32 v44, v22, v44
	v_sub_u32_e32 v45, v22, v45
	;; [unrolled: 1-line block ×4, first 2 shown]
	global_load_dwordx4 v[22:25], v[12:13], off offset:16
	v_sub_u32_e32 v36, v56, v36
	v_sub_u32_e32 v37, v56, v37
	;; [unrolled: 1-line block ×4, first 2 shown]
	global_load_dword v56, v[12:13], off offset:32
	v_sub_u32_e32 v40, v57, v40
	v_sub_u32_e32 v41, v57, v41
	;; [unrolled: 1-line block ×8, first 2 shown]
	v_and_b32_e32 v36, 0xff000000, v36
	v_and_b32_e32 v38, 0xff00, v38
	v_perm_b32 v37, v37, v39, s15
	v_mov_b32_e32 v50, 0
	v_perm_b32 v29, v62, v29, s15
	v_perm_b32 v30, v54, v30, s15
	v_and_b32_e32 v54, 0xff000000, v61
	v_and_b32_e32 v39, 0xff000000, v40
	;; [unrolled: 1-line block ×3, first 2 shown]
	v_perm_b32 v41, v41, v43, s15
	v_and_b32_e32 v42, 0xff000000, v44
	v_perm_b32 v44, v45, v47, s15
	v_and_b32_e32 v12, 0xff000000, v12
	v_and_b32_e32 v45, 0xff00, v48
	v_perm_b32 v13, v13, v49, s15
	v_and_b32_e32 v28, 0xff00, v28
	v_or3_b32 v36, v37, v36, v38
	v_mov_b32_e32 v51, 0
	v_and_b32_e32 v53, 0xff000000, v53
	v_and_b32_e32 v43, 0xff00, v46
	;; [unrolled: 1-line block ×3, first 2 shown]
	v_or3_b32 v37, v41, v39, v40
	v_or3_b32 v12, v13, v12, v45
	;; [unrolled: 1-line block ×3, first 2 shown]
	v_perm_b32 v32, v32, v34, s15
	v_and_b32_e32 v31, 0xff000000, v31
	v_and_b32_e32 v33, 0xff00, v33
	v_or3_b32 v38, v44, v42, v43
	v_or3_b32 v28, v30, v53, v46
	v_and_b32_e32 v52, 0xff000000, v52
	v_perm_b32 v35, v58, v35, s15
	v_and_b32_e32 v47, 0xff00, v59
	v_or3_b32 v29, v32, v31, v33
	v_or3_b32 v30, v35, v52, v47
	v_lshrrev_b16_e32 v34, 4, v27
	v_and_b32_e32 v27, 15, v27
	v_cvt_f32_ubyte0_e32 v34, v34
	v_cvt_f32_ubyte0_e32 v27, v27
	v_add_f32_e32 v34, 0.5, v34
	v_add_f32_e32 v27, 0.5, v27
	v_cmp_le_u32_e32 vcc, s12, v14
	v_add_u32_e32 v17, 64, v17
	s_or_b64 s[4:5], vcc, s[4:5]
	s_waitcnt vmcnt(2)
	v_dot4c_i32_i8_e32 v51, v13, v9
	v_dot4c_i32_i8_e32 v51, v28, v10
	;; [unrolled: 1-line block ×3, first 2 shown]
	v_cvt_f32_f16_e32 v8, v8
	s_waitcnt vmcnt(1)
	v_dot4c_i32_i8_e32 v50, v36, v23
	v_dot4c_i32_i8_e32 v50, v37, v24
	v_dot4c_i32_i8_e32 v50, v38, v25
	v_dot4c_i32_i8_e32 v51, v30, v22
	v_mul_f32_e32 v8, v26, v8
	s_waitcnt vmcnt(0)
	v_dot4c_i32_i8_e32 v50, v12, v56
	v_mul_f32_e32 v8, 0x3e800000, v8
	v_cvt_f32_i32_e32 v10, v51
	s_nop 0
	v_cvt_f32_i32_e32 v9, v50
	v_mul_f32_e32 v9, v34, v9
	v_fmac_f32_e32 v9, v27, v10
	v_fmac_f32_e32 v15, v8, v9
	s_andn2_b64 exec, exec, s[4:5]
	s_cbranch_execnz .LBB272_3
; %bb.4:
	s_or_b64 exec, exec, s[4:5]
.LBB272_5:
	s_or_b64 exec, exec, s[10:11]
	v_mbcnt_lo_u32_b32 v0, -1, 0
	v_mbcnt_hi_u32_b32 v2, -1, v0
	v_and_b32_e32 v0, 64, v2
	v_add_u32_e32 v3, 64, v0
	v_xor_b32_e32 v0, 32, v2
	v_cmp_lt_i32_e32 vcc, v0, v3
	v_cndmask_b32_e32 v0, v2, v0, vcc
	v_lshlrev_b32_e32 v0, 2, v0
	ds_bpermute_b32 v0, v0, v15
	v_xor_b32_e32 v4, 16, v2
	v_cmp_lt_i32_e32 vcc, v4, v3
	v_cndmask_b32_e32 v4, v2, v4, vcc
	v_lshlrev_b32_e32 v4, 2, v4
	s_waitcnt lgkmcnt(0)
	v_add_f32_e32 v0, v15, v0
	ds_bpermute_b32 v4, v4, v0
	v_xor_b32_e32 v6, 8, v2
	v_cmp_lt_i32_e32 vcc, v6, v3
	s_waitcnt lgkmcnt(0)
	v_add_f32_e32 v0, v0, v4
	v_cndmask_b32_e32 v4, v2, v6, vcc
	v_lshlrev_b32_e32 v4, 2, v4
	ds_bpermute_b32 v4, v4, v0
	v_xor_b32_e32 v6, 4, v2
	v_cmp_lt_i32_e32 vcc, v6, v3
	s_waitcnt lgkmcnt(0)
	v_add_f32_e32 v0, v0, v4
	v_cndmask_b32_e32 v4, v2, v6, vcc
	v_lshlrev_b32_e32 v4, 2, v4
	;; [unrolled: 7-line block ×3, first 2 shown]
	ds_bpermute_b32 v4, v4, v0
	v_xor_b32_e32 v6, 1, v2
	v_cmp_lt_i32_e32 vcc, v6, v3
	v_cndmask_b32_e32 v2, v2, v6, vcc
	v_lshlrev_b32_e32 v2, 2, v2
	s_waitcnt lgkmcnt(0)
	v_add_f32_e32 v0, v0, v4
	ds_bpermute_b32 v2, v2, v0
	v_cmp_eq_u32_e32 vcc, 0, v5
	s_and_b64 exec, exec, vcc
	s_cbranch_execz .LBB272_7
; %bb.6:
	s_waitcnt lgkmcnt(0)
	v_add_f32_e32 v0, v0, v2
	s_mul_i32 s0, s8, s2
	v_cvt_f16_f32_e32 v2, v0
	v_add_u32_e32 v0, s0, v1
	v_mov_b32_e32 v1, 0
	v_lshlrev_b64 v[0:1], 1, v[0:1]
	v_mov_b32_e32 v3, s7
	v_add_co_u32_e32 v0, vcc, s6, v0
	v_addc_co_u32_e32 v1, vcc, v3, v1, vcc
	global_store_short v[0:1], v2, off
.LBB272_7:
	s_endpgm
	.section	.rodata,"a",@progbits
	.p2align	6, 0x0
	.amdhsa_kernel _ZL9moe_vec_qIN3c104HalfELi256ELi8E11block_iq2_sLi1EXadL_ZL18vec_dot_iq2_s_q8_1PKvPK10block_q8_1RKiEEEvS4_S4_PT_PS8_iiii
		.amdhsa_group_segment_fixed_size 0
		.amdhsa_private_segment_fixed_size 0
		.amdhsa_kernarg_size 304
		.amdhsa_user_sgpr_count 6
		.amdhsa_user_sgpr_private_segment_buffer 1
		.amdhsa_user_sgpr_dispatch_ptr 0
		.amdhsa_user_sgpr_queue_ptr 0
		.amdhsa_user_sgpr_kernarg_segment_ptr 1
		.amdhsa_user_sgpr_dispatch_id 0
		.amdhsa_user_sgpr_flat_scratch_init 0
		.amdhsa_user_sgpr_kernarg_preload_length 0
		.amdhsa_user_sgpr_kernarg_preload_offset 0
		.amdhsa_user_sgpr_private_segment_size 0
		.amdhsa_uses_dynamic_stack 0
		.amdhsa_system_sgpr_private_segment_wavefront_offset 0
		.amdhsa_system_sgpr_workgroup_id_x 1
		.amdhsa_system_sgpr_workgroup_id_y 0
		.amdhsa_system_sgpr_workgroup_id_z 1
		.amdhsa_system_sgpr_workgroup_info 0
		.amdhsa_system_vgpr_workitem_id 1
		.amdhsa_next_free_vgpr 63
		.amdhsa_next_free_sgpr 20
		.amdhsa_accum_offset 64
		.amdhsa_reserve_vcc 1
		.amdhsa_reserve_flat_scratch 0
		.amdhsa_float_round_mode_32 0
		.amdhsa_float_round_mode_16_64 0
		.amdhsa_float_denorm_mode_32 3
		.amdhsa_float_denorm_mode_16_64 3
		.amdhsa_dx10_clamp 1
		.amdhsa_ieee_mode 1
		.amdhsa_fp16_overflow 0
		.amdhsa_tg_split 0
		.amdhsa_exception_fp_ieee_invalid_op 0
		.amdhsa_exception_fp_denorm_src 0
		.amdhsa_exception_fp_ieee_div_zero 0
		.amdhsa_exception_fp_ieee_overflow 0
		.amdhsa_exception_fp_ieee_underflow 0
		.amdhsa_exception_fp_ieee_inexact 0
		.amdhsa_exception_int_div_zero 0
	.end_amdhsa_kernel
	.section	.text._ZL9moe_vec_qIN3c104HalfELi256ELi8E11block_iq2_sLi1EXadL_ZL18vec_dot_iq2_s_q8_1PKvPK10block_q8_1RKiEEEvS4_S4_PT_PS8_iiii,"axG",@progbits,_ZL9moe_vec_qIN3c104HalfELi256ELi8E11block_iq2_sLi1EXadL_ZL18vec_dot_iq2_s_q8_1PKvPK10block_q8_1RKiEEEvS4_S4_PT_PS8_iiii,comdat
.Lfunc_end272:
	.size	_ZL9moe_vec_qIN3c104HalfELi256ELi8E11block_iq2_sLi1EXadL_ZL18vec_dot_iq2_s_q8_1PKvPK10block_q8_1RKiEEEvS4_S4_PT_PS8_iiii, .Lfunc_end272-_ZL9moe_vec_qIN3c104HalfELi256ELi8E11block_iq2_sLi1EXadL_ZL18vec_dot_iq2_s_q8_1PKvPK10block_q8_1RKiEEEvS4_S4_PT_PS8_iiii
                                        ; -- End function
	.section	.AMDGPU.csdata,"",@progbits
; Kernel info:
; codeLenInByte = 2348
; NumSgprs: 24
; NumVgprs: 63
; NumAgprs: 0
; TotalNumVgprs: 63
; ScratchSize: 0
; MemoryBound: 0
; FloatMode: 240
; IeeeMode: 1
; LDSByteSize: 0 bytes/workgroup (compile time only)
; SGPRBlocks: 2
; VGPRBlocks: 7
; NumSGPRsForWavesPerEU: 24
; NumVGPRsForWavesPerEU: 63
; AccumOffset: 64
; Occupancy: 8
; WaveLimiterHint : 1
; COMPUTE_PGM_RSRC2:SCRATCH_EN: 0
; COMPUTE_PGM_RSRC2:USER_SGPR: 6
; COMPUTE_PGM_RSRC2:TRAP_HANDLER: 0
; COMPUTE_PGM_RSRC2:TGID_X_EN: 1
; COMPUTE_PGM_RSRC2:TGID_Y_EN: 0
; COMPUTE_PGM_RSRC2:TGID_Z_EN: 1
; COMPUTE_PGM_RSRC2:TIDIG_COMP_CNT: 1
; COMPUTE_PGM_RSRC3_GFX90A:ACCUM_OFFSET: 15
; COMPUTE_PGM_RSRC3_GFX90A:TG_SPLIT: 0
	.section	.text._ZL9moe_vec_qIN3c104HalfELi256ELi8E12block_iq4_xsLi1EXadL_ZL19vec_dot_iq4_xs_q8_1PKvPK10block_q8_1RKiEEEvS4_S4_PT_PS8_iiii,"axG",@progbits,_ZL9moe_vec_qIN3c104HalfELi256ELi8E12block_iq4_xsLi1EXadL_ZL19vec_dot_iq4_xs_q8_1PKvPK10block_q8_1RKiEEEvS4_S4_PT_PS8_iiii,comdat
	.globl	_ZL9moe_vec_qIN3c104HalfELi256ELi8E12block_iq4_xsLi1EXadL_ZL19vec_dot_iq4_xs_q8_1PKvPK10block_q8_1RKiEEEvS4_S4_PT_PS8_iiii ; -- Begin function _ZL9moe_vec_qIN3c104HalfELi256ELi8E12block_iq4_xsLi1EXadL_ZL19vec_dot_iq4_xs_q8_1PKvPK10block_q8_1RKiEEEvS4_S4_PT_PS8_iiii
	.p2align	8
	.type	_ZL9moe_vec_qIN3c104HalfELi256ELi8E12block_iq4_xsLi1EXadL_ZL19vec_dot_iq4_xs_q8_1PKvPK10block_q8_1RKiEEEvS4_S4_PT_PS8_iiii,@function
_ZL9moe_vec_qIN3c104HalfELi256ELi8E12block_iq4_xsLi1EXadL_ZL19vec_dot_iq4_xs_q8_1PKvPK10block_q8_1RKiEEEvS4_S4_PT_PS8_iiii: ; @_ZL9moe_vec_qIN3c104HalfELi256ELi8E12block_iq4_xsLi1EXadL_ZL19vec_dot_iq4_xs_q8_1PKvPK10block_q8_1RKiEEEvS4_S4_PT_PS8_iiii
; %bb.0:
	s_mov_b32 s8, s7
	s_load_dword s7, s[4:5], 0x3c
	s_load_dwordx4 s[0:3], s[4:5], 0x20
	v_bfe_u32 v1, v0, 10, 10
	s_waitcnt lgkmcnt(0)
	s_lshr_b32 s7, s7, 16
	s_mul_i32 s6, s6, s7
	v_add_u32_e32 v11, s6, v1
	v_cmp_gt_u32_e32 vcc, s2, v11
	s_and_saveexec_b64 s[6:7], vcc
	s_cbranch_execz .LBB273_7
; %bb.1:
	s_load_dwordx2 s[6:7], s[4:5], 0x10
	s_ashr_i32 s9, s1, 31
	s_lshr_b32 s9, s9, 24
	s_add_i32 s1, s1, s9
	v_and_b32_e32 v16, 0x3ff, v0
	s_ashr_i32 s12, s1, 8
	v_lshrrev_b32_e32 v17, 3, v16
	v_cmp_gt_u32_e32 vcc, s12, v17
	v_mov_b32_e32 v18, 0
	s_and_saveexec_b64 s[10:11], vcc
	s_cbranch_execz .LBB273_5
; %bb.2:
	s_load_dwordx2 s[14:15], s[4:5], 0x18
	v_cvt_f32_u32_e32 v0, s0
	s_mov_b32 s9, 0
	s_lshl_b64 s[16:17], s[8:9], 2
	v_and_b32_e32 v1, 7, v16
	s_waitcnt lgkmcnt(0)
	s_add_u32 s14, s14, s16
	v_rcp_iflag_f32_e32 v0, v0
	s_addc_u32 s15, s15, s17
	s_load_dword s1, s[14:15], 0x0
	s_load_dwordx4 s[16:19], s[4:5], 0x0
	s_mul_i32 s4, s12, s2
	v_mul_f32_e32 v0, 0x4f7ffffe, v0
	v_cvt_u32_f32_e32 v0, v0
	s_waitcnt lgkmcnt(0)
	s_mul_i32 s1, s4, s1
	s_mul_hi_i32 s5, s1, 0x88
	s_mulk_i32 s1, 0x88
	s_add_u32 s4, s16, s1
	s_addc_u32 s5, s17, s5
	s_sub_i32 s1, 0, s0
	v_readfirstlane_b32 s14, v0
	s_mul_i32 s1, s1, s14
	s_mul_hi_u32 s1, s14, s1
	s_add_i32 s14, s14, s1
	s_mul_hi_u32 s1, s8, s14
	s_mul_i32 s14, s1, s0
	s_sub_i32 s14, s8, s14
	s_add_i32 s15, s1, 1
	s_sub_i32 s16, s14, s0
	s_cmp_ge_u32 s14, s0
	s_cselect_b32 s1, s15, s1
	s_cselect_b32 s14, s16, s14
	s_add_i32 s15, s1, 1
	s_cmp_ge_u32 s14, s0
	s_cselect_b32 s0, s15, s1
	s_mul_i32 s0, s0, s3
	s_mov_b32 s1, s9
	s_lshl_b64 s[0:1], s[0:1], 2
	s_add_u32 s0, s18, s0
	s_addc_u32 s1, s19, s1
	v_mad_u64_u32 v[8:9], s[0:1], v1, 36, s[0:1]
	v_lshlrev_b32_e32 v0, 2, v1
	v_lshlrev_b32_e32 v2, 2, v16
	s_movk_i32 s13, 0x88
	v_mul_lo_u32 v19, v11, s12
	v_mov_b32_e32 v18, 0
	v_bfe_u32 v10, v16, 1, 2
	v_and_b32_e32 v20, 4, v2
	v_lshlrev_b32_e32 v21, 1, v1
	v_lshlrev_b32_e32 v22, 3, v17
	s_mov_b64 s[0:1], 0
	v_pk_mov_b32 v[12:13], s[4:5], s[4:5] op_sel:[0,1]
	v_lshlrev_b32_e32 v23, 2, v0
.LBB273_3:                              ; =>This Inner Loop Header: Depth=1
	v_add_u32_e32 v0, v19, v17
	v_mad_i64_i32 v[28:29], s[14:15], v0, s13, v[12:13]
	v_add_co_u32_e32 v30, vcc, v28, v23
	v_addc_co_u32_e32 v31, vcc, 0, v29, vcc
	v_add_co_u32_e32 v32, vcc, v28, v10
	v_mad_i64_i32 v[14:15], s[4:5], v22, 36, v[8:9]
	v_addc_co_u32_e32 v33, vcc, 0, v29, vcc
	global_load_dwordx4 v[24:27], v[30:31], off offset:8
	global_load_ubyte v34, v[32:33], off offset:4
	global_load_dwordx4 v[4:7], v[14:15], off
	global_load_dwordx4 v[0:3], v[14:15], off offset:16
	global_load_dword v35, v[28:29], off
	s_getpc_b64 s[4:5]
	s_add_u32 s4, s4, _ZL13kvalues_iq4nl@rel32@lo+4
	s_addc_u32 s5, s5, _ZL13kvalues_iq4nl@rel32@hi+12
	v_add_u32_e32 v17, 8, v17
	v_cmp_le_u32_e32 vcc, s12, v17
	v_add_u32_e32 v22, 64, v22
	s_or_b64 s[0:1], vcc, s[0:1]
	s_waitcnt vmcnt(4)
	v_bfe_u32 v28, v24, 24, 4
	v_and_b32_e32 v29, 15, v24
	v_bfe_u32 v30, v24, 8, 4
	v_bfe_u32 v31, v24, 16, 4
	v_bfe_u32 v32, v24, 20, 4
	v_lshrrev_b32_e32 v33, 28, v24
	v_bfe_u32 v36, v24, 4, 4
	v_bfe_u32 v24, v24, 12, 4
	v_bfe_u32 v37, v25, 24, 4
	v_and_b32_e32 v38, 15, v25
	v_bfe_u32 v39, v25, 8, 4
	v_bfe_u32 v40, v25, 16, 4
	v_bfe_u32 v41, v25, 20, 4
	v_lshrrev_b32_e32 v42, 28, v25
	v_bfe_u32 v43, v25, 4, 4
	v_bfe_u32 v25, v25, 12, 4
	;; [unrolled: 8-line block ×4, first 2 shown]
	global_load_ubyte v58, v24, s[4:5]
	global_load_ubyte v59, v30, s[4:5]
	;; [unrolled: 1-line block ×6, first 2 shown]
                                        ; kill: killed $vgpr33
                                        ; kill: killed $vgpr32
                                        ; kill: killed $vgpr24
                                        ; kill: killed $vgpr31
                                        ; kill: killed $vgpr36
                                        ; kill: killed $vgpr30
	global_load_ubyte v24, v29, s[4:5]
	global_load_ubyte v30, v28, s[4:5]
	;; [unrolled: 1-line block ×4, first 2 shown]
	s_nop 0
	global_load_ubyte v33, v40, s[4:5]
	global_load_ubyte v36, v41, s[4:5]
                                        ; kill: killed $vgpr41
                                        ; kill: killed $vgpr40
                                        ; kill: killed $vgpr39
                                        ; kill: killed $vgpr29
                                        ; kill: killed $vgpr28
                                        ; kill: killed $vgpr25
	global_load_ubyte v25, v43, s[4:5]
	global_load_ubyte v28, v42, s[4:5]
	;; [unrolled: 1-line block ×6, first 2 shown]
                                        ; kill: killed $vgpr37
                                        ; kill: killed $vgpr46
                                        ; kill: killed $vgpr38
                                        ; kill: killed $vgpr42
                                        ; kill: killed $vgpr26
                                        ; kill: killed $vgpr43
	s_nop 0
	global_load_ubyte v26, v47, s[4:5]
	global_load_ubyte v37, v48, s[4:5]
	;; [unrolled: 1-line block ×6, first 2 shown]
                                        ; kill: killed $vgpr44
                                        ; kill: killed $vgpr48
                                        ; kill: killed $vgpr47
                                        ; kill: killed $vgpr45
                                        ; kill: killed $vgpr49
                                        ; kill: killed $vgpr50
	s_nop 0
	global_load_ubyte v44, v27, s[4:5]
	global_load_ubyte v45, v53, s[4:5]
	;; [unrolled: 1-line block ×6, first 2 shown]
                                        ; kill: killed $vgpr55
                                        ; kill: killed $vgpr54
                                        ; kill: killed $vgpr53
                                        ; kill: killed $vgpr56
                                        ; kill: killed $vgpr27
                                        ; kill: killed $vgpr51
	global_load_ubyte v27, v52, s[4:5]
	s_nop 0
	global_load_ubyte v51, v57, s[4:5]
	global_load_dword v53, v[14:15], off offset:32
	s_waitcnt vmcnt(33)
	v_cvt_f32_f16_e32 v52, v35
	v_lshrrev_b32_sdwa v35, v21, v35 dst_sel:DWORD dst_unused:UNUSED_PAD src0_sel:DWORD src1_sel:WORD_1
	v_bfe_u32 v34, v34, v20, 4
	v_lshlrev_b32_e32 v35, 4, v35
	v_and_or_b32 v34, v35, 48, v34
	v_mov_b32_e32 v14, 0
	v_mov_b32_e32 v15, 0
	v_subrev_u32_e32 v34, 32, v34
	v_cvt_f32_i32_e32 v34, v34
	v_cvt_f32_f16_e32 v4, v4
	s_waitcnt vmcnt(30)
	v_lshlrev_b32_e32 v35, 16, v60
	s_waitcnt vmcnt(29)
	v_lshlrev_b32_e32 v55, 16, v61
	s_waitcnt vmcnt(28)
	v_lshl_or_b32 v56, v58, 8, v62
	s_waitcnt vmcnt(27)
	v_lshlrev_b32_e32 v54, 24, v63
	s_waitcnt vmcnt(26)
	v_lshl_or_b32 v24, v59, 8, v24
	s_waitcnt vmcnt(25)
	v_lshlrev_b32_e32 v30, 24, v30
	v_or3_b32 v24, v24, v35, v30
	v_or3_b32 v30, v56, v55, v54
	s_waitcnt vmcnt(22)
	v_lshlrev_b32_e32 v33, 16, v33
	v_dot4c_i32_i8_e32 v14, v24, v5
	v_dot4c_i32_i8_e32 v15, v30, v1
	v_mul_f32_e32 v1, v52, v34
	v_mul_f32_e32 v1, v1, v4
	s_waitcnt vmcnt(20)
	v_lshl_or_b32 v25, v31, 8, v25
	s_waitcnt vmcnt(19)
	v_lshlrev_b32_e32 v28, 24, v28
	s_waitcnt vmcnt(18)
	v_lshl_or_b32 v29, v32, 8, v29
	s_waitcnt vmcnt(17)
	v_lshlrev_b32_e32 v39, 24, v39
	v_lshlrev_b32_e32 v32, 16, v36
	v_or3_b32 v29, v29, v33, v39
	v_or3_b32 v25, v25, v32, v28
	v_dot4c_i32_i8_e32 v14, v29, v6
	v_dot4c_i32_i8_e32 v15, v25, v2
	s_waitcnt vmcnt(14)
	v_lshlrev_b32_e32 v26, 16, v26
	s_waitcnt vmcnt(13)
	v_lshlrev_b32_e32 v37, 16, v37
	s_waitcnt vmcnt(12)
	v_lshl_or_b32 v38, v40, 8, v38
	s_waitcnt vmcnt(10)
	v_lshl_or_b32 v36, v41, 8, v43
	s_waitcnt vmcnt(9)
	v_lshlrev_b32_e32 v31, 24, v46
	v_lshlrev_b32_e32 v41, 24, v42
	v_or3_b32 v26, v36, v26, v31
	v_or3_b32 v28, v38, v37, v41
	v_dot4c_i32_i8_e32 v14, v26, v7
	v_dot4c_i32_i8_e32 v15, v28, v3
	s_waitcnt vmcnt(6)
	v_lshlrev_b32_e32 v42, 16, v47
	s_waitcnt vmcnt(4)
	v_lshlrev_b32_e32 v43, 24, v49
	;; [unrolled: 2-line block ×3, first 2 shown]
	s_waitcnt vmcnt(2)
	v_lshl_or_b32 v27, v45, 8, v27
	v_lshlrev_b32_e32 v45, 16, v48
	s_waitcnt vmcnt(1)
	v_lshl_or_b32 v44, v44, 8, v51
	v_or3_b32 v27, v27, v42, v40
	v_or3_b32 v31, v44, v45, v43
	v_dot4c_i32_i8_e32 v14, v27, v0
	s_waitcnt vmcnt(0)
	v_dot4c_i32_i8_e32 v15, v31, v53
	s_nop 2
	v_add_u32_e32 v0, v15, v14
	v_cvt_f32_i32_e32 v0, v0
	v_fmac_f32_e32 v18, v1, v0
	s_andn2_b64 exec, exec, s[0:1]
	s_cbranch_execnz .LBB273_3
; %bb.4:
	s_or_b64 exec, exec, s[0:1]
.LBB273_5:
	s_or_b64 exec, exec, s[10:11]
	v_mbcnt_lo_u32_b32 v0, -1, 0
	v_mbcnt_hi_u32_b32 v1, -1, v0
	v_and_b32_e32 v0, 64, v1
	v_add_u32_e32 v2, 64, v0
	v_xor_b32_e32 v0, 32, v1
	v_cmp_lt_i32_e32 vcc, v0, v2
	v_cndmask_b32_e32 v0, v1, v0, vcc
	v_lshlrev_b32_e32 v0, 2, v0
	ds_bpermute_b32 v0, v0, v18
	v_xor_b32_e32 v3, 16, v1
	v_cmp_lt_i32_e32 vcc, v3, v2
	v_cndmask_b32_e32 v3, v1, v3, vcc
	v_lshlrev_b32_e32 v3, 2, v3
	s_waitcnt lgkmcnt(0)
	v_add_f32_e32 v0, v18, v0
	ds_bpermute_b32 v3, v3, v0
	v_xor_b32_e32 v4, 8, v1
	v_cmp_lt_i32_e32 vcc, v4, v2
	s_waitcnt lgkmcnt(0)
	v_add_f32_e32 v0, v0, v3
	v_cndmask_b32_e32 v3, v1, v4, vcc
	v_lshlrev_b32_e32 v3, 2, v3
	ds_bpermute_b32 v3, v3, v0
	v_xor_b32_e32 v4, 4, v1
	v_cmp_lt_i32_e32 vcc, v4, v2
	s_waitcnt lgkmcnt(0)
	v_add_f32_e32 v0, v0, v3
	v_cndmask_b32_e32 v3, v1, v4, vcc
	v_lshlrev_b32_e32 v3, 2, v3
	;; [unrolled: 7-line block ×3, first 2 shown]
	ds_bpermute_b32 v3, v3, v0
	v_xor_b32_e32 v4, 1, v1
	v_cmp_lt_i32_e32 vcc, v4, v2
	v_cndmask_b32_e32 v1, v1, v4, vcc
	v_lshlrev_b32_e32 v1, 2, v1
	s_waitcnt lgkmcnt(0)
	v_add_f32_e32 v0, v0, v3
	ds_bpermute_b32 v1, v1, v0
	v_cmp_eq_u32_e32 vcc, 0, v16
	s_and_b64 exec, exec, vcc
	s_cbranch_execz .LBB273_7
; %bb.6:
	s_waitcnt lgkmcnt(0)
	v_add_f32_e32 v0, v0, v1
	s_mul_i32 s0, s8, s2
	v_cvt_f16_f32_e32 v2, v0
	v_add_u32_e32 v0, s0, v11
	v_mov_b32_e32 v1, 0
	v_lshlrev_b64 v[0:1], 1, v[0:1]
	v_mov_b32_e32 v3, s7
	v_add_co_u32_e32 v0, vcc, s6, v0
	v_addc_co_u32_e32 v1, vcc, v3, v1, vcc
	global_store_short v[0:1], v2, off
.LBB273_7:
	s_endpgm
	.section	.rodata,"a",@progbits
	.p2align	6, 0x0
	.amdhsa_kernel _ZL9moe_vec_qIN3c104HalfELi256ELi8E12block_iq4_xsLi1EXadL_ZL19vec_dot_iq4_xs_q8_1PKvPK10block_q8_1RKiEEEvS4_S4_PT_PS8_iiii
		.amdhsa_group_segment_fixed_size 0
		.amdhsa_private_segment_fixed_size 0
		.amdhsa_kernarg_size 304
		.amdhsa_user_sgpr_count 6
		.amdhsa_user_sgpr_private_segment_buffer 1
		.amdhsa_user_sgpr_dispatch_ptr 0
		.amdhsa_user_sgpr_queue_ptr 0
		.amdhsa_user_sgpr_kernarg_segment_ptr 1
		.amdhsa_user_sgpr_dispatch_id 0
		.amdhsa_user_sgpr_flat_scratch_init 0
		.amdhsa_user_sgpr_kernarg_preload_length 0
		.amdhsa_user_sgpr_kernarg_preload_offset 0
		.amdhsa_user_sgpr_private_segment_size 0
		.amdhsa_uses_dynamic_stack 0
		.amdhsa_system_sgpr_private_segment_wavefront_offset 0
		.amdhsa_system_sgpr_workgroup_id_x 1
		.amdhsa_system_sgpr_workgroup_id_y 0
		.amdhsa_system_sgpr_workgroup_id_z 1
		.amdhsa_system_sgpr_workgroup_info 0
		.amdhsa_system_vgpr_workitem_id 1
		.amdhsa_next_free_vgpr 64
		.amdhsa_next_free_sgpr 20
		.amdhsa_accum_offset 64
		.amdhsa_reserve_vcc 1
		.amdhsa_reserve_flat_scratch 0
		.amdhsa_float_round_mode_32 0
		.amdhsa_float_round_mode_16_64 0
		.amdhsa_float_denorm_mode_32 3
		.amdhsa_float_denorm_mode_16_64 3
		.amdhsa_dx10_clamp 1
		.amdhsa_ieee_mode 1
		.amdhsa_fp16_overflow 0
		.amdhsa_tg_split 0
		.amdhsa_exception_fp_ieee_invalid_op 0
		.amdhsa_exception_fp_denorm_src 0
		.amdhsa_exception_fp_ieee_div_zero 0
		.amdhsa_exception_fp_ieee_overflow 0
		.amdhsa_exception_fp_ieee_underflow 0
		.amdhsa_exception_fp_ieee_inexact 0
		.amdhsa_exception_int_div_zero 0
	.end_amdhsa_kernel
	.section	.text._ZL9moe_vec_qIN3c104HalfELi256ELi8E12block_iq4_xsLi1EXadL_ZL19vec_dot_iq4_xs_q8_1PKvPK10block_q8_1RKiEEEvS4_S4_PT_PS8_iiii,"axG",@progbits,_ZL9moe_vec_qIN3c104HalfELi256ELi8E12block_iq4_xsLi1EXadL_ZL19vec_dot_iq4_xs_q8_1PKvPK10block_q8_1RKiEEEvS4_S4_PT_PS8_iiii,comdat
.Lfunc_end273:
	.size	_ZL9moe_vec_qIN3c104HalfELi256ELi8E12block_iq4_xsLi1EXadL_ZL19vec_dot_iq4_xs_q8_1PKvPK10block_q8_1RKiEEEvS4_S4_PT_PS8_iiii, .Lfunc_end273-_ZL9moe_vec_qIN3c104HalfELi256ELi8E12block_iq4_xsLi1EXadL_ZL19vec_dot_iq4_xs_q8_1PKvPK10block_q8_1RKiEEEvS4_S4_PT_PS8_iiii
                                        ; -- End function
	.section	.AMDGPU.csdata,"",@progbits
; Kernel info:
; codeLenInByte = 1664
; NumSgprs: 24
; NumVgprs: 64
; NumAgprs: 0
; TotalNumVgprs: 64
; ScratchSize: 0
; MemoryBound: 0
; FloatMode: 240
; IeeeMode: 1
; LDSByteSize: 0 bytes/workgroup (compile time only)
; SGPRBlocks: 2
; VGPRBlocks: 7
; NumSGPRsForWavesPerEU: 24
; NumVGPRsForWavesPerEU: 64
; AccumOffset: 64
; Occupancy: 8
; WaveLimiterHint : 1
; COMPUTE_PGM_RSRC2:SCRATCH_EN: 0
; COMPUTE_PGM_RSRC2:USER_SGPR: 6
; COMPUTE_PGM_RSRC2:TRAP_HANDLER: 0
; COMPUTE_PGM_RSRC2:TGID_X_EN: 1
; COMPUTE_PGM_RSRC2:TGID_Y_EN: 0
; COMPUTE_PGM_RSRC2:TGID_Z_EN: 1
; COMPUTE_PGM_RSRC2:TIDIG_COMP_CNT: 1
; COMPUTE_PGM_RSRC3_GFX90A:ACCUM_OFFSET: 15
; COMPUTE_PGM_RSRC3_GFX90A:TG_SPLIT: 0
	.section	.text._ZL9moe_vec_qIN3c104HalfELi256ELi8E11block_iq1_mLi1EXadL_ZL18vec_dot_iq1_m_q8_1PKvPK10block_q8_1RKiEEEvS4_S4_PT_PS8_iiii,"axG",@progbits,_ZL9moe_vec_qIN3c104HalfELi256ELi8E11block_iq1_mLi1EXadL_ZL18vec_dot_iq1_m_q8_1PKvPK10block_q8_1RKiEEEvS4_S4_PT_PS8_iiii,comdat
	.globl	_ZL9moe_vec_qIN3c104HalfELi256ELi8E11block_iq1_mLi1EXadL_ZL18vec_dot_iq1_m_q8_1PKvPK10block_q8_1RKiEEEvS4_S4_PT_PS8_iiii ; -- Begin function _ZL9moe_vec_qIN3c104HalfELi256ELi8E11block_iq1_mLi1EXadL_ZL18vec_dot_iq1_m_q8_1PKvPK10block_q8_1RKiEEEvS4_S4_PT_PS8_iiii
	.p2align	8
	.type	_ZL9moe_vec_qIN3c104HalfELi256ELi8E11block_iq1_mLi1EXadL_ZL18vec_dot_iq1_m_q8_1PKvPK10block_q8_1RKiEEEvS4_S4_PT_PS8_iiii,@function
_ZL9moe_vec_qIN3c104HalfELi256ELi8E11block_iq1_mLi1EXadL_ZL18vec_dot_iq1_m_q8_1PKvPK10block_q8_1RKiEEEvS4_S4_PT_PS8_iiii: ; @_ZL9moe_vec_qIN3c104HalfELi256ELi8E11block_iq1_mLi1EXadL_ZL18vec_dot_iq1_m_q8_1PKvPK10block_q8_1RKiEEEvS4_S4_PT_PS8_iiii
; %bb.0:
	s_mov_b32 s8, s7
	s_load_dword s7, s[4:5], 0x3c
	s_load_dwordx4 s[0:3], s[4:5], 0x20
	v_bfe_u32 v1, v0, 10, 10
	s_waitcnt lgkmcnt(0)
	s_lshr_b32 s7, s7, 16
	s_mul_i32 s6, s6, s7
	v_add_u32_e32 v9, s6, v1
	v_cmp_gt_u32_e32 vcc, s2, v9
	s_and_saveexec_b64 s[6:7], vcc
	s_cbranch_execz .LBB274_7
; %bb.1:
	v_cvt_f32_u32_e32 v1, s0
	v_and_b32_e32 v11, 0x3ff, v0
	s_load_dwordx2 s[6:7], s[4:5], 0x10
	s_ashr_i32 s9, s1, 31
	v_rcp_iflag_f32_e32 v1, v1
	s_lshr_b32 s9, s9, 24
	s_add_i32 s1, s1, s9
	v_lshrrev_b32_e32 v14, 3, v11
	v_mul_f32_e32 v0, 0x4f7ffffe, v1
	v_cvt_u32_f32_e32 v0, v0
	s_ashr_i32 s15, s1, 8
	v_cmp_gt_u32_e32 vcc, s15, v14
	v_mov_b32_e32 v15, 0
	v_readfirstlane_b32 s1, v0
	s_and_saveexec_b64 s[10:11], vcc
	s_cbranch_execz .LBB274_5
; %bb.2:
	s_sub_i32 s12, 0, s0
	s_mul_i32 s14, s12, s1
	s_load_dwordx4 s[16:19], s[4:5], 0x0
	s_load_dwordx2 s[12:13], s[4:5], 0x18
	s_mov_b32 s9, 0
	s_mul_hi_u32 s4, s1, s14
	s_add_i32 s1, s1, s4
	s_lshl_b64 s[4:5], s[8:9], 2
	s_waitcnt lgkmcnt(0)
	s_add_u32 s4, s12, s4
	s_mul_hi_u32 s1, s8, s1
	s_addc_u32 s5, s13, s5
	s_load_dword s4, s[4:5], 0x0
	s_mul_i32 s5, s1, s0
	s_sub_i32 s5, s8, s5
	s_add_i32 s12, s1, 1
	s_sub_i32 s13, s5, s0
	s_cmp_ge_u32 s5, s0
	s_cselect_b32 s1, s12, s1
	s_cselect_b32 s5, s13, s5
	s_add_i32 s12, s1, 1
	s_cmp_ge_u32 s5, s0
	s_mul_i32 s0, s15, s2
	s_waitcnt lgkmcnt(0)
	s_mul_i32 s0, s0, s4
	s_cselect_b32 s5, s12, s1
	s_mul_hi_i32 s1, s0, 56
	s_mul_i32 s0, s0, 56
	s_add_u32 s0, s16, s0
	s_mul_i32 s4, s5, s3
	s_mov_b32 s5, s9
	s_addc_u32 s1, s17, s1
	s_lshl_b64 s[4:5], s[4:5], 2
	v_and_b32_e32 v1, 1, v11
	s_add_u32 s4, s18, s4
	v_and_b32_e32 v8, 7, v11
	v_bfe_u32 v0, v11, 1, 2
	v_cmp_eq_u32_e32 vcc, 1, v1
	s_mov_b32 s18, 0xbf600000
	s_addc_u32 s5, s19, s5
	v_mul_lo_u32 v16, v9, s15
	v_mov_b32_e32 v15, 0
	v_lshlrev_b32_e32 v10, 1, v8
	v_cndmask_b32_e64 v17, 0, 6, vcc
	v_lshlrev_b32_e32 v18, 3, v14
	s_mov_b64 s[12:13], 0
	v_lshlrev_b32_e32 v19, 2, v8
	s_mov_b32 s3, 0x40008
	s_movk_i32 s9, 0xf000
	v_lshlrev_b32_e32 v20, 1, v0
	s_movk_i32 s16, 0x700
	s_mov_b32 s14, 0x3d000000
	v_pk_mov_b32 v[12:13], s[18:19], s[18:19] op_sel:[0,1]
	v_mov_b32_e32 v21, 8
.LBB274_3:                              ; =>This Inner Loop Header: Depth=1
	v_add_u32_e32 v0, v16, v14
	v_mad_i64_i32 v[22:23], s[18:19], v0, 56, s[0:1]
	v_add_co_u32_e32 v0, vcc, v22, v19
	v_addc_co_u32_e32 v1, vcc, 0, v23, vcc
	v_add_co_u32_e32 v2, vcc, v22, v10
	v_addc_co_u32_e32 v3, vcc, 0, v23, vcc
	global_load_dword v26, v[0:1], off
	global_load_ushort v27, v[2:3], off offset:32
	v_mad_i64_i32 v[0:1], s[18:19], v18, 36, s[4:5]
	v_mad_u64_u32 v[24:25], s[20:21], v8, 36, v[0:1]
	global_load_dword v32, v[24:25], off offset:32
	global_load_dwordx4 v[4:7], v[24:25], off
	global_load_dwordx4 v[0:3], v[24:25], off offset:16
	s_getpc_b64 s[18:19]
	s_add_u32 s18, s18, _ZL13iq1s_grid_gpu@rel32@lo+4
	s_addc_u32 s19, s19, _ZL13iq1s_grid_gpu@rel32@hi+12
	v_add_co_u32_e32 v24, vcc, v22, v20
	v_addc_co_u32_e32 v25, vcc, 0, v23, vcc
	global_load_dwordx2 v[22:23], v[22:23], off offset:48
	v_mov_b32_e32 v39, 0
	v_mov_b32_e32 v40, 0
	v_add_u32_e32 v14, 8, v14
	v_cmp_le_u32_e32 vcc, s15, v14
	v_add_u32_e32 v18, 64, v18
	s_or_b64 s[12:13], vcc, s[12:13]
	s_waitcnt vmcnt(5)
	v_and_b32_e32 v28, 0xff, v26
	s_waitcnt vmcnt(4)
	v_lshlrev_b32_e32 v31, 8, v27
	v_lshrrev_b16_e32 v34, 4, v27
	v_and_or_b32 v28, v31, s16, v28
	v_and_b32_e32 v31, 15, v34
	v_bfe_u32 v29, v26, 8, 8
	v_lshrrev_b16_e32 v33, 12, v27
	v_lshlrev_b32_e32 v31, 8, v31
	v_bfe_u32 v30, v26, 16, 8
	v_lshlrev_b32_sdwa v35, v21, v27 dst_sel:DWORD dst_unused:UNUSED_PAD src0_sel:DWORD src1_sel:BYTE_1
	v_alignbit_b32 v26, v33, v26, 24
	v_lshlrev_b32_e32 v28, 3, v28
	v_and_or_b32 v29, v31, s16, v29
	v_and_or_b32 v30, v35, s16, v30
	v_and_b32_e32 v26, 0x7ff, v26
	global_load_dword v35, v28, s[18:19]
	v_lshlrev_b32_e32 v28, 3, v29
	v_lshlrev_b32_e32 v30, 3, v30
	v_lshlrev_b32_e32 v26, 3, v26
	global_load_dword v36, v28, s[18:19]
	global_load_dword v37, v30, s[18:19]
	;; [unrolled: 1-line block ×3, first 2 shown]
	global_load_ushort v29, v[24:25], off offset:48
	v_mov_b32_e32 v24, 0
	v_mov_b32_e32 v25, 0
	s_waitcnt vmcnt(7)
	v_dot4c_i32_i8_e32 v24, 0x1010101, v5
	s_waitcnt vmcnt(6)
	v_dot4c_i32_i8_e32 v25, 0x1010101, v1
	v_dot4c_i32_i8_e32 v24, 0x1010101, v6
	;; [unrolled: 1-line block ×3, first 2 shown]
	s_waitcnt vmcnt(5)
	v_alignbit_b32 v30, v23, v22, 16
	v_lshrrev_b16_e32 v31, 12, v22
	v_cvt_f32_i32_e32 v24, v24
	v_cvt_f32_i32_e32 v25, v25
	v_and_b32_sdwa v41, v23, s9 dst_sel:DWORD dst_unused:UNUSED_PAD src0_sel:WORD_1 src1_sel:DWORD
	v_and_b32_sdwa v23, v27, v21 dst_sel:DWORD dst_unused:UNUSED_PAD src0_sel:BYTE_1 src1_sel:DWORD
	v_and_b32_e32 v27, 8, v27
	v_cvt_f32_ubyte0_e32 v23, v23
	v_mov_b32_e32 v28, 0
	v_dot4c_i32_i8_e32 v28, 0x1010101, v3
	v_dot4c_i32_i8_e32 v28, 0x1010101, v32
	v_and_b32_e32 v34, 8, v34
	v_and_b32_e32 v33, 8, v33
	v_mov_b32_e32 v26, 0
	v_dot4c_i32_i8_e32 v26, 0x1010101, v7
	v_dot4c_i32_i8_e32 v26, 0x1010101, v0
	v_cvt_f32_f16_e32 v4, v4
	s_waitcnt vmcnt(0)
	v_lshrrev_b32_e32 v22, v17, v29
	v_pk_lshrrev_b16 v29, s3, v30
	v_lshlrev_b32_e32 v30, 1, v22
	v_lshrrev_b32_e32 v42, 2, v22
	v_cvt_f32_ubyte0_e32 v22, v27
	v_pk_fma_f32 v[22:23], v[22:23], s[14:15], v[12:13] op_sel_hi:[1,0,0] neg_lo:[1,0,0] neg_hi:[1,0,0]
	v_pk_fma_f32 v[22:23], v[22:23], v[24:25], 0 op_sel_hi:[1,1,0]
	v_and_b32_e32 v24, 0xf0f0f0f, v35
	v_lshrrev_b32_e32 v25, 4, v35
	v_and_b32_e32 v25, 0xf0f0f0f, v25
	v_dot4c_i32_i8_e32 v39, v24, v5
	v_and_b32_e32 v43, 0xf0000f0, v29
	v_dot4c_i32_i8_e32 v39, v25, v6
	v_and_b32_e32 v5, 0xf0f0f0f, v36
	v_and_b32_e32 v24, 0xf0f0f0f, v37
	v_lshrrev_b32_e32 v25, 4, v37
	v_cvt_f32_i32_e32 v27, v28
	v_cvt_f32_ubyte0_e32 v29, v33
	v_cvt_f32_ubyte0_e32 v28, v34
	v_and_or_b32 v33, v42, 14, 1
	v_or_b32_e32 v34, v43, v31
	v_dot4c_i32_i8_e32 v39, v5, v7
	v_and_b32_e32 v5, 0xf0f0f0f, v25
	v_dot4c_i32_i8_e32 v40, v24, v1
	v_cvt_f32_ubyte0_e32 v31, v33
	v_or_b32_sdwa v33, v34, v43 dst_sel:DWORD dst_unused:UNUSED_PAD src0_sel:DWORD src1_sel:WORD_1
	v_lshrrev_b32_e32 v6, 4, v36
	v_and_b32_e32 v34, 0xf0f0f0f, v38
	v_lshrrev_b32_e32 v35, 4, v38
	v_dot4c_i32_i8_e32 v40, v5, v2
	v_and_b32_e32 v6, 0xf0f0f0f, v6
	v_and_b32_e32 v1, 0xf0f0f0f, v35
	v_dot4c_i32_i8_e32 v40, v34, v3
	v_cvt_f32_i32_e32 v26, v26
	v_dot4c_i32_i8_e32 v39, v6, v0
	v_dot4c_i32_i8_e32 v40, v1, v32
	v_or_b32_e32 v33, v33, v41
	v_pk_fma_f32 v[28:29], v[28:29], s[14:15], v[12:13] op_sel_hi:[1,0,0] neg_lo:[1,0,0] neg_hi:[1,0,0]
	v_cvt_f32_i32_e32 v0, v39
	v_cvt_f32_i32_e32 v1, v40
	v_cvt_f32_f16_e32 v5, v33
	v_and_or_b32 v30, v30, 14, 1
	v_pk_fma_f32 v[2:3], v[28:29], v[26:27], v[22:23]
	v_cvt_f32_ubyte0_e32 v30, v30
	v_pk_add_f32 v[0:1], v[2:3], v[0:1]
	v_pk_mul_f32 v[0:1], v[0:1], v[30:31]
	v_mul_f32_e32 v4, v5, v4
	v_add_f32_e32 v0, v0, v1
	v_fmac_f32_e32 v15, v4, v0
	s_andn2_b64 exec, exec, s[12:13]
	s_cbranch_execnz .LBB274_3
; %bb.4:
	s_or_b64 exec, exec, s[12:13]
.LBB274_5:
	s_or_b64 exec, exec, s[10:11]
	v_mbcnt_lo_u32_b32 v0, -1, 0
	v_mbcnt_hi_u32_b32 v1, -1, v0
	v_and_b32_e32 v0, 64, v1
	v_add_u32_e32 v2, 64, v0
	v_xor_b32_e32 v0, 32, v1
	v_cmp_lt_i32_e32 vcc, v0, v2
	v_cndmask_b32_e32 v0, v1, v0, vcc
	v_lshlrev_b32_e32 v0, 2, v0
	ds_bpermute_b32 v0, v0, v15
	v_xor_b32_e32 v3, 16, v1
	v_cmp_lt_i32_e32 vcc, v3, v2
	v_cndmask_b32_e32 v3, v1, v3, vcc
	v_lshlrev_b32_e32 v3, 2, v3
	s_waitcnt lgkmcnt(0)
	v_add_f32_e32 v0, v15, v0
	ds_bpermute_b32 v3, v3, v0
	v_xor_b32_e32 v4, 8, v1
	v_cmp_lt_i32_e32 vcc, v4, v2
	s_waitcnt lgkmcnt(0)
	v_add_f32_e32 v0, v0, v3
	v_cndmask_b32_e32 v3, v1, v4, vcc
	v_lshlrev_b32_e32 v3, 2, v3
	ds_bpermute_b32 v3, v3, v0
	v_xor_b32_e32 v4, 4, v1
	v_cmp_lt_i32_e32 vcc, v4, v2
	s_waitcnt lgkmcnt(0)
	v_add_f32_e32 v0, v0, v3
	v_cndmask_b32_e32 v3, v1, v4, vcc
	v_lshlrev_b32_e32 v3, 2, v3
	;; [unrolled: 7-line block ×3, first 2 shown]
	ds_bpermute_b32 v3, v3, v0
	v_xor_b32_e32 v4, 1, v1
	v_cmp_lt_i32_e32 vcc, v4, v2
	v_cndmask_b32_e32 v1, v1, v4, vcc
	v_lshlrev_b32_e32 v1, 2, v1
	s_waitcnt lgkmcnt(0)
	v_add_f32_e32 v0, v0, v3
	ds_bpermute_b32 v1, v1, v0
	v_cmp_eq_u32_e32 vcc, 0, v11
	s_and_b64 exec, exec, vcc
	s_cbranch_execz .LBB274_7
; %bb.6:
	s_waitcnt lgkmcnt(0)
	v_add_f32_e32 v0, v0, v1
	s_mul_i32 s0, s8, s2
	v_cvt_f16_f32_e32 v2, v0
	v_add_u32_e32 v0, s0, v9
	v_mov_b32_e32 v1, 0
	v_lshlrev_b64 v[0:1], 1, v[0:1]
	v_mov_b32_e32 v3, s7
	v_add_co_u32_e32 v0, vcc, s6, v0
	v_addc_co_u32_e32 v1, vcc, v3, v1, vcc
	global_store_short v[0:1], v2, off
.LBB274_7:
	s_endpgm
	.section	.rodata,"a",@progbits
	.p2align	6, 0x0
	.amdhsa_kernel _ZL9moe_vec_qIN3c104HalfELi256ELi8E11block_iq1_mLi1EXadL_ZL18vec_dot_iq1_m_q8_1PKvPK10block_q8_1RKiEEEvS4_S4_PT_PS8_iiii
		.amdhsa_group_segment_fixed_size 0
		.amdhsa_private_segment_fixed_size 0
		.amdhsa_kernarg_size 304
		.amdhsa_user_sgpr_count 6
		.amdhsa_user_sgpr_private_segment_buffer 1
		.amdhsa_user_sgpr_dispatch_ptr 0
		.amdhsa_user_sgpr_queue_ptr 0
		.amdhsa_user_sgpr_kernarg_segment_ptr 1
		.amdhsa_user_sgpr_dispatch_id 0
		.amdhsa_user_sgpr_flat_scratch_init 0
		.amdhsa_user_sgpr_kernarg_preload_length 0
		.amdhsa_user_sgpr_kernarg_preload_offset 0
		.amdhsa_user_sgpr_private_segment_size 0
		.amdhsa_uses_dynamic_stack 0
		.amdhsa_system_sgpr_private_segment_wavefront_offset 0
		.amdhsa_system_sgpr_workgroup_id_x 1
		.amdhsa_system_sgpr_workgroup_id_y 0
		.amdhsa_system_sgpr_workgroup_id_z 1
		.amdhsa_system_sgpr_workgroup_info 0
		.amdhsa_system_vgpr_workitem_id 1
		.amdhsa_next_free_vgpr 44
		.amdhsa_next_free_sgpr 22
		.amdhsa_accum_offset 44
		.amdhsa_reserve_vcc 1
		.amdhsa_reserve_flat_scratch 0
		.amdhsa_float_round_mode_32 0
		.amdhsa_float_round_mode_16_64 0
		.amdhsa_float_denorm_mode_32 3
		.amdhsa_float_denorm_mode_16_64 3
		.amdhsa_dx10_clamp 1
		.amdhsa_ieee_mode 1
		.amdhsa_fp16_overflow 0
		.amdhsa_tg_split 0
		.amdhsa_exception_fp_ieee_invalid_op 0
		.amdhsa_exception_fp_denorm_src 0
		.amdhsa_exception_fp_ieee_div_zero 0
		.amdhsa_exception_fp_ieee_overflow 0
		.amdhsa_exception_fp_ieee_underflow 0
		.amdhsa_exception_fp_ieee_inexact 0
		.amdhsa_exception_int_div_zero 0
	.end_amdhsa_kernel
	.section	.text._ZL9moe_vec_qIN3c104HalfELi256ELi8E11block_iq1_mLi1EXadL_ZL18vec_dot_iq1_m_q8_1PKvPK10block_q8_1RKiEEEvS4_S4_PT_PS8_iiii,"axG",@progbits,_ZL9moe_vec_qIN3c104HalfELi256ELi8E11block_iq1_mLi1EXadL_ZL18vec_dot_iq1_m_q8_1PKvPK10block_q8_1RKiEEEvS4_S4_PT_PS8_iiii,comdat
.Lfunc_end274:
	.size	_ZL9moe_vec_qIN3c104HalfELi256ELi8E11block_iq1_mLi1EXadL_ZL18vec_dot_iq1_m_q8_1PKvPK10block_q8_1RKiEEEvS4_S4_PT_PS8_iiii, .Lfunc_end274-_ZL9moe_vec_qIN3c104HalfELi256ELi8E11block_iq1_mLi1EXadL_ZL18vec_dot_iq1_m_q8_1PKvPK10block_q8_1RKiEEEvS4_S4_PT_PS8_iiii
                                        ; -- End function
	.section	.AMDGPU.csdata,"",@progbits
; Kernel info:
; codeLenInByte = 1404
; NumSgprs: 26
; NumVgprs: 44
; NumAgprs: 0
; TotalNumVgprs: 44
; ScratchSize: 0
; MemoryBound: 0
; FloatMode: 240
; IeeeMode: 1
; LDSByteSize: 0 bytes/workgroup (compile time only)
; SGPRBlocks: 3
; VGPRBlocks: 5
; NumSGPRsForWavesPerEU: 26
; NumVGPRsForWavesPerEU: 44
; AccumOffset: 44
; Occupancy: 8
; WaveLimiterHint : 1
; COMPUTE_PGM_RSRC2:SCRATCH_EN: 0
; COMPUTE_PGM_RSRC2:USER_SGPR: 6
; COMPUTE_PGM_RSRC2:TRAP_HANDLER: 0
; COMPUTE_PGM_RSRC2:TGID_X_EN: 1
; COMPUTE_PGM_RSRC2:TGID_Y_EN: 0
; COMPUTE_PGM_RSRC2:TGID_Z_EN: 1
; COMPUTE_PGM_RSRC2:TIDIG_COMP_CNT: 1
; COMPUTE_PGM_RSRC3_GFX90A:ACCUM_OFFSET: 10
; COMPUTE_PGM_RSRC3_GFX90A:TG_SPLIT: 0
	.section	.text._ZL9moe_vec_qIN3c108BFloat16ELi32ELi4E10block_q4_0Li2EXadL_ZL17vec_dot_q4_0_q8_1PKvPK10block_q8_1RKiEEEvS4_S4_PT_PS8_iiii,"axG",@progbits,_ZL9moe_vec_qIN3c108BFloat16ELi32ELi4E10block_q4_0Li2EXadL_ZL17vec_dot_q4_0_q8_1PKvPK10block_q8_1RKiEEEvS4_S4_PT_PS8_iiii,comdat
	.globl	_ZL9moe_vec_qIN3c108BFloat16ELi32ELi4E10block_q4_0Li2EXadL_ZL17vec_dot_q4_0_q8_1PKvPK10block_q8_1RKiEEEvS4_S4_PT_PS8_iiii ; -- Begin function _ZL9moe_vec_qIN3c108BFloat16ELi32ELi4E10block_q4_0Li2EXadL_ZL17vec_dot_q4_0_q8_1PKvPK10block_q8_1RKiEEEvS4_S4_PT_PS8_iiii
	.p2align	8
	.type	_ZL9moe_vec_qIN3c108BFloat16ELi32ELi4E10block_q4_0Li2EXadL_ZL17vec_dot_q4_0_q8_1PKvPK10block_q8_1RKiEEEvS4_S4_PT_PS8_iiii,@function
_ZL9moe_vec_qIN3c108BFloat16ELi32ELi4E10block_q4_0Li2EXadL_ZL17vec_dot_q4_0_q8_1PKvPK10block_q8_1RKiEEEvS4_S4_PT_PS8_iiii: ; @_ZL9moe_vec_qIN3c108BFloat16ELi32ELi4E10block_q4_0Li2EXadL_ZL17vec_dot_q4_0_q8_1PKvPK10block_q8_1RKiEEEvS4_S4_PT_PS8_iiii
; %bb.0:
	s_mov_b32 s8, s7
	s_load_dword s7, s[4:5], 0x3c
	s_load_dwordx4 s[0:3], s[4:5], 0x20
	v_bfe_u32 v1, v0, 10, 10
	s_waitcnt lgkmcnt(0)
	s_lshr_b32 s7, s7, 16
	s_mul_i32 s6, s6, s7
	v_add_u32_e32 v1, s6, v1
	v_cmp_gt_u32_e32 vcc, s2, v1
	s_and_saveexec_b64 s[6:7], vcc
	s_cbranch_execz .LBB275_7
; %bb.1:
	v_cvt_f32_u32_e32 v2, s0
	v_and_b32_e32 v4, 0x3ff, v0
	s_load_dwordx2 s[6:7], s[4:5], 0x10
	s_ashr_i32 s9, s1, 31
	v_rcp_iflag_f32_e32 v2, v2
	s_lshr_b32 s9, s9, 27
	s_add_i32 s1, s1, s9
	v_lshrrev_b32_e32 v5, 1, v4
	v_mul_f32_e32 v0, 0x4f7ffffe, v2
	v_cvt_u32_f32_e32 v0, v0
	s_ashr_i32 s14, s1, 5
	v_cmp_gt_u32_e32 vcc, s14, v5
	v_mov_b32_e32 v6, 0
	v_readfirstlane_b32 s1, v0
	s_and_saveexec_b64 s[10:11], vcc
	s_cbranch_execz .LBB275_5
; %bb.2:
	s_sub_i32 s12, 0, s0
	s_mul_i32 s15, s12, s1
	s_load_dwordx4 s[16:19], s[4:5], 0x0
	s_load_dwordx2 s[12:13], s[4:5], 0x18
	s_mov_b32 s9, 0
	s_mul_hi_u32 s4, s1, s15
	s_add_i32 s1, s1, s4
	s_lshl_b64 s[4:5], s[8:9], 2
	s_waitcnt lgkmcnt(0)
	s_add_u32 s4, s12, s4
	s_mul_hi_u32 s1, s8, s1
	s_addc_u32 s5, s13, s5
	s_load_dword s4, s[4:5], 0x0
	s_mul_i32 s5, s1, s0
	s_sub_i32 s5, s8, s5
	s_add_i32 s12, s1, 1
	s_sub_i32 s13, s5, s0
	s_cmp_ge_u32 s5, s0
	s_cselect_b32 s1, s12, s1
	s_cselect_b32 s5, s13, s5
	s_add_i32 s12, s1, 1
	s_cmp_ge_u32 s5, s0
	s_mul_i32 s0, s14, s2
	s_waitcnt lgkmcnt(0)
	s_mul_i32 s0, s0, s4
	s_cselect_b32 s5, s12, s1
	s_mul_hi_i32 s1, s0, 18
	s_mul_i32 s0, s0, 18
	s_add_u32 s0, s16, s0
	s_mul_i32 s4, s5, s3
	s_mov_b32 s5, s9
	s_addc_u32 s1, s17, s1
	s_lshl_b64 s[4:5], s[4:5], 2
	s_add_u32 s4, s18, s4
	v_lshlrev_b32_e32 v0, 3, v4
	s_addc_u32 s5, s19, s5
	v_mul_lo_u32 v7, v1, s14
	v_and_b32_e32 v0, 8, v0
	v_mov_b32_e32 v6, 0
	s_mov_b64 s[12:13], 0
	v_mov_b32_e32 v3, 4.0
.LBB275_3:                              ; =>This Inner Loop Header: Depth=1
	v_mad_i64_i32 v[8:9], s[16:17], v5, 36, s[4:5]
	v_add_u32_e32 v2, v7, v5
	v_add_co_u32_e32 v12, vcc, v8, v0
	v_mad_i64_i32 v[10:11], s[16:17], v2, 18, s[0:1]
	v_addc_co_u32_e32 v13, vcc, 0, v9, vcc
	v_add_co_u32_e32 v14, vcc, v10, v0
	v_addc_co_u32_e32 v15, vcc, 0, v11, vcc
	global_load_dwordx2 v[16:17], v[12:13], off offset:4
	global_load_dwordx2 v[18:19], v[12:13], off offset:20
	global_load_dword v2, v[14:15], off offset:2
	global_load_dword v20, v[14:15], off offset:6
	global_load_dword v21, v[8:9], off
	global_load_ushort v22, v[10:11], off
	v_mov_b32_e32 v10, 0
	v_add_u32_e32 v5, 32, v5
	v_cmp_le_u32_e32 vcc, s14, v5
	s_or_b64 s[12:13], vcc, s[12:13]
	s_waitcnt vmcnt(3)
	v_and_b32_e32 v11, 0xf0f0f0f, v2
	v_lshrrev_b32_e32 v2, 4, v2
	v_and_b32_e32 v2, 0xf0f0f0f, v2
	v_dot4c_i32_i8_e32 v10, v11, v16
	s_waitcnt vmcnt(2)
	v_and_b32_e32 v12, 0xf0f0f0f, v20
	v_lshrrev_b32_e32 v13, 4, v20
	v_dot4c_i32_i8_e32 v10, v2, v18
	v_and_b32_e32 v11, 0xf0f0f0f, v13
	v_dot4c_i32_i8_e32 v10, v12, v17
	v_dot4c_i32_i8_e32 v10, v11, v19
	s_waitcnt vmcnt(1)
	v_cvt_f32_f16_e32 v8, v21
	v_cvt_f32_f16_sdwa v9, v21 dst_sel:DWORD dst_unused:UNUSED_PAD src0_sel:WORD_1
	v_cvt_f32_i32_e32 v2, v10
	v_pk_mul_f32 v[8:9], v[2:3], v[8:9]
	v_sub_f32_e32 v2, v8, v9
	s_waitcnt vmcnt(0)
	v_fma_mix_f32 v6, v2, v22, v6 op_sel_hi:[0,1,0]
	s_andn2_b64 exec, exec, s[12:13]
	s_cbranch_execnz .LBB275_3
; %bb.4:
	s_or_b64 exec, exec, s[12:13]
.LBB275_5:
	s_or_b64 exec, exec, s[10:11]
	v_mbcnt_lo_u32_b32 v0, -1, 0
	v_mbcnt_hi_u32_b32 v2, -1, v0
	v_and_b32_e32 v0, 64, v2
	v_add_u32_e32 v3, 64, v0
	v_xor_b32_e32 v0, 32, v2
	v_cmp_lt_i32_e32 vcc, v0, v3
	v_cndmask_b32_e32 v0, v2, v0, vcc
	v_lshlrev_b32_e32 v0, 2, v0
	ds_bpermute_b32 v0, v0, v6
	v_xor_b32_e32 v5, 16, v2
	v_cmp_lt_i32_e32 vcc, v5, v3
	v_cndmask_b32_e32 v5, v2, v5, vcc
	v_lshlrev_b32_e32 v5, 2, v5
	s_waitcnt lgkmcnt(0)
	v_add_f32_e32 v0, v6, v0
	ds_bpermute_b32 v5, v5, v0
	v_xor_b32_e32 v6, 8, v2
	v_cmp_lt_i32_e32 vcc, v6, v3
	s_waitcnt lgkmcnt(0)
	v_add_f32_e32 v0, v0, v5
	v_cndmask_b32_e32 v5, v2, v6, vcc
	v_lshlrev_b32_e32 v5, 2, v5
	ds_bpermute_b32 v5, v5, v0
	v_xor_b32_e32 v6, 4, v2
	v_cmp_lt_i32_e32 vcc, v6, v3
	s_waitcnt lgkmcnt(0)
	v_add_f32_e32 v0, v0, v5
	v_cndmask_b32_e32 v5, v2, v6, vcc
	v_lshlrev_b32_e32 v5, 2, v5
	ds_bpermute_b32 v5, v5, v0
	v_xor_b32_e32 v6, 2, v2
	v_cmp_lt_i32_e32 vcc, v6, v3
	s_waitcnt lgkmcnt(0)
	v_add_f32_e32 v0, v0, v5
	v_cndmask_b32_e32 v5, v2, v6, vcc
	v_lshlrev_b32_e32 v5, 2, v5
	ds_bpermute_b32 v5, v5, v0
	v_xor_b32_e32 v6, 1, v2
	v_cmp_lt_i32_e32 vcc, v6, v3
	v_cndmask_b32_e32 v2, v2, v6, vcc
	v_lshlrev_b32_e32 v2, 2, v2
	s_waitcnt lgkmcnt(0)
	v_add_f32_e32 v0, v0, v5
	ds_bpermute_b32 v2, v2, v0
	v_cmp_eq_u32_e32 vcc, 0, v4
	s_and_b64 exec, exec, vcc
	s_cbranch_execz .LBB275_7
; %bb.6:
	s_waitcnt lgkmcnt(0)
	v_add_f32_e32 v0, v0, v2
	v_bfe_u32 v2, v0, 16, 1
	s_movk_i32 s0, 0x7fff
	v_add3_u32 v2, v0, v2, s0
	s_mul_i32 s0, s8, s2
	v_cmp_o_f32_e32 vcc, v0, v0
	v_add_u32_e32 v0, s0, v1
	v_mov_b32_e32 v1, 0
	v_lshrrev_b32_e32 v2, 16, v2
	v_mov_b32_e32 v3, 0x7fc0
	v_lshlrev_b64 v[0:1], 1, v[0:1]
	v_cndmask_b32_e32 v2, v3, v2, vcc
	v_mov_b32_e32 v3, s7
	v_add_co_u32_e32 v0, vcc, s6, v0
	v_addc_co_u32_e32 v1, vcc, v3, v1, vcc
	global_store_short v[0:1], v2, off
.LBB275_7:
	s_endpgm
	.section	.rodata,"a",@progbits
	.p2align	6, 0x0
	.amdhsa_kernel _ZL9moe_vec_qIN3c108BFloat16ELi32ELi4E10block_q4_0Li2EXadL_ZL17vec_dot_q4_0_q8_1PKvPK10block_q8_1RKiEEEvS4_S4_PT_PS8_iiii
		.amdhsa_group_segment_fixed_size 0
		.amdhsa_private_segment_fixed_size 0
		.amdhsa_kernarg_size 304
		.amdhsa_user_sgpr_count 6
		.amdhsa_user_sgpr_private_segment_buffer 1
		.amdhsa_user_sgpr_dispatch_ptr 0
		.amdhsa_user_sgpr_queue_ptr 0
		.amdhsa_user_sgpr_kernarg_segment_ptr 1
		.amdhsa_user_sgpr_dispatch_id 0
		.amdhsa_user_sgpr_flat_scratch_init 0
		.amdhsa_user_sgpr_kernarg_preload_length 0
		.amdhsa_user_sgpr_kernarg_preload_offset 0
		.amdhsa_user_sgpr_private_segment_size 0
		.amdhsa_uses_dynamic_stack 0
		.amdhsa_system_sgpr_private_segment_wavefront_offset 0
		.amdhsa_system_sgpr_workgroup_id_x 1
		.amdhsa_system_sgpr_workgroup_id_y 0
		.amdhsa_system_sgpr_workgroup_id_z 1
		.amdhsa_system_sgpr_workgroup_info 0
		.amdhsa_system_vgpr_workitem_id 1
		.amdhsa_next_free_vgpr 23
		.amdhsa_next_free_sgpr 20
		.amdhsa_accum_offset 24
		.amdhsa_reserve_vcc 1
		.amdhsa_reserve_flat_scratch 0
		.amdhsa_float_round_mode_32 0
		.amdhsa_float_round_mode_16_64 0
		.amdhsa_float_denorm_mode_32 3
		.amdhsa_float_denorm_mode_16_64 3
		.amdhsa_dx10_clamp 1
		.amdhsa_ieee_mode 1
		.amdhsa_fp16_overflow 0
		.amdhsa_tg_split 0
		.amdhsa_exception_fp_ieee_invalid_op 0
		.amdhsa_exception_fp_denorm_src 0
		.amdhsa_exception_fp_ieee_div_zero 0
		.amdhsa_exception_fp_ieee_overflow 0
		.amdhsa_exception_fp_ieee_underflow 0
		.amdhsa_exception_fp_ieee_inexact 0
		.amdhsa_exception_int_div_zero 0
	.end_amdhsa_kernel
	.section	.text._ZL9moe_vec_qIN3c108BFloat16ELi32ELi4E10block_q4_0Li2EXadL_ZL17vec_dot_q4_0_q8_1PKvPK10block_q8_1RKiEEEvS4_S4_PT_PS8_iiii,"axG",@progbits,_ZL9moe_vec_qIN3c108BFloat16ELi32ELi4E10block_q4_0Li2EXadL_ZL17vec_dot_q4_0_q8_1PKvPK10block_q8_1RKiEEEvS4_S4_PT_PS8_iiii,comdat
.Lfunc_end275:
	.size	_ZL9moe_vec_qIN3c108BFloat16ELi32ELi4E10block_q4_0Li2EXadL_ZL17vec_dot_q4_0_q8_1PKvPK10block_q8_1RKiEEEvS4_S4_PT_PS8_iiii, .Lfunc_end275-_ZL9moe_vec_qIN3c108BFloat16ELi32ELi4E10block_q4_0Li2EXadL_ZL17vec_dot_q4_0_q8_1PKvPK10block_q8_1RKiEEEvS4_S4_PT_PS8_iiii
                                        ; -- End function
	.section	.AMDGPU.csdata,"",@progbits
; Kernel info:
; codeLenInByte = 848
; NumSgprs: 24
; NumVgprs: 23
; NumAgprs: 0
; TotalNumVgprs: 23
; ScratchSize: 0
; MemoryBound: 0
; FloatMode: 240
; IeeeMode: 1
; LDSByteSize: 0 bytes/workgroup (compile time only)
; SGPRBlocks: 2
; VGPRBlocks: 2
; NumSGPRsForWavesPerEU: 24
; NumVGPRsForWavesPerEU: 23
; AccumOffset: 24
; Occupancy: 8
; WaveLimiterHint : 1
; COMPUTE_PGM_RSRC2:SCRATCH_EN: 0
; COMPUTE_PGM_RSRC2:USER_SGPR: 6
; COMPUTE_PGM_RSRC2:TRAP_HANDLER: 0
; COMPUTE_PGM_RSRC2:TGID_X_EN: 1
; COMPUTE_PGM_RSRC2:TGID_Y_EN: 0
; COMPUTE_PGM_RSRC2:TGID_Z_EN: 1
; COMPUTE_PGM_RSRC2:TIDIG_COMP_CNT: 1
; COMPUTE_PGM_RSRC3_GFX90A:ACCUM_OFFSET: 5
; COMPUTE_PGM_RSRC3_GFX90A:TG_SPLIT: 0
	.section	.text._ZL9moe_vec_qIN3c108BFloat16ELi32ELi4E10block_q4_1Li2EXadL_ZL17vec_dot_q4_1_q8_1PKvPK10block_q8_1RKiEEEvS4_S4_PT_PS8_iiii,"axG",@progbits,_ZL9moe_vec_qIN3c108BFloat16ELi32ELi4E10block_q4_1Li2EXadL_ZL17vec_dot_q4_1_q8_1PKvPK10block_q8_1RKiEEEvS4_S4_PT_PS8_iiii,comdat
	.globl	_ZL9moe_vec_qIN3c108BFloat16ELi32ELi4E10block_q4_1Li2EXadL_ZL17vec_dot_q4_1_q8_1PKvPK10block_q8_1RKiEEEvS4_S4_PT_PS8_iiii ; -- Begin function _ZL9moe_vec_qIN3c108BFloat16ELi32ELi4E10block_q4_1Li2EXadL_ZL17vec_dot_q4_1_q8_1PKvPK10block_q8_1RKiEEEvS4_S4_PT_PS8_iiii
	.p2align	8
	.type	_ZL9moe_vec_qIN3c108BFloat16ELi32ELi4E10block_q4_1Li2EXadL_ZL17vec_dot_q4_1_q8_1PKvPK10block_q8_1RKiEEEvS4_S4_PT_PS8_iiii,@function
_ZL9moe_vec_qIN3c108BFloat16ELi32ELi4E10block_q4_1Li2EXadL_ZL17vec_dot_q4_1_q8_1PKvPK10block_q8_1RKiEEEvS4_S4_PT_PS8_iiii: ; @_ZL9moe_vec_qIN3c108BFloat16ELi32ELi4E10block_q4_1Li2EXadL_ZL17vec_dot_q4_1_q8_1PKvPK10block_q8_1RKiEEEvS4_S4_PT_PS8_iiii
; %bb.0:
	s_mov_b32 s8, s7
	s_load_dword s7, s[4:5], 0x3c
	s_load_dwordx4 s[0:3], s[4:5], 0x20
	v_bfe_u32 v1, v0, 10, 10
	s_waitcnt lgkmcnt(0)
	s_lshr_b32 s7, s7, 16
	s_mul_i32 s6, s6, s7
	v_add_u32_e32 v1, s6, v1
	v_cmp_gt_u32_e32 vcc, s2, v1
	s_and_saveexec_b64 s[6:7], vcc
	s_cbranch_execz .LBB276_7
; %bb.1:
	v_cvt_f32_u32_e32 v2, s0
	s_load_dwordx2 s[6:7], s[4:5], 0x10
	s_ashr_i32 s9, s1, 31
	s_lshr_b32 s9, s9, 27
	v_rcp_iflag_f32_e32 v4, v2
	v_and_b32_e32 v2, 0x3ff, v0
	s_add_i32 s1, s1, s9
	v_lshrrev_b32_e32 v3, 1, v2
	v_mul_f32_e32 v0, 0x4f7ffffe, v4
	v_cvt_u32_f32_e32 v0, v0
	s_ashr_i32 s14, s1, 5
	v_cmp_gt_u32_e32 vcc, s14, v3
	v_mov_b32_e32 v4, 0
	v_readfirstlane_b32 s1, v0
	s_and_saveexec_b64 s[10:11], vcc
	s_cbranch_execz .LBB276_5
; %bb.2:
	s_sub_i32 s12, 0, s0
	s_mul_i32 s15, s12, s1
	s_load_dwordx4 s[16:19], s[4:5], 0x0
	s_load_dwordx2 s[12:13], s[4:5], 0x18
	s_mov_b32 s9, 0
	s_mul_hi_u32 s4, s1, s15
	s_add_i32 s1, s1, s4
	s_lshl_b64 s[4:5], s[8:9], 2
	s_waitcnt lgkmcnt(0)
	s_add_u32 s4, s12, s4
	s_mul_hi_u32 s1, s8, s1
	s_addc_u32 s5, s13, s5
	s_load_dword s4, s[4:5], 0x0
	s_mul_i32 s5, s1, s0
	s_sub_i32 s5, s8, s5
	s_add_i32 s12, s1, 1
	s_sub_i32 s13, s5, s0
	s_cmp_ge_u32 s5, s0
	s_cselect_b32 s1, s12, s1
	s_cselect_b32 s5, s13, s5
	s_add_i32 s12, s1, 1
	s_cmp_ge_u32 s5, s0
	s_mul_i32 s0, s14, s2
	s_waitcnt lgkmcnt(0)
	s_mul_i32 s0, s0, s4
	s_cselect_b32 s5, s12, s1
	s_mul_hi_i32 s1, s0, 20
	s_mul_i32 s0, s0, 20
	s_add_u32 s0, s16, s0
	s_mul_i32 s4, s5, s3
	s_mov_b32 s5, s9
	s_addc_u32 s1, s17, s1
	s_lshl_b64 s[4:5], s[4:5], 2
	s_add_u32 s4, s18, s4
	v_lshlrev_b32_e32 v0, 3, v2
	s_addc_u32 s5, s19, s5
	v_mul_lo_u32 v5, v1, s14
	v_and_b32_e32 v0, 8, v0
	v_mov_b32_e32 v4, 0
	s_mov_b64 s[12:13], 0
	s_mov_b32 s3, 0.5
.LBB276_3:                              ; =>This Inner Loop Header: Depth=1
	v_mad_i64_i32 v[6:7], s[16:17], v3, 36, s[4:5]
	v_add_u32_e32 v8, v5, v3
	v_add_co_u32_e32 v10, vcc, v6, v0
	v_mad_i64_i32 v[8:9], s[16:17], v8, 20, s[0:1]
	v_addc_co_u32_e32 v11, vcc, 0, v7, vcc
	global_load_dword v18, v[6:7], off
	v_add_co_u32_e32 v6, vcc, v8, v0
	v_addc_co_u32_e32 v7, vcc, 0, v9, vcc
	global_load_dwordx2 v[12:13], v[10:11], off offset:4
	global_load_dwordx2 v[14:15], v[10:11], off offset:20
	;; [unrolled: 1-line block ×3, first 2 shown]
	global_load_dword v19, v[8:9], off
	v_mov_b32_e32 v6, 0
	v_add_u32_e32 v3, 32, v3
	v_cmp_le_u32_e32 vcc, s14, v3
	s_or_b64 s[12:13], vcc, s[12:13]
	s_waitcnt vmcnt(1)
	v_and_b32_e32 v8, 0xf0f0f0f, v16
	v_lshrrev_b32_e32 v9, 4, v16
	v_and_b32_e32 v9, 0xf0f0f0f, v9
	v_dot4c_i32_i8_e32 v6, v8, v12
	v_and_b32_e32 v10, 0xf0f0f0f, v17
	v_lshrrev_b32_e32 v11, 4, v17
	v_dot4c_i32_i8_e32 v6, v9, v14
	v_and_b32_e32 v8, 0xf0f0f0f, v11
	v_dot4c_i32_i8_e32 v6, v10, v13
	s_waitcnt vmcnt(0)
	v_pk_mul_f16 v7, v19, v18
	v_dot4c_i32_i8_e32 v6, v8, v15
	v_cvt_f32_f16_e32 v16, v7
	s_nop 1
	v_cvt_f32_i32_e32 v6, v6
	v_mul_f32_e32 v6, v6, v16
	v_fma_mix_f32 v6, v7, s3, v6 op_sel:[1,0,0] op_sel_hi:[1,0,0]
	v_add_f32_e32 v4, v4, v6
	s_andn2_b64 exec, exec, s[12:13]
	s_cbranch_execnz .LBB276_3
; %bb.4:
	s_or_b64 exec, exec, s[12:13]
.LBB276_5:
	s_or_b64 exec, exec, s[10:11]
	v_mbcnt_lo_u32_b32 v0, -1, 0
	v_mbcnt_hi_u32_b32 v3, -1, v0
	v_and_b32_e32 v0, 64, v3
	v_add_u32_e32 v5, 64, v0
	v_xor_b32_e32 v0, 32, v3
	v_cmp_lt_i32_e32 vcc, v0, v5
	v_cndmask_b32_e32 v0, v3, v0, vcc
	v_lshlrev_b32_e32 v0, 2, v0
	ds_bpermute_b32 v0, v0, v4
	v_xor_b32_e32 v6, 16, v3
	v_cmp_lt_i32_e32 vcc, v6, v5
	s_waitcnt lgkmcnt(0)
	v_add_f32_e32 v0, v4, v0
	v_cndmask_b32_e32 v4, v3, v6, vcc
	v_lshlrev_b32_e32 v4, 2, v4
	ds_bpermute_b32 v4, v4, v0
	v_xor_b32_e32 v6, 8, v3
	v_cmp_lt_i32_e32 vcc, v6, v5
	s_waitcnt lgkmcnt(0)
	v_add_f32_e32 v0, v0, v4
	;; [unrolled: 7-line block ×4, first 2 shown]
	v_cndmask_b32_e32 v4, v3, v6, vcc
	v_lshlrev_b32_e32 v4, 2, v4
	ds_bpermute_b32 v4, v4, v0
	v_xor_b32_e32 v6, 1, v3
	v_cmp_lt_i32_e32 vcc, v6, v5
	v_cndmask_b32_e32 v3, v3, v6, vcc
	v_lshlrev_b32_e32 v3, 2, v3
	s_waitcnt lgkmcnt(0)
	v_add_f32_e32 v0, v0, v4
	ds_bpermute_b32 v3, v3, v0
	v_cmp_eq_u32_e32 vcc, 0, v2
	s_and_b64 exec, exec, vcc
	s_cbranch_execz .LBB276_7
; %bb.6:
	s_waitcnt lgkmcnt(0)
	v_add_f32_e32 v0, v0, v3
	v_bfe_u32 v2, v0, 16, 1
	s_movk_i32 s0, 0x7fff
	v_add3_u32 v2, v0, v2, s0
	s_mul_i32 s0, s8, s2
	v_cmp_o_f32_e32 vcc, v0, v0
	v_add_u32_e32 v0, s0, v1
	v_mov_b32_e32 v1, 0
	v_lshrrev_b32_e32 v2, 16, v2
	v_mov_b32_e32 v3, 0x7fc0
	v_lshlrev_b64 v[0:1], 1, v[0:1]
	v_cndmask_b32_e32 v2, v3, v2, vcc
	v_mov_b32_e32 v3, s7
	v_add_co_u32_e32 v0, vcc, s6, v0
	v_addc_co_u32_e32 v1, vcc, v3, v1, vcc
	global_store_short v[0:1], v2, off
.LBB276_7:
	s_endpgm
	.section	.rodata,"a",@progbits
	.p2align	6, 0x0
	.amdhsa_kernel _ZL9moe_vec_qIN3c108BFloat16ELi32ELi4E10block_q4_1Li2EXadL_ZL17vec_dot_q4_1_q8_1PKvPK10block_q8_1RKiEEEvS4_S4_PT_PS8_iiii
		.amdhsa_group_segment_fixed_size 0
		.amdhsa_private_segment_fixed_size 0
		.amdhsa_kernarg_size 304
		.amdhsa_user_sgpr_count 6
		.amdhsa_user_sgpr_private_segment_buffer 1
		.amdhsa_user_sgpr_dispatch_ptr 0
		.amdhsa_user_sgpr_queue_ptr 0
		.amdhsa_user_sgpr_kernarg_segment_ptr 1
		.amdhsa_user_sgpr_dispatch_id 0
		.amdhsa_user_sgpr_flat_scratch_init 0
		.amdhsa_user_sgpr_kernarg_preload_length 0
		.amdhsa_user_sgpr_kernarg_preload_offset 0
		.amdhsa_user_sgpr_private_segment_size 0
		.amdhsa_uses_dynamic_stack 0
		.amdhsa_system_sgpr_private_segment_wavefront_offset 0
		.amdhsa_system_sgpr_workgroup_id_x 1
		.amdhsa_system_sgpr_workgroup_id_y 0
		.amdhsa_system_sgpr_workgroup_id_z 1
		.amdhsa_system_sgpr_workgroup_info 0
		.amdhsa_system_vgpr_workitem_id 1
		.amdhsa_next_free_vgpr 20
		.amdhsa_next_free_sgpr 20
		.amdhsa_accum_offset 20
		.amdhsa_reserve_vcc 1
		.amdhsa_reserve_flat_scratch 0
		.amdhsa_float_round_mode_32 0
		.amdhsa_float_round_mode_16_64 0
		.amdhsa_float_denorm_mode_32 3
		.amdhsa_float_denorm_mode_16_64 3
		.amdhsa_dx10_clamp 1
		.amdhsa_ieee_mode 1
		.amdhsa_fp16_overflow 0
		.amdhsa_tg_split 0
		.amdhsa_exception_fp_ieee_invalid_op 0
		.amdhsa_exception_fp_denorm_src 0
		.amdhsa_exception_fp_ieee_div_zero 0
		.amdhsa_exception_fp_ieee_overflow 0
		.amdhsa_exception_fp_ieee_underflow 0
		.amdhsa_exception_fp_ieee_inexact 0
		.amdhsa_exception_int_div_zero 0
	.end_amdhsa_kernel
	.section	.text._ZL9moe_vec_qIN3c108BFloat16ELi32ELi4E10block_q4_1Li2EXadL_ZL17vec_dot_q4_1_q8_1PKvPK10block_q8_1RKiEEEvS4_S4_PT_PS8_iiii,"axG",@progbits,_ZL9moe_vec_qIN3c108BFloat16ELi32ELi4E10block_q4_1Li2EXadL_ZL17vec_dot_q4_1_q8_1PKvPK10block_q8_1RKiEEEvS4_S4_PT_PS8_iiii,comdat
.Lfunc_end276:
	.size	_ZL9moe_vec_qIN3c108BFloat16ELi32ELi4E10block_q4_1Li2EXadL_ZL17vec_dot_q4_1_q8_1PKvPK10block_q8_1RKiEEEvS4_S4_PT_PS8_iiii, .Lfunc_end276-_ZL9moe_vec_qIN3c108BFloat16ELi32ELi4E10block_q4_1Li2EXadL_ZL17vec_dot_q4_1_q8_1PKvPK10block_q8_1RKiEEEvS4_S4_PT_PS8_iiii
                                        ; -- End function
	.section	.AMDGPU.csdata,"",@progbits
; Kernel info:
; codeLenInByte = 832
; NumSgprs: 24
; NumVgprs: 20
; NumAgprs: 0
; TotalNumVgprs: 20
; ScratchSize: 0
; MemoryBound: 0
; FloatMode: 240
; IeeeMode: 1
; LDSByteSize: 0 bytes/workgroup (compile time only)
; SGPRBlocks: 2
; VGPRBlocks: 2
; NumSGPRsForWavesPerEU: 24
; NumVGPRsForWavesPerEU: 20
; AccumOffset: 20
; Occupancy: 8
; WaveLimiterHint : 1
; COMPUTE_PGM_RSRC2:SCRATCH_EN: 0
; COMPUTE_PGM_RSRC2:USER_SGPR: 6
; COMPUTE_PGM_RSRC2:TRAP_HANDLER: 0
; COMPUTE_PGM_RSRC2:TGID_X_EN: 1
; COMPUTE_PGM_RSRC2:TGID_Y_EN: 0
; COMPUTE_PGM_RSRC2:TGID_Z_EN: 1
; COMPUTE_PGM_RSRC2:TIDIG_COMP_CNT: 1
; COMPUTE_PGM_RSRC3_GFX90A:ACCUM_OFFSET: 4
; COMPUTE_PGM_RSRC3_GFX90A:TG_SPLIT: 0
	.section	.text._ZL9moe_vec_qIN3c108BFloat16ELi32ELi4E10block_q5_0Li2EXadL_ZL17vec_dot_q5_0_q8_1PKvPK10block_q8_1RKiEEEvS4_S4_PT_PS8_iiii,"axG",@progbits,_ZL9moe_vec_qIN3c108BFloat16ELi32ELi4E10block_q5_0Li2EXadL_ZL17vec_dot_q5_0_q8_1PKvPK10block_q8_1RKiEEEvS4_S4_PT_PS8_iiii,comdat
	.globl	_ZL9moe_vec_qIN3c108BFloat16ELi32ELi4E10block_q5_0Li2EXadL_ZL17vec_dot_q5_0_q8_1PKvPK10block_q8_1RKiEEEvS4_S4_PT_PS8_iiii ; -- Begin function _ZL9moe_vec_qIN3c108BFloat16ELi32ELi4E10block_q5_0Li2EXadL_ZL17vec_dot_q5_0_q8_1PKvPK10block_q8_1RKiEEEvS4_S4_PT_PS8_iiii
	.p2align	8
	.type	_ZL9moe_vec_qIN3c108BFloat16ELi32ELi4E10block_q5_0Li2EXadL_ZL17vec_dot_q5_0_q8_1PKvPK10block_q8_1RKiEEEvS4_S4_PT_PS8_iiii,@function
_ZL9moe_vec_qIN3c108BFloat16ELi32ELi4E10block_q5_0Li2EXadL_ZL17vec_dot_q5_0_q8_1PKvPK10block_q8_1RKiEEEvS4_S4_PT_PS8_iiii: ; @_ZL9moe_vec_qIN3c108BFloat16ELi32ELi4E10block_q5_0Li2EXadL_ZL17vec_dot_q5_0_q8_1PKvPK10block_q8_1RKiEEEvS4_S4_PT_PS8_iiii
; %bb.0:
	s_mov_b32 s8, s7
	s_load_dword s7, s[4:5], 0x3c
	s_load_dwordx4 s[0:3], s[4:5], 0x20
	v_bfe_u32 v1, v0, 10, 10
	s_waitcnt lgkmcnt(0)
	s_lshr_b32 s7, s7, 16
	s_mul_i32 s6, s6, s7
	v_add_u32_e32 v1, s6, v1
	v_cmp_gt_u32_e32 vcc, s2, v1
	s_and_saveexec_b64 s[6:7], vcc
	s_cbranch_execz .LBB277_7
; %bb.1:
	v_cvt_f32_u32_e32 v2, s0
	v_and_b32_e32 v4, 0x3ff, v0
	s_load_dwordx2 s[6:7], s[4:5], 0x10
	s_ashr_i32 s9, s1, 31
	v_rcp_iflag_f32_e32 v2, v2
	s_lshr_b32 s9, s9, 27
	s_add_i32 s1, s1, s9
	v_lshrrev_b32_e32 v5, 1, v4
	v_mul_f32_e32 v0, 0x4f7ffffe, v2
	v_cvt_u32_f32_e32 v0, v0
	s_ashr_i32 s14, s1, 5
	v_cmp_gt_u32_e32 vcc, s14, v5
	v_mov_b32_e32 v6, 0
	v_readfirstlane_b32 s1, v0
	s_and_saveexec_b64 s[10:11], vcc
	s_cbranch_execz .LBB277_5
; %bb.2:
	s_sub_i32 s12, 0, s0
	s_mul_i32 s15, s12, s1
	s_load_dwordx4 s[16:19], s[4:5], 0x0
	s_load_dwordx2 s[12:13], s[4:5], 0x18
	s_mov_b32 s9, 0
	s_mul_hi_u32 s4, s1, s15
	s_add_i32 s1, s1, s4
	s_lshl_b64 s[4:5], s[8:9], 2
	s_waitcnt lgkmcnt(0)
	s_add_u32 s4, s12, s4
	s_mul_hi_u32 s1, s8, s1
	s_addc_u32 s5, s13, s5
	s_load_dword s4, s[4:5], 0x0
	s_mul_i32 s5, s1, s0
	s_sub_i32 s5, s8, s5
	s_add_i32 s12, s1, 1
	s_sub_i32 s13, s5, s0
	s_cmp_ge_u32 s5, s0
	s_cselect_b32 s1, s12, s1
	s_cselect_b32 s5, s13, s5
	s_add_i32 s12, s1, 1
	s_cmp_ge_u32 s5, s0
	s_mul_i32 s0, s14, s2
	s_waitcnt lgkmcnt(0)
	s_mul_i32 s0, s0, s4
	s_cselect_b32 s5, s12, s1
	s_mul_hi_i32 s1, s0, 22
	s_mul_i32 s0, s0, 22
	s_add_u32 s0, s16, s0
	s_mul_i32 s4, s5, s3
	s_mov_b32 s5, s9
	s_addc_u32 s1, s17, s1
	s_lshl_b64 s[4:5], s[4:5], 2
	v_lshlrev_b32_e32 v0, 3, v4
	s_add_u32 s4, s18, s4
	v_and_b32_e32 v0, 8, v0
	s_addc_u32 s5, s19, s5
	v_mul_lo_u32 v7, v1, s14
	v_mov_b32_e32 v6, 0
	v_or_b32_e32 v8, 4, v0
	s_mov_b64 s[12:13], 0
	s_mov_b32 s3, 0x1000706
	v_mov_b32_e32 v3, 0x41000000
.LBB277_3:                              ; =>This Inner Loop Header: Depth=1
	v_add_u32_e32 v2, v7, v5
	v_mad_i64_i32 v[10:11], s[16:17], v5, 36, s[4:5]
	v_mad_i64_i32 v[12:13], s[16:17], v2, 22, s[0:1]
	v_add_co_u32_e32 v14, vcc, v10, v0
	v_addc_co_u32_e32 v15, vcc, 0, v11, vcc
	global_load_dword v9, v[12:13], off
	global_load_ushort v2, v[12:13], off offset:4
	v_add_co_u32_e32 v12, vcc, v12, v0
	v_addc_co_u32_e32 v13, vcc, 0, v13, vcc
	global_load_dwordx2 v[16:17], v[14:15], off offset:4
	global_load_dwordx2 v[18:19], v[14:15], off offset:20
	global_load_dword v20, v[12:13], off offset:6
	global_load_dword v21, v[12:13], off offset:10
	global_load_dword v22, v[10:11], off
	v_mov_b32_e32 v12, 0
	v_add_u32_e32 v5, 32, v5
	v_cmp_le_u32_e32 vcc, s14, v5
	s_or_b64 s[12:13], vcc, s[12:13]
	s_waitcnt vmcnt(5)
	v_perm_b32 v2, v9, v2, s3
	v_ashrrev_i32_e32 v13, v0, v2
	v_lshlrev_b32_e32 v23, 11, v13
	v_ashrrev_i32_e32 v2, v8, v2
	s_waitcnt vmcnt(2)
	v_and_b32_e32 v14, 0xf0f0f0f, v20
	s_waitcnt vmcnt(0)
	v_cvt_f32_f16_e32 v10, v22
	v_cvt_f32_f16_sdwa v11, v22 dst_sel:DWORD dst_unused:UNUSED_PAD src0_sel:WORD_1
	v_lshlrev_b32_e32 v22, 4, v13
	v_lshlrev_b32_e32 v24, 18, v13
	;; [unrolled: 1-line block ×3, first 2 shown]
	v_lshrrev_b32_e32 v26, 12, v13
	v_lshrrev_b32_e32 v27, 5, v13
	v_lshlrev_b32_e32 v28, 2, v13
	v_and_b32_e32 v22, 16, v22
	v_and_b32_e32 v23, 0x1000, v23
	v_lshrrev_b32_e32 v15, 4, v20
	v_lshlrev_b32_e32 v13, 9, v13
	v_lshlrev_b32_e32 v29, 4, v2
	;; [unrolled: 1-line block ×4, first 2 shown]
	v_and_b32_e32 v24, 0x100000, v24
	v_and_b32_e32 v25, 0x10000000, v25
	;; [unrolled: 1-line block ×5, first 2 shown]
	v_or3_b32 v14, v22, v14, v23
	v_and_b32_e32 v15, 0xf0f0f0f, v15
	v_lshlrev_b32_e32 v32, 25, v2
	v_lshrrev_b32_e32 v33, 12, v2
	v_lshrrev_b32_e32 v34, 5, v2
	v_lshlrev_b32_e32 v35, 2, v2
	v_and_b32_e32 v13, 0x10000000, v13
	v_and_b32_e32 v29, 16, v29
	;; [unrolled: 1-line block ×4, first 2 shown]
	v_or3_b32 v22, v27, v26, v28
	v_or3_b32 v14, v14, v24, v25
	v_and_b32_e32 v20, 0xf0f0f0f, v21
	v_lshrrev_b32_e32 v21, 4, v21
	v_lshlrev_b32_e32 v2, 9, v2
	v_and_b32_e32 v32, 0x10000000, v32
	v_and_b32_e32 v33, 16, v33
	;; [unrolled: 1-line block ×4, first 2 shown]
	v_or3_b32 v23, v30, v29, v31
	v_or3_b32 v13, v22, v13, v15
	v_dot4c_i32_i8_e32 v12, v14, v16
	v_and_b32_e32 v21, 0xf0f0f0f, v21
	v_and_b32_e32 v2, 0x10000000, v2
	v_or3_b32 v26, v34, v33, v35
	v_or3_b32 v15, v23, v32, v20
	v_dot4c_i32_i8_e32 v12, v13, v18
	v_or3_b32 v2, v26, v2, v21
	v_dot4c_i32_i8_e32 v12, v15, v17
	v_dot4c_i32_i8_e32 v12, v2, v19
	s_nop 2
	v_cvt_f32_i32_e32 v2, v12
	v_pk_mul_f32 v[10:11], v[2:3], v[10:11]
	v_sub_f32_e32 v2, v10, v11
	v_fma_mix_f32 v6, v2, v9, v6 op_sel_hi:[0,1,0]
	s_andn2_b64 exec, exec, s[12:13]
	s_cbranch_execnz .LBB277_3
; %bb.4:
	s_or_b64 exec, exec, s[12:13]
.LBB277_5:
	s_or_b64 exec, exec, s[10:11]
	v_mbcnt_lo_u32_b32 v0, -1, 0
	v_mbcnt_hi_u32_b32 v2, -1, v0
	v_and_b32_e32 v0, 64, v2
	v_add_u32_e32 v3, 64, v0
	v_xor_b32_e32 v0, 32, v2
	v_cmp_lt_i32_e32 vcc, v0, v3
	v_cndmask_b32_e32 v0, v2, v0, vcc
	v_lshlrev_b32_e32 v0, 2, v0
	ds_bpermute_b32 v0, v0, v6
	v_xor_b32_e32 v5, 16, v2
	v_cmp_lt_i32_e32 vcc, v5, v3
	v_cndmask_b32_e32 v5, v2, v5, vcc
	v_lshlrev_b32_e32 v5, 2, v5
	s_waitcnt lgkmcnt(0)
	v_add_f32_e32 v0, v6, v0
	ds_bpermute_b32 v5, v5, v0
	v_xor_b32_e32 v6, 8, v2
	v_cmp_lt_i32_e32 vcc, v6, v3
	s_waitcnt lgkmcnt(0)
	v_add_f32_e32 v0, v0, v5
	v_cndmask_b32_e32 v5, v2, v6, vcc
	v_lshlrev_b32_e32 v5, 2, v5
	ds_bpermute_b32 v5, v5, v0
	v_xor_b32_e32 v6, 4, v2
	v_cmp_lt_i32_e32 vcc, v6, v3
	s_waitcnt lgkmcnt(0)
	v_add_f32_e32 v0, v0, v5
	v_cndmask_b32_e32 v5, v2, v6, vcc
	v_lshlrev_b32_e32 v5, 2, v5
	;; [unrolled: 7-line block ×3, first 2 shown]
	ds_bpermute_b32 v5, v5, v0
	v_xor_b32_e32 v6, 1, v2
	v_cmp_lt_i32_e32 vcc, v6, v3
	v_cndmask_b32_e32 v2, v2, v6, vcc
	v_lshlrev_b32_e32 v2, 2, v2
	s_waitcnt lgkmcnt(0)
	v_add_f32_e32 v0, v0, v5
	ds_bpermute_b32 v2, v2, v0
	v_cmp_eq_u32_e32 vcc, 0, v4
	s_and_b64 exec, exec, vcc
	s_cbranch_execz .LBB277_7
; %bb.6:
	s_waitcnt lgkmcnt(0)
	v_add_f32_e32 v0, v0, v2
	v_bfe_u32 v2, v0, 16, 1
	s_movk_i32 s0, 0x7fff
	v_add3_u32 v2, v0, v2, s0
	s_mul_i32 s0, s8, s2
	v_cmp_o_f32_e32 vcc, v0, v0
	v_add_u32_e32 v0, s0, v1
	v_mov_b32_e32 v1, 0
	v_lshrrev_b32_e32 v2, 16, v2
	v_mov_b32_e32 v3, 0x7fc0
	v_lshlrev_b64 v[0:1], 1, v[0:1]
	v_cndmask_b32_e32 v2, v3, v2, vcc
	v_mov_b32_e32 v3, s7
	v_add_co_u32_e32 v0, vcc, s6, v0
	v_addc_co_u32_e32 v1, vcc, v3, v1, vcc
	global_store_short v[0:1], v2, off
.LBB277_7:
	s_endpgm
	.section	.rodata,"a",@progbits
	.p2align	6, 0x0
	.amdhsa_kernel _ZL9moe_vec_qIN3c108BFloat16ELi32ELi4E10block_q5_0Li2EXadL_ZL17vec_dot_q5_0_q8_1PKvPK10block_q8_1RKiEEEvS4_S4_PT_PS8_iiii
		.amdhsa_group_segment_fixed_size 0
		.amdhsa_private_segment_fixed_size 0
		.amdhsa_kernarg_size 304
		.amdhsa_user_sgpr_count 6
		.amdhsa_user_sgpr_private_segment_buffer 1
		.amdhsa_user_sgpr_dispatch_ptr 0
		.amdhsa_user_sgpr_queue_ptr 0
		.amdhsa_user_sgpr_kernarg_segment_ptr 1
		.amdhsa_user_sgpr_dispatch_id 0
		.amdhsa_user_sgpr_flat_scratch_init 0
		.amdhsa_user_sgpr_kernarg_preload_length 0
		.amdhsa_user_sgpr_kernarg_preload_offset 0
		.amdhsa_user_sgpr_private_segment_size 0
		.amdhsa_uses_dynamic_stack 0
		.amdhsa_system_sgpr_private_segment_wavefront_offset 0
		.amdhsa_system_sgpr_workgroup_id_x 1
		.amdhsa_system_sgpr_workgroup_id_y 0
		.amdhsa_system_sgpr_workgroup_id_z 1
		.amdhsa_system_sgpr_workgroup_info 0
		.amdhsa_system_vgpr_workitem_id 1
		.amdhsa_next_free_vgpr 36
		.amdhsa_next_free_sgpr 20
		.amdhsa_accum_offset 36
		.amdhsa_reserve_vcc 1
		.amdhsa_reserve_flat_scratch 0
		.amdhsa_float_round_mode_32 0
		.amdhsa_float_round_mode_16_64 0
		.amdhsa_float_denorm_mode_32 3
		.amdhsa_float_denorm_mode_16_64 3
		.amdhsa_dx10_clamp 1
		.amdhsa_ieee_mode 1
		.amdhsa_fp16_overflow 0
		.amdhsa_tg_split 0
		.amdhsa_exception_fp_ieee_invalid_op 0
		.amdhsa_exception_fp_denorm_src 0
		.amdhsa_exception_fp_ieee_div_zero 0
		.amdhsa_exception_fp_ieee_overflow 0
		.amdhsa_exception_fp_ieee_underflow 0
		.amdhsa_exception_fp_ieee_inexact 0
		.amdhsa_exception_int_div_zero 0
	.end_amdhsa_kernel
	.section	.text._ZL9moe_vec_qIN3c108BFloat16ELi32ELi4E10block_q5_0Li2EXadL_ZL17vec_dot_q5_0_q8_1PKvPK10block_q8_1RKiEEEvS4_S4_PT_PS8_iiii,"axG",@progbits,_ZL9moe_vec_qIN3c108BFloat16ELi32ELi4E10block_q5_0Li2EXadL_ZL17vec_dot_q5_0_q8_1PKvPK10block_q8_1RKiEEEvS4_S4_PT_PS8_iiii,comdat
.Lfunc_end277:
	.size	_ZL9moe_vec_qIN3c108BFloat16ELi32ELi4E10block_q5_0Li2EXadL_ZL17vec_dot_q5_0_q8_1PKvPK10block_q8_1RKiEEEvS4_S4_PT_PS8_iiii, .Lfunc_end277-_ZL9moe_vec_qIN3c108BFloat16ELi32ELi4E10block_q5_0Li2EXadL_ZL17vec_dot_q5_0_q8_1PKvPK10block_q8_1RKiEEEvS4_S4_PT_PS8_iiii
                                        ; -- End function
	.section	.AMDGPU.csdata,"",@progbits
; Kernel info:
; codeLenInByte = 1128
; NumSgprs: 24
; NumVgprs: 36
; NumAgprs: 0
; TotalNumVgprs: 36
; ScratchSize: 0
; MemoryBound: 0
; FloatMode: 240
; IeeeMode: 1
; LDSByteSize: 0 bytes/workgroup (compile time only)
; SGPRBlocks: 2
; VGPRBlocks: 4
; NumSGPRsForWavesPerEU: 24
; NumVGPRsForWavesPerEU: 36
; AccumOffset: 36
; Occupancy: 8
; WaveLimiterHint : 1
; COMPUTE_PGM_RSRC2:SCRATCH_EN: 0
; COMPUTE_PGM_RSRC2:USER_SGPR: 6
; COMPUTE_PGM_RSRC2:TRAP_HANDLER: 0
; COMPUTE_PGM_RSRC2:TGID_X_EN: 1
; COMPUTE_PGM_RSRC2:TGID_Y_EN: 0
; COMPUTE_PGM_RSRC2:TGID_Z_EN: 1
; COMPUTE_PGM_RSRC2:TIDIG_COMP_CNT: 1
; COMPUTE_PGM_RSRC3_GFX90A:ACCUM_OFFSET: 8
; COMPUTE_PGM_RSRC3_GFX90A:TG_SPLIT: 0
	.section	.text._ZL9moe_vec_qIN3c108BFloat16ELi32ELi4E10block_q5_1Li2EXadL_ZL17vec_dot_q5_1_q8_1PKvPK10block_q8_1RKiEEEvS4_S4_PT_PS8_iiii,"axG",@progbits,_ZL9moe_vec_qIN3c108BFloat16ELi32ELi4E10block_q5_1Li2EXadL_ZL17vec_dot_q5_1_q8_1PKvPK10block_q8_1RKiEEEvS4_S4_PT_PS8_iiii,comdat
	.globl	_ZL9moe_vec_qIN3c108BFloat16ELi32ELi4E10block_q5_1Li2EXadL_ZL17vec_dot_q5_1_q8_1PKvPK10block_q8_1RKiEEEvS4_S4_PT_PS8_iiii ; -- Begin function _ZL9moe_vec_qIN3c108BFloat16ELi32ELi4E10block_q5_1Li2EXadL_ZL17vec_dot_q5_1_q8_1PKvPK10block_q8_1RKiEEEvS4_S4_PT_PS8_iiii
	.p2align	8
	.type	_ZL9moe_vec_qIN3c108BFloat16ELi32ELi4E10block_q5_1Li2EXadL_ZL17vec_dot_q5_1_q8_1PKvPK10block_q8_1RKiEEEvS4_S4_PT_PS8_iiii,@function
_ZL9moe_vec_qIN3c108BFloat16ELi32ELi4E10block_q5_1Li2EXadL_ZL17vec_dot_q5_1_q8_1PKvPK10block_q8_1RKiEEEvS4_S4_PT_PS8_iiii: ; @_ZL9moe_vec_qIN3c108BFloat16ELi32ELi4E10block_q5_1Li2EXadL_ZL17vec_dot_q5_1_q8_1PKvPK10block_q8_1RKiEEEvS4_S4_PT_PS8_iiii
; %bb.0:
	s_mov_b32 s8, s7
	s_load_dword s7, s[4:5], 0x3c
	s_load_dwordx4 s[0:3], s[4:5], 0x20
	v_bfe_u32 v1, v0, 10, 10
	s_waitcnt lgkmcnt(0)
	s_lshr_b32 s7, s7, 16
	s_mul_i32 s6, s6, s7
	v_add_u32_e32 v1, s6, v1
	v_cmp_gt_u32_e32 vcc, s2, v1
	s_and_saveexec_b64 s[6:7], vcc
	s_cbranch_execz .LBB278_7
; %bb.1:
	v_cvt_f32_u32_e32 v2, s0
	s_load_dwordx2 s[6:7], s[4:5], 0x10
	s_ashr_i32 s9, s1, 31
	s_lshr_b32 s9, s9, 27
	v_rcp_iflag_f32_e32 v4, v2
	v_and_b32_e32 v2, 0x3ff, v0
	s_add_i32 s1, s1, s9
	v_lshrrev_b32_e32 v3, 1, v2
	v_mul_f32_e32 v0, 0x4f7ffffe, v4
	v_cvt_u32_f32_e32 v0, v0
	s_ashr_i32 s14, s1, 5
	v_cmp_gt_u32_e32 vcc, s14, v3
	v_mov_b32_e32 v4, 0
	v_readfirstlane_b32 s1, v0
	s_and_saveexec_b64 s[10:11], vcc
	s_cbranch_execz .LBB278_5
; %bb.2:
	s_sub_i32 s12, 0, s0
	s_mul_i32 s15, s12, s1
	s_load_dwordx4 s[16:19], s[4:5], 0x0
	s_load_dwordx2 s[12:13], s[4:5], 0x18
	s_mov_b32 s9, 0
	s_mul_hi_u32 s4, s1, s15
	s_add_i32 s1, s1, s4
	s_lshl_b64 s[4:5], s[8:9], 2
	s_waitcnt lgkmcnt(0)
	s_add_u32 s4, s12, s4
	s_mul_hi_u32 s1, s8, s1
	s_addc_u32 s5, s13, s5
	s_load_dword s4, s[4:5], 0x0
	s_mul_i32 s5, s1, s0
	s_sub_i32 s5, s8, s5
	s_add_i32 s12, s1, 1
	s_sub_i32 s13, s5, s0
	s_cmp_ge_u32 s5, s0
	s_cselect_b32 s1, s12, s1
	s_cselect_b32 s5, s13, s5
	s_add_i32 s12, s1, 1
	s_cmp_ge_u32 s5, s0
	s_mul_i32 s0, s14, s2
	s_waitcnt lgkmcnt(0)
	s_mul_i32 s0, s0, s4
	s_cselect_b32 s5, s12, s1
	s_mul_hi_i32 s1, s0, 24
	s_mul_i32 s0, s0, 24
	s_add_u32 s0, s16, s0
	s_mul_i32 s4, s5, s3
	s_mov_b32 s5, s9
	s_addc_u32 s1, s17, s1
	s_lshl_b64 s[4:5], s[4:5], 2
	v_lshlrev_b32_e32 v0, 3, v2
	s_add_u32 s4, s18, s4
	v_and_b32_e32 v0, 8, v0
	s_addc_u32 s5, s19, s5
	v_mul_lo_u32 v5, v1, s14
	v_mov_b32_e32 v4, 0
	v_or_b32_e32 v6, 4, v0
	s_mov_b64 s[12:13], 0
	s_mov_b32 s3, 0.5
.LBB278_3:                              ; =>This Inner Loop Header: Depth=1
	v_add_u32_e32 v7, v5, v3
	v_mad_i64_i32 v[8:9], s[16:17], v3, 36, s[4:5]
	v_mad_i64_i32 v[10:11], s[16:17], v7, 24, s[0:1]
	v_add_co_u32_e32 v12, vcc, v8, v0
	v_addc_co_u32_e32 v13, vcc, 0, v9, vcc
	global_load_dwordx2 v[14:15], v[10:11], off
	v_add_co_u32_e32 v10, vcc, v10, v0
	v_addc_co_u32_e32 v11, vcc, 0, v11, vcc
	global_load_dwordx2 v[16:17], v[12:13], off offset:4
	global_load_dwordx2 v[18:19], v[12:13], off offset:20
	;; [unrolled: 1-line block ×3, first 2 shown]
	global_load_dword v7, v[8:9], off
	v_mov_b32_e32 v8, 0
	v_add_u32_e32 v3, 32, v3
	v_cmp_le_u32_e32 vcc, s14, v3
	s_or_b64 s[12:13], vcc, s[12:13]
	s_waitcnt vmcnt(4)
	v_ashrrev_i32_e32 v9, v0, v15
	v_lshlrev_b32_e32 v12, 4, v9
	v_lshlrev_b32_e32 v13, 11, v9
	v_ashrrev_i32_e32 v10, v6, v15
	s_waitcnt vmcnt(1)
	v_and_b32_e32 v11, 0xf0f0f0f, v20
	s_waitcnt vmcnt(0)
	v_pk_mul_f16 v7, v14, v7
	v_lshlrev_b32_e32 v14, 18, v9
	v_lshlrev_b32_e32 v15, 25, v9
	v_lshrrev_b32_e32 v22, 12, v9
	v_lshrrev_b32_e32 v23, 5, v9
	v_lshlrev_b32_e32 v24, 2, v9
	v_and_b32_e32 v12, 16, v12
	v_and_b32_e32 v13, 0x1000, v13
	v_lshrrev_b32_e32 v20, 4, v20
	v_lshlrev_b32_e32 v9, 9, v9
	v_lshlrev_b32_e32 v26, 4, v10
	v_lshlrev_b32_e32 v27, 11, v10
	v_lshlrev_b32_e32 v28, 18, v10
	v_and_b32_e32 v14, 0x100000, v14
	v_and_b32_e32 v15, 0x10000000, v15
	;; [unrolled: 1-line block ×5, first 2 shown]
	v_or3_b32 v11, v12, v11, v13
	v_lshlrev_b32_e32 v29, 25, v10
	v_lshrrev_b32_e32 v30, 12, v10
	v_lshrrev_b32_e32 v31, 5, v10
	v_lshlrev_b32_e32 v32, 2, v10
	v_and_b32_e32 v20, 0xf0f0f0f, v20
	v_and_b32_e32 v9, 0x10000000, v9
	;; [unrolled: 1-line block ×5, first 2 shown]
	v_or3_b32 v12, v23, v22, v24
	v_or3_b32 v11, v11, v14, v15
	v_and_b32_e32 v25, 0xf0f0f0f, v21
	v_lshrrev_b32_e32 v21, 4, v21
	v_lshlrev_b32_e32 v10, 9, v10
	v_and_b32_e32 v29, 0x10000000, v29
	v_and_b32_e32 v30, 16, v30
	;; [unrolled: 1-line block ×4, first 2 shown]
	v_or3_b32 v13, v27, v26, v28
	v_or3_b32 v9, v12, v9, v20
	v_dot4c_i32_i8_e32 v8, v11, v16
	v_and_b32_e32 v21, 0xf0f0f0f, v21
	v_and_b32_e32 v10, 0x10000000, v10
	v_or3_b32 v22, v31, v30, v32
	v_or3_b32 v12, v13, v29, v25
	v_dot4c_i32_i8_e32 v8, v9, v18
	v_or3_b32 v10, v22, v10, v21
	v_dot4c_i32_i8_e32 v8, v12, v17
	v_dot4c_i32_i8_e32 v8, v10, v19
	v_cvt_f32_f16_e32 v33, v7
	s_nop 1
	v_cvt_f32_i32_e32 v8, v8
	v_mul_f32_e32 v8, v33, v8
	v_fma_mix_f32 v7, v7, s3, v8 op_sel:[1,0,0] op_sel_hi:[1,0,0]
	v_add_f32_e32 v4, v4, v7
	s_andn2_b64 exec, exec, s[12:13]
	s_cbranch_execnz .LBB278_3
; %bb.4:
	s_or_b64 exec, exec, s[12:13]
.LBB278_5:
	s_or_b64 exec, exec, s[10:11]
	v_mbcnt_lo_u32_b32 v0, -1, 0
	v_mbcnt_hi_u32_b32 v3, -1, v0
	v_and_b32_e32 v0, 64, v3
	v_add_u32_e32 v5, 64, v0
	v_xor_b32_e32 v0, 32, v3
	v_cmp_lt_i32_e32 vcc, v0, v5
	v_cndmask_b32_e32 v0, v3, v0, vcc
	v_lshlrev_b32_e32 v0, 2, v0
	ds_bpermute_b32 v0, v0, v4
	v_xor_b32_e32 v6, 16, v3
	v_cmp_lt_i32_e32 vcc, v6, v5
	s_waitcnt lgkmcnt(0)
	v_add_f32_e32 v0, v4, v0
	v_cndmask_b32_e32 v4, v3, v6, vcc
	v_lshlrev_b32_e32 v4, 2, v4
	ds_bpermute_b32 v4, v4, v0
	v_xor_b32_e32 v6, 8, v3
	v_cmp_lt_i32_e32 vcc, v6, v5
	s_waitcnt lgkmcnt(0)
	v_add_f32_e32 v0, v0, v4
	;; [unrolled: 7-line block ×4, first 2 shown]
	v_cndmask_b32_e32 v4, v3, v6, vcc
	v_lshlrev_b32_e32 v4, 2, v4
	ds_bpermute_b32 v4, v4, v0
	v_xor_b32_e32 v6, 1, v3
	v_cmp_lt_i32_e32 vcc, v6, v5
	v_cndmask_b32_e32 v3, v3, v6, vcc
	v_lshlrev_b32_e32 v3, 2, v3
	s_waitcnt lgkmcnt(0)
	v_add_f32_e32 v0, v0, v4
	ds_bpermute_b32 v3, v3, v0
	v_cmp_eq_u32_e32 vcc, 0, v2
	s_and_b64 exec, exec, vcc
	s_cbranch_execz .LBB278_7
; %bb.6:
	s_waitcnt lgkmcnt(0)
	v_add_f32_e32 v0, v0, v3
	v_bfe_u32 v2, v0, 16, 1
	s_movk_i32 s0, 0x7fff
	v_add3_u32 v2, v0, v2, s0
	s_mul_i32 s0, s8, s2
	v_cmp_o_f32_e32 vcc, v0, v0
	v_add_u32_e32 v0, s0, v1
	v_mov_b32_e32 v1, 0
	v_lshrrev_b32_e32 v2, 16, v2
	v_mov_b32_e32 v3, 0x7fc0
	v_lshlrev_b64 v[0:1], 1, v[0:1]
	v_cndmask_b32_e32 v2, v3, v2, vcc
	v_mov_b32_e32 v3, s7
	v_add_co_u32_e32 v0, vcc, s6, v0
	v_addc_co_u32_e32 v1, vcc, v3, v1, vcc
	global_store_short v[0:1], v2, off
.LBB278_7:
	s_endpgm
	.section	.rodata,"a",@progbits
	.p2align	6, 0x0
	.amdhsa_kernel _ZL9moe_vec_qIN3c108BFloat16ELi32ELi4E10block_q5_1Li2EXadL_ZL17vec_dot_q5_1_q8_1PKvPK10block_q8_1RKiEEEvS4_S4_PT_PS8_iiii
		.amdhsa_group_segment_fixed_size 0
		.amdhsa_private_segment_fixed_size 0
		.amdhsa_kernarg_size 304
		.amdhsa_user_sgpr_count 6
		.amdhsa_user_sgpr_private_segment_buffer 1
		.amdhsa_user_sgpr_dispatch_ptr 0
		.amdhsa_user_sgpr_queue_ptr 0
		.amdhsa_user_sgpr_kernarg_segment_ptr 1
		.amdhsa_user_sgpr_dispatch_id 0
		.amdhsa_user_sgpr_flat_scratch_init 0
		.amdhsa_user_sgpr_kernarg_preload_length 0
		.amdhsa_user_sgpr_kernarg_preload_offset 0
		.amdhsa_user_sgpr_private_segment_size 0
		.amdhsa_uses_dynamic_stack 0
		.amdhsa_system_sgpr_private_segment_wavefront_offset 0
		.amdhsa_system_sgpr_workgroup_id_x 1
		.amdhsa_system_sgpr_workgroup_id_y 0
		.amdhsa_system_sgpr_workgroup_id_z 1
		.amdhsa_system_sgpr_workgroup_info 0
		.amdhsa_system_vgpr_workitem_id 1
		.amdhsa_next_free_vgpr 34
		.amdhsa_next_free_sgpr 20
		.amdhsa_accum_offset 36
		.amdhsa_reserve_vcc 1
		.amdhsa_reserve_flat_scratch 0
		.amdhsa_float_round_mode_32 0
		.amdhsa_float_round_mode_16_64 0
		.amdhsa_float_denorm_mode_32 3
		.amdhsa_float_denorm_mode_16_64 3
		.amdhsa_dx10_clamp 1
		.amdhsa_ieee_mode 1
		.amdhsa_fp16_overflow 0
		.amdhsa_tg_split 0
		.amdhsa_exception_fp_ieee_invalid_op 0
		.amdhsa_exception_fp_denorm_src 0
		.amdhsa_exception_fp_ieee_div_zero 0
		.amdhsa_exception_fp_ieee_overflow 0
		.amdhsa_exception_fp_ieee_underflow 0
		.amdhsa_exception_fp_ieee_inexact 0
		.amdhsa_exception_int_div_zero 0
	.end_amdhsa_kernel
	.section	.text._ZL9moe_vec_qIN3c108BFloat16ELi32ELi4E10block_q5_1Li2EXadL_ZL17vec_dot_q5_1_q8_1PKvPK10block_q8_1RKiEEEvS4_S4_PT_PS8_iiii,"axG",@progbits,_ZL9moe_vec_qIN3c108BFloat16ELi32ELi4E10block_q5_1Li2EXadL_ZL17vec_dot_q5_1_q8_1PKvPK10block_q8_1RKiEEEvS4_S4_PT_PS8_iiii,comdat
.Lfunc_end278:
	.size	_ZL9moe_vec_qIN3c108BFloat16ELi32ELi4E10block_q5_1Li2EXadL_ZL17vec_dot_q5_1_q8_1PKvPK10block_q8_1RKiEEEvS4_S4_PT_PS8_iiii, .Lfunc_end278-_ZL9moe_vec_qIN3c108BFloat16ELi32ELi4E10block_q5_1Li2EXadL_ZL17vec_dot_q5_1_q8_1PKvPK10block_q8_1RKiEEEvS4_S4_PT_PS8_iiii
                                        ; -- End function
	.section	.AMDGPU.csdata,"",@progbits
; Kernel info:
; codeLenInByte = 1088
; NumSgprs: 24
; NumVgprs: 34
; NumAgprs: 0
; TotalNumVgprs: 34
; ScratchSize: 0
; MemoryBound: 0
; FloatMode: 240
; IeeeMode: 1
; LDSByteSize: 0 bytes/workgroup (compile time only)
; SGPRBlocks: 2
; VGPRBlocks: 4
; NumSGPRsForWavesPerEU: 24
; NumVGPRsForWavesPerEU: 34
; AccumOffset: 36
; Occupancy: 8
; WaveLimiterHint : 1
; COMPUTE_PGM_RSRC2:SCRATCH_EN: 0
; COMPUTE_PGM_RSRC2:USER_SGPR: 6
; COMPUTE_PGM_RSRC2:TRAP_HANDLER: 0
; COMPUTE_PGM_RSRC2:TGID_X_EN: 1
; COMPUTE_PGM_RSRC2:TGID_Y_EN: 0
; COMPUTE_PGM_RSRC2:TGID_Z_EN: 1
; COMPUTE_PGM_RSRC2:TIDIG_COMP_CNT: 1
; COMPUTE_PGM_RSRC3_GFX90A:ACCUM_OFFSET: 8
; COMPUTE_PGM_RSRC3_GFX90A:TG_SPLIT: 0
	.section	.text._ZL9moe_vec_qIN3c108BFloat16ELi32ELi8E10block_q8_0Li2EXadL_ZL17vec_dot_q8_0_q8_1PKvPK10block_q8_1RKiEEEvS4_S4_PT_PS8_iiii,"axG",@progbits,_ZL9moe_vec_qIN3c108BFloat16ELi32ELi8E10block_q8_0Li2EXadL_ZL17vec_dot_q8_0_q8_1PKvPK10block_q8_1RKiEEEvS4_S4_PT_PS8_iiii,comdat
	.globl	_ZL9moe_vec_qIN3c108BFloat16ELi32ELi8E10block_q8_0Li2EXadL_ZL17vec_dot_q8_0_q8_1PKvPK10block_q8_1RKiEEEvS4_S4_PT_PS8_iiii ; -- Begin function _ZL9moe_vec_qIN3c108BFloat16ELi32ELi8E10block_q8_0Li2EXadL_ZL17vec_dot_q8_0_q8_1PKvPK10block_q8_1RKiEEEvS4_S4_PT_PS8_iiii
	.p2align	8
	.type	_ZL9moe_vec_qIN3c108BFloat16ELi32ELi8E10block_q8_0Li2EXadL_ZL17vec_dot_q8_0_q8_1PKvPK10block_q8_1RKiEEEvS4_S4_PT_PS8_iiii,@function
_ZL9moe_vec_qIN3c108BFloat16ELi32ELi8E10block_q8_0Li2EXadL_ZL17vec_dot_q8_0_q8_1PKvPK10block_q8_1RKiEEEvS4_S4_PT_PS8_iiii: ; @_ZL9moe_vec_qIN3c108BFloat16ELi32ELi8E10block_q8_0Li2EXadL_ZL17vec_dot_q8_0_q8_1PKvPK10block_q8_1RKiEEEvS4_S4_PT_PS8_iiii
; %bb.0:
	s_mov_b32 s8, s7
	s_load_dword s7, s[4:5], 0x3c
	s_load_dwordx4 s[0:3], s[4:5], 0x20
	v_bfe_u32 v1, v0, 10, 10
	s_waitcnt lgkmcnt(0)
	s_lshr_b32 s7, s7, 16
	s_mul_i32 s6, s6, s7
	v_add_u32_e32 v1, s6, v1
	v_cmp_gt_u32_e32 vcc, s2, v1
	s_and_saveexec_b64 s[6:7], vcc
	s_cbranch_execz .LBB279_7
; %bb.1:
	v_cvt_f32_u32_e32 v2, s0
	s_load_dwordx2 s[6:7], s[4:5], 0x10
	s_ashr_i32 s9, s1, 31
	s_lshr_b32 s9, s9, 27
	v_rcp_iflag_f32_e32 v4, v2
	v_and_b32_e32 v2, 0x3ff, v0
	s_add_i32 s1, s1, s9
	v_lshrrev_b32_e32 v3, 2, v2
	v_mul_f32_e32 v0, 0x4f7ffffe, v4
	v_cvt_u32_f32_e32 v0, v0
	s_ashr_i32 s14, s1, 5
	v_cmp_gt_u32_e32 vcc, s14, v3
	v_mov_b32_e32 v4, 0
	v_readfirstlane_b32 s1, v0
	s_and_saveexec_b64 s[10:11], vcc
	s_cbranch_execz .LBB279_5
; %bb.2:
	s_sub_i32 s12, 0, s0
	s_mul_i32 s15, s12, s1
	s_load_dwordx4 s[16:19], s[4:5], 0x0
	s_load_dwordx2 s[12:13], s[4:5], 0x18
	s_mov_b32 s9, 0
	s_mul_hi_u32 s4, s1, s15
	s_add_i32 s1, s1, s4
	s_lshl_b64 s[4:5], s[8:9], 2
	s_waitcnt lgkmcnt(0)
	s_add_u32 s4, s12, s4
	s_mul_hi_u32 s1, s8, s1
	s_addc_u32 s5, s13, s5
	s_load_dword s4, s[4:5], 0x0
	s_mul_i32 s5, s1, s0
	s_sub_i32 s5, s8, s5
	s_add_i32 s12, s1, 1
	s_sub_i32 s13, s5, s0
	s_cmp_ge_u32 s5, s0
	s_cselect_b32 s1, s12, s1
	s_cselect_b32 s5, s13, s5
	s_add_i32 s12, s1, 1
	s_cmp_ge_u32 s5, s0
	s_mul_i32 s0, s14, s2
	s_waitcnt lgkmcnt(0)
	s_mul_i32 s0, s0, s4
	s_cselect_b32 s5, s12, s1
	s_mul_hi_i32 s1, s0, 34
	s_mul_i32 s0, s0, 34
	s_add_u32 s0, s16, s0
	s_mul_i32 s4, s5, s3
	s_mov_b32 s5, s9
	s_addc_u32 s1, s17, s1
	s_lshl_b64 s[4:5], s[4:5], 2
	s_add_u32 s4, s18, s4
	v_lshlrev_b32_e32 v0, 3, v2
	s_addc_u32 s5, s19, s5
	v_mul_lo_u32 v5, v1, s14
	v_and_b32_e32 v0, 24, v0
	v_mov_b32_e32 v4, 0
	s_mov_b64 s[12:13], 0
.LBB279_3:                              ; =>This Inner Loop Header: Depth=1
	v_mad_i64_i32 v[6:7], s[16:17], v3, 36, s[4:5]
	v_add_u32_e32 v8, v5, v3
	v_add_co_u32_e32 v10, vcc, v6, v0
	v_mad_i64_i32 v[8:9], s[16:17], v8, 34, s[0:1]
	v_addc_co_u32_e32 v11, vcc, 0, v7, vcc
	global_load_dword v16, v[6:7], off
	v_add_co_u32_e32 v6, vcc, v8, v0
	v_addc_co_u32_e32 v7, vcc, 0, v9, vcc
	global_load_dwordx2 v[12:13], v[10:11], off offset:4
	global_load_dwordx2 v[14:15], v[6:7], off offset:2
	global_load_ushort v17, v[8:9], off
	v_mov_b32_e32 v6, 0
	v_add_u32_e32 v3, 16, v3
	v_cmp_le_u32_e32 vcc, s14, v3
	s_or_b64 s[12:13], vcc, s[12:13]
	s_waitcnt vmcnt(3)
	v_cvt_f32_f16_e32 v7, v16
	s_waitcnt vmcnt(1)
	v_dot4c_i32_i8_e32 v6, v14, v12
	s_waitcnt vmcnt(0)
	v_cvt_f32_f16_e32 v8, v17
	v_dot4c_i32_i8_e32 v6, v15, v13
	v_mul_f32_e32 v7, v8, v7
	s_nop 1
	v_cvt_f32_i32_e32 v6, v6
	v_fmac_f32_e32 v4, v7, v6
	s_andn2_b64 exec, exec, s[12:13]
	s_cbranch_execnz .LBB279_3
; %bb.4:
	s_or_b64 exec, exec, s[12:13]
.LBB279_5:
	s_or_b64 exec, exec, s[10:11]
	v_mbcnt_lo_u32_b32 v0, -1, 0
	v_mbcnt_hi_u32_b32 v3, -1, v0
	v_and_b32_e32 v0, 64, v3
	v_add_u32_e32 v5, 64, v0
	v_xor_b32_e32 v0, 32, v3
	v_cmp_lt_i32_e32 vcc, v0, v5
	v_cndmask_b32_e32 v0, v3, v0, vcc
	v_lshlrev_b32_e32 v0, 2, v0
	ds_bpermute_b32 v0, v0, v4
	v_xor_b32_e32 v6, 16, v3
	v_cmp_lt_i32_e32 vcc, v6, v5
	s_waitcnt lgkmcnt(0)
	v_add_f32_e32 v0, v4, v0
	v_cndmask_b32_e32 v4, v3, v6, vcc
	v_lshlrev_b32_e32 v4, 2, v4
	ds_bpermute_b32 v4, v4, v0
	v_xor_b32_e32 v6, 8, v3
	v_cmp_lt_i32_e32 vcc, v6, v5
	s_waitcnt lgkmcnt(0)
	v_add_f32_e32 v0, v0, v4
	;; [unrolled: 7-line block ×4, first 2 shown]
	v_cndmask_b32_e32 v4, v3, v6, vcc
	v_lshlrev_b32_e32 v4, 2, v4
	ds_bpermute_b32 v4, v4, v0
	v_xor_b32_e32 v6, 1, v3
	v_cmp_lt_i32_e32 vcc, v6, v5
	v_cndmask_b32_e32 v3, v3, v6, vcc
	v_lshlrev_b32_e32 v3, 2, v3
	s_waitcnt lgkmcnt(0)
	v_add_f32_e32 v0, v0, v4
	ds_bpermute_b32 v3, v3, v0
	v_cmp_eq_u32_e32 vcc, 0, v2
	s_and_b64 exec, exec, vcc
	s_cbranch_execz .LBB279_7
; %bb.6:
	s_waitcnt lgkmcnt(0)
	v_add_f32_e32 v0, v0, v3
	v_bfe_u32 v2, v0, 16, 1
	s_movk_i32 s0, 0x7fff
	v_add3_u32 v2, v0, v2, s0
	s_mul_i32 s0, s8, s2
	v_cmp_o_f32_e32 vcc, v0, v0
	v_add_u32_e32 v0, s0, v1
	v_mov_b32_e32 v1, 0
	v_lshrrev_b32_e32 v2, 16, v2
	v_mov_b32_e32 v3, 0x7fc0
	v_lshlrev_b64 v[0:1], 1, v[0:1]
	v_cndmask_b32_e32 v2, v3, v2, vcc
	v_mov_b32_e32 v3, s7
	v_add_co_u32_e32 v0, vcc, s6, v0
	v_addc_co_u32_e32 v1, vcc, v3, v1, vcc
	global_store_short v[0:1], v2, off
.LBB279_7:
	s_endpgm
	.section	.rodata,"a",@progbits
	.p2align	6, 0x0
	.amdhsa_kernel _ZL9moe_vec_qIN3c108BFloat16ELi32ELi8E10block_q8_0Li2EXadL_ZL17vec_dot_q8_0_q8_1PKvPK10block_q8_1RKiEEEvS4_S4_PT_PS8_iiii
		.amdhsa_group_segment_fixed_size 0
		.amdhsa_private_segment_fixed_size 0
		.amdhsa_kernarg_size 304
		.amdhsa_user_sgpr_count 6
		.amdhsa_user_sgpr_private_segment_buffer 1
		.amdhsa_user_sgpr_dispatch_ptr 0
		.amdhsa_user_sgpr_queue_ptr 0
		.amdhsa_user_sgpr_kernarg_segment_ptr 1
		.amdhsa_user_sgpr_dispatch_id 0
		.amdhsa_user_sgpr_flat_scratch_init 0
		.amdhsa_user_sgpr_kernarg_preload_length 0
		.amdhsa_user_sgpr_kernarg_preload_offset 0
		.amdhsa_user_sgpr_private_segment_size 0
		.amdhsa_uses_dynamic_stack 0
		.amdhsa_system_sgpr_private_segment_wavefront_offset 0
		.amdhsa_system_sgpr_workgroup_id_x 1
		.amdhsa_system_sgpr_workgroup_id_y 0
		.amdhsa_system_sgpr_workgroup_id_z 1
		.amdhsa_system_sgpr_workgroup_info 0
		.amdhsa_system_vgpr_workitem_id 1
		.amdhsa_next_free_vgpr 18
		.amdhsa_next_free_sgpr 20
		.amdhsa_accum_offset 20
		.amdhsa_reserve_vcc 1
		.amdhsa_reserve_flat_scratch 0
		.amdhsa_float_round_mode_32 0
		.amdhsa_float_round_mode_16_64 0
		.amdhsa_float_denorm_mode_32 3
		.amdhsa_float_denorm_mode_16_64 3
		.amdhsa_dx10_clamp 1
		.amdhsa_ieee_mode 1
		.amdhsa_fp16_overflow 0
		.amdhsa_tg_split 0
		.amdhsa_exception_fp_ieee_invalid_op 0
		.amdhsa_exception_fp_denorm_src 0
		.amdhsa_exception_fp_ieee_div_zero 0
		.amdhsa_exception_fp_ieee_overflow 0
		.amdhsa_exception_fp_ieee_underflow 0
		.amdhsa_exception_fp_ieee_inexact 0
		.amdhsa_exception_int_div_zero 0
	.end_amdhsa_kernel
	.section	.text._ZL9moe_vec_qIN3c108BFloat16ELi32ELi8E10block_q8_0Li2EXadL_ZL17vec_dot_q8_0_q8_1PKvPK10block_q8_1RKiEEEvS4_S4_PT_PS8_iiii,"axG",@progbits,_ZL9moe_vec_qIN3c108BFloat16ELi32ELi8E10block_q8_0Li2EXadL_ZL17vec_dot_q8_0_q8_1PKvPK10block_q8_1RKiEEEvS4_S4_PT_PS8_iiii,comdat
.Lfunc_end279:
	.size	_ZL9moe_vec_qIN3c108BFloat16ELi32ELi8E10block_q8_0Li2EXadL_ZL17vec_dot_q8_0_q8_1PKvPK10block_q8_1RKiEEEvS4_S4_PT_PS8_iiii, .Lfunc_end279-_ZL9moe_vec_qIN3c108BFloat16ELi32ELi8E10block_q8_0Li2EXadL_ZL17vec_dot_q8_0_q8_1PKvPK10block_q8_1RKiEEEvS4_S4_PT_PS8_iiii
                                        ; -- End function
	.section	.AMDGPU.csdata,"",@progbits
; Kernel info:
; codeLenInByte = 764
; NumSgprs: 24
; NumVgprs: 18
; NumAgprs: 0
; TotalNumVgprs: 18
; ScratchSize: 0
; MemoryBound: 0
; FloatMode: 240
; IeeeMode: 1
; LDSByteSize: 0 bytes/workgroup (compile time only)
; SGPRBlocks: 2
; VGPRBlocks: 2
; NumSGPRsForWavesPerEU: 24
; NumVGPRsForWavesPerEU: 18
; AccumOffset: 20
; Occupancy: 8
; WaveLimiterHint : 1
; COMPUTE_PGM_RSRC2:SCRATCH_EN: 0
; COMPUTE_PGM_RSRC2:USER_SGPR: 6
; COMPUTE_PGM_RSRC2:TRAP_HANDLER: 0
; COMPUTE_PGM_RSRC2:TGID_X_EN: 1
; COMPUTE_PGM_RSRC2:TGID_Y_EN: 0
; COMPUTE_PGM_RSRC2:TGID_Z_EN: 1
; COMPUTE_PGM_RSRC2:TIDIG_COMP_CNT: 1
; COMPUTE_PGM_RSRC3_GFX90A:ACCUM_OFFSET: 4
; COMPUTE_PGM_RSRC3_GFX90A:TG_SPLIT: 0
	.section	.text._ZL9moe_vec_qIN3c108BFloat16ELi256ELi16E10block_q2_KLi1EXadL_ZL17vec_dot_q2_K_q8_1PKvPK10block_q8_1RKiEEEvS4_S4_PT_PS8_iiii,"axG",@progbits,_ZL9moe_vec_qIN3c108BFloat16ELi256ELi16E10block_q2_KLi1EXadL_ZL17vec_dot_q2_K_q8_1PKvPK10block_q8_1RKiEEEvS4_S4_PT_PS8_iiii,comdat
	.globl	_ZL9moe_vec_qIN3c108BFloat16ELi256ELi16E10block_q2_KLi1EXadL_ZL17vec_dot_q2_K_q8_1PKvPK10block_q8_1RKiEEEvS4_S4_PT_PS8_iiii ; -- Begin function _ZL9moe_vec_qIN3c108BFloat16ELi256ELi16E10block_q2_KLi1EXadL_ZL17vec_dot_q2_K_q8_1PKvPK10block_q8_1RKiEEEvS4_S4_PT_PS8_iiii
	.p2align	8
	.type	_ZL9moe_vec_qIN3c108BFloat16ELi256ELi16E10block_q2_KLi1EXadL_ZL17vec_dot_q2_K_q8_1PKvPK10block_q8_1RKiEEEvS4_S4_PT_PS8_iiii,@function
_ZL9moe_vec_qIN3c108BFloat16ELi256ELi16E10block_q2_KLi1EXadL_ZL17vec_dot_q2_K_q8_1PKvPK10block_q8_1RKiEEEvS4_S4_PT_PS8_iiii: ; @_ZL9moe_vec_qIN3c108BFloat16ELi256ELi16E10block_q2_KLi1EXadL_ZL17vec_dot_q2_K_q8_1PKvPK10block_q8_1RKiEEEvS4_S4_PT_PS8_iiii
; %bb.0:
	s_mov_b32 s8, s7
	s_load_dword s7, s[4:5], 0x3c
	s_load_dwordx4 s[0:3], s[4:5], 0x20
	v_bfe_u32 v1, v0, 10, 10
	s_waitcnt lgkmcnt(0)
	s_lshr_b32 s7, s7, 16
	s_mul_i32 s6, s6, s7
	v_add_u32_e32 v10, s6, v1
	v_cmp_gt_u32_e32 vcc, s2, v10
	s_and_saveexec_b64 s[6:7], vcc
	s_cbranch_execz .LBB280_7
; %bb.1:
	v_cvt_f32_u32_e32 v1, s0
	v_and_b32_e32 v11, 0x3ff, v0
	s_load_dwordx2 s[6:7], s[4:5], 0x10
	s_ashr_i32 s9, s1, 31
	v_rcp_iflag_f32_e32 v1, v1
	s_lshr_b32 s9, s9, 24
	s_add_i32 s1, s1, s9
	v_lshrrev_b32_e32 v12, 4, v11
	v_mul_f32_e32 v0, 0x4f7ffffe, v1
	v_cvt_u32_f32_e32 v0, v0
	s_ashr_i32 s12, s1, 8
	v_cmp_gt_u32_e32 vcc, s12, v12
	v_mov_b32_e32 v1, 0
	v_readfirstlane_b32 s1, v0
	s_and_saveexec_b64 s[10:11], vcc
	s_cbranch_execz .LBB280_5
; %bb.2:
	s_load_dwordx4 s[16:19], s[4:5], 0x0
	s_load_dwordx2 s[14:15], s[4:5], 0x18
	s_sub_i32 s13, 0, s0
	s_mul_i32 s13, s13, s1
	s_mov_b32 s9, 0
	s_mul_hi_u32 s4, s1, s13
	s_add_i32 s1, s1, s4
	s_lshl_b64 s[4:5], s[8:9], 2
	s_waitcnt lgkmcnt(0)
	s_add_u32 s4, s14, s4
	s_mul_hi_u32 s1, s8, s1
	s_addc_u32 s5, s15, s5
	s_load_dword s4, s[4:5], 0x0
	s_mul_i32 s5, s1, s0
	s_sub_i32 s5, s8, s5
	s_add_i32 s13, s1, 1
	s_sub_i32 s14, s5, s0
	s_cmp_ge_u32 s5, s0
	s_cselect_b32 s1, s13, s1
	s_cselect_b32 s5, s14, s5
	s_add_i32 s13, s1, 1
	s_cmp_ge_u32 s5, s0
	s_cselect_b32 s0, s13, s1
	s_mul_i32 s1, s12, s2
	s_waitcnt lgkmcnt(0)
	s_mul_i32 s1, s1, s4
	v_and_b32_e32 v3, 15, v11
	s_mul_hi_i32 s5, s1, 0x54
	s_mulk_i32 s1, 0x54
	v_cmp_lt_u32_e32 vcc, 7, v3
	s_add_u32 s14, s16, s1
	s_mul_i32 s0, s0, s3
	s_mov_b32 s1, s9
	v_cndmask_b32_e64 v0, 0, 1, vcc
	s_addc_u32 s15, s17, s5
	s_lshl_b64 s[0:1], s[0:1], 2
	v_lshlrev_b32_e32 v6, 2, v0
	v_add_u32_e32 v0, -8, v3
	v_cmp_gt_u32_e32 vcc, 8, v3
	s_add_u32 s0, s18, s0
	v_cndmask_b32_e32 v0, v0, v3, vcc
	s_addc_u32 s1, s19, s1
	v_lshlrev_b32_e32 v2, 2, v3
	v_mov_b32_e32 v1, 0
	v_sub_u32_e32 v3, v3, v0
	v_cmp_lt_u32_e32 vcc, 3, v0
	v_lshlrev_b64 v[4:5], 2, v[0:1]
	v_addc_co_u32_e32 v0, vcc, 0, v3, vcc
	v_mad_u64_u32 v[6:7], s[0:1], v6, 36, s[0:1]
	s_movk_i32 s4, 0x54
	v_mul_lo_u32 v13, v10, s12
	v_ashrrev_i32_e32 v3, 31, v0
	v_lshlrev_b32_e32 v14, 3, v12
	s_mov_b64 s[0:1], 0
	v_pk_mov_b32 v[8:9], s[14:15], s[14:15] op_sel:[0,1]
	s_movk_i32 s3, 0x48
	s_movk_i32 s5, 0x6c
	s_mov_b32 s9, 0x1010101
.LBB280_3:                              ; =>This Inner Loop Header: Depth=1
	v_mad_i64_i32 v[16:17], s[14:15], v14, 36, v[6:7]
	v_add_co_u32_e32 v20, vcc, v16, v4
	v_add_u32_e32 v15, v13, v12
	v_addc_co_u32_e32 v21, vcc, v17, v5, vcc
	v_mad_i64_i32 v[18:19], s[14:15], v15, s4, v[8:9]
	v_add_co_u32_e32 v15, vcc, 36, v16
	v_addc_co_u32_e32 v25, vcc, 0, v17, vcc
	v_add_co_u32_e32 v26, vcc, s3, v16
	v_addc_co_u32_e32 v27, vcc, 0, v17, vcc
	v_add_co_u32_e32 v28, vcc, s5, v16
	v_addc_co_u32_e32 v29, vcc, 0, v17, vcc
	v_add_co_u32_e32 v22, vcc, v18, v2
	v_addc_co_u32_e32 v23, vcc, 0, v19, vcc
	v_add_co_u32_e32 v24, vcc, v15, v4
	v_addc_co_u32_e32 v25, vcc, v25, v5, vcc
	v_add_co_u32_e32 v26, vcc, v26, v4
	v_addc_co_u32_e32 v27, vcc, v27, v5, vcc
	v_add_co_u32_e32 v28, vcc, v28, v4
	global_load_dword v32, v[16:17], off
	global_load_dword v33, v[16:17], off offset:36
	global_load_dword v34, v[16:17], off offset:72
	v_addc_co_u32_e32 v29, vcc, v29, v5, vcc
	v_add_co_u32_e32 v30, vcc, v18, v0
	v_addc_co_u32_e32 v31, vcc, v19, v3, vcc
	global_load_dword v15, v[20:21], off offset:4
	global_load_dword v35, v[24:25], off offset:4
	;; [unrolled: 1-line block ×6, first 2 shown]
	global_load_ubyte v40, v[30:31], off
	global_load_ubyte v41, v[30:31], off offset:2
	global_load_ubyte v42, v[30:31], off offset:4
	;; [unrolled: 1-line block ×3, first 2 shown]
	global_load_dword v44, v[18:19], off offset:80
	v_mov_b32_e32 v17, 0
	v_mov_b32_e32 v19, 0
	;; [unrolled: 1-line block ×8, first 2 shown]
	v_add_u32_e32 v12, 4, v12
	v_cmp_le_u32_e32 vcc, s12, v12
	v_add_u32_e32 v14, 32, v14
	s_or_b64 s[0:1], vcc, s[0:1]
	s_waitcnt vmcnt(13)
	v_cvt_f32_f16_e32 v16, v32
	s_waitcnt vmcnt(12)
	v_cvt_f32_f16_e32 v18, v33
	;; [unrolled: 2-line block ×4, first 2 shown]
	s_waitcnt vmcnt(5)
	v_and_b32_e32 v29, 0x3030303, v39
	s_waitcnt vmcnt(4)
	v_and_b32_e32 v31, 15, v40
	v_lshrrev_b32_e32 v32, 4, v40
	v_lshrrev_b32_e32 v33, 2, v39
	s_waitcnt vmcnt(3)
	v_lshrrev_b32_e32 v38, 4, v41
	v_lshrrev_b32_e32 v40, 4, v39
	;; [unrolled: 1-line block ×3, first 2 shown]
	v_and_b32_e32 v34, 15, v41
	s_waitcnt vmcnt(2)
	v_and_b32_e32 v41, 15, v42
	v_lshrrev_b32_e32 v42, 4, v42
	v_dot4c_i32_i8_e32 v17, v29, v15
	v_mul_lo_u32 v29, v32, s9
	v_and_b32_e32 v32, 0x3030303, v33
	v_mul_lo_u32 v33, v38, s9
	v_and_b32_e32 v38, 0x3030303, v40
	v_and_b32_e32 v39, 0x3030303, v39
	s_waitcnt vmcnt(1)
	v_and_b32_e32 v45, 15, v43
	v_lshrrev_b32_e32 v43, 4, v43
	v_mul_lo_u32 v40, v42, s9
	v_mul_lo_u32 v17, v31, v17
	v_dot4c_i32_i8_e32 v19, v29, v15
	v_dot4c_i32_i8_e32 v21, v32, v35
	;; [unrolled: 1-line block ×4, first 2 shown]
	v_mul_lo_u32 v42, v43, s9
	v_dot4c_i32_i8_e32 v23, v33, v35
	v_dot4c_i32_i8_e32 v28, v40, v36
	v_mul_lo_u32 v15, v34, v21
	v_mul_lo_u32 v21, v41, v26
	;; [unrolled: 1-line block ×3, first 2 shown]
	v_cvt_f32_i32_e32 v27, v19
	v_cvt_f32_i32_e32 v26, v17
	v_dot4c_i32_i8_e32 v30, v42, v37
	v_cvt_f32_i32_e32 v29, v23
	v_cvt_f32_i32_e32 v31, v28
	;; [unrolled: 1-line block ×6, first 2 shown]
	s_waitcnt vmcnt(0)
	v_cvt_f32_f16_e32 v24, v44
	v_cvt_f32_f16_sdwa v25, v44 dst_sel:DWORD dst_unused:UNUSED_PAD src0_sel:WORD_1
	v_pk_fma_f32 v[16:17], v[16:17], v[26:27], 0 op_sel_hi:[0,1,0]
	v_pk_fma_f32 v[16:17], v[18:19], v[28:29], v[16:17] op_sel_hi:[0,1,1]
	;; [unrolled: 1-line block ×4, first 2 shown]
	v_pk_mul_f32 v[16:17], v[16:17], v[24:25]
	v_sub_f32_e32 v15, v16, v17
	v_add_f32_e32 v1, v1, v15
	s_andn2_b64 exec, exec, s[0:1]
	s_cbranch_execnz .LBB280_3
; %bb.4:
	s_or_b64 exec, exec, s[0:1]
.LBB280_5:
	s_or_b64 exec, exec, s[10:11]
	v_mbcnt_lo_u32_b32 v0, -1, 0
	v_mbcnt_hi_u32_b32 v2, -1, v0
	v_and_b32_e32 v0, 64, v2
	v_add_u32_e32 v3, 64, v0
	v_xor_b32_e32 v0, 32, v2
	v_cmp_lt_i32_e32 vcc, v0, v3
	v_cndmask_b32_e32 v0, v2, v0, vcc
	v_lshlrev_b32_e32 v0, 2, v0
	ds_bpermute_b32 v0, v0, v1
	v_xor_b32_e32 v4, 16, v2
	v_cmp_lt_i32_e32 vcc, v4, v3
	s_waitcnt lgkmcnt(0)
	v_add_f32_e32 v0, v1, v0
	v_cndmask_b32_e32 v1, v2, v4, vcc
	v_lshlrev_b32_e32 v1, 2, v1
	ds_bpermute_b32 v1, v1, v0
	v_xor_b32_e32 v4, 8, v2
	v_cmp_lt_i32_e32 vcc, v4, v3
	s_waitcnt lgkmcnt(0)
	v_add_f32_e32 v0, v0, v1
	;; [unrolled: 7-line block ×5, first 2 shown]
	v_cndmask_b32_e32 v1, v2, v4, vcc
	v_lshlrev_b32_e32 v1, 2, v1
	ds_bpermute_b32 v1, v1, v0
	v_cmp_eq_u32_e32 vcc, 0, v11
	s_and_b64 exec, exec, vcc
	s_cbranch_execz .LBB280_7
; %bb.6:
	s_waitcnt lgkmcnt(0)
	v_add_f32_e32 v0, v0, v1
	v_bfe_u32 v1, v0, 16, 1
	s_movk_i32 s0, 0x7fff
	v_add3_u32 v1, v0, v1, s0
	v_lshrrev_b32_e32 v1, 16, v1
	v_mov_b32_e32 v2, 0x7fc0
	v_cmp_o_f32_e32 vcc, v0, v0
	s_mul_i32 s0, s8, s2
	v_cndmask_b32_e32 v2, v2, v1, vcc
	v_add_u32_e32 v0, s0, v10
	v_mov_b32_e32 v1, 0
	v_lshlrev_b64 v[0:1], 1, v[0:1]
	v_mov_b32_e32 v3, s7
	v_add_co_u32_e32 v0, vcc, s6, v0
	v_addc_co_u32_e32 v1, vcc, v3, v1, vcc
	global_store_short v[0:1], v2, off
.LBB280_7:
	s_endpgm
	.section	.rodata,"a",@progbits
	.p2align	6, 0x0
	.amdhsa_kernel _ZL9moe_vec_qIN3c108BFloat16ELi256ELi16E10block_q2_KLi1EXadL_ZL17vec_dot_q2_K_q8_1PKvPK10block_q8_1RKiEEEvS4_S4_PT_PS8_iiii
		.amdhsa_group_segment_fixed_size 0
		.amdhsa_private_segment_fixed_size 0
		.amdhsa_kernarg_size 304
		.amdhsa_user_sgpr_count 6
		.amdhsa_user_sgpr_private_segment_buffer 1
		.amdhsa_user_sgpr_dispatch_ptr 0
		.amdhsa_user_sgpr_queue_ptr 0
		.amdhsa_user_sgpr_kernarg_segment_ptr 1
		.amdhsa_user_sgpr_dispatch_id 0
		.amdhsa_user_sgpr_flat_scratch_init 0
		.amdhsa_user_sgpr_kernarg_preload_length 0
		.amdhsa_user_sgpr_kernarg_preload_offset 0
		.amdhsa_user_sgpr_private_segment_size 0
		.amdhsa_uses_dynamic_stack 0
		.amdhsa_system_sgpr_private_segment_wavefront_offset 0
		.amdhsa_system_sgpr_workgroup_id_x 1
		.amdhsa_system_sgpr_workgroup_id_y 0
		.amdhsa_system_sgpr_workgroup_id_z 1
		.amdhsa_system_sgpr_workgroup_info 0
		.amdhsa_system_vgpr_workitem_id 1
		.amdhsa_next_free_vgpr 46
		.amdhsa_next_free_sgpr 20
		.amdhsa_accum_offset 48
		.amdhsa_reserve_vcc 1
		.amdhsa_reserve_flat_scratch 0
		.amdhsa_float_round_mode_32 0
		.amdhsa_float_round_mode_16_64 0
		.amdhsa_float_denorm_mode_32 3
		.amdhsa_float_denorm_mode_16_64 3
		.amdhsa_dx10_clamp 1
		.amdhsa_ieee_mode 1
		.amdhsa_fp16_overflow 0
		.amdhsa_tg_split 0
		.amdhsa_exception_fp_ieee_invalid_op 0
		.amdhsa_exception_fp_denorm_src 0
		.amdhsa_exception_fp_ieee_div_zero 0
		.amdhsa_exception_fp_ieee_overflow 0
		.amdhsa_exception_fp_ieee_underflow 0
		.amdhsa_exception_fp_ieee_inexact 0
		.amdhsa_exception_int_div_zero 0
	.end_amdhsa_kernel
	.section	.text._ZL9moe_vec_qIN3c108BFloat16ELi256ELi16E10block_q2_KLi1EXadL_ZL17vec_dot_q2_K_q8_1PKvPK10block_q8_1RKiEEEvS4_S4_PT_PS8_iiii,"axG",@progbits,_ZL9moe_vec_qIN3c108BFloat16ELi256ELi16E10block_q2_KLi1EXadL_ZL17vec_dot_q2_K_q8_1PKvPK10block_q8_1RKiEEEvS4_S4_PT_PS8_iiii,comdat
.Lfunc_end280:
	.size	_ZL9moe_vec_qIN3c108BFloat16ELi256ELi16E10block_q2_KLi1EXadL_ZL17vec_dot_q2_K_q8_1PKvPK10block_q8_1RKiEEEvS4_S4_PT_PS8_iiii, .Lfunc_end280-_ZL9moe_vec_qIN3c108BFloat16ELi256ELi16E10block_q2_KLi1EXadL_ZL17vec_dot_q2_K_q8_1PKvPK10block_q8_1RKiEEEvS4_S4_PT_PS8_iiii
                                        ; -- End function
	.section	.AMDGPU.csdata,"",@progbits
; Kernel info:
; codeLenInByte = 1304
; NumSgprs: 24
; NumVgprs: 46
; NumAgprs: 0
; TotalNumVgprs: 46
; ScratchSize: 0
; MemoryBound: 0
; FloatMode: 240
; IeeeMode: 1
; LDSByteSize: 0 bytes/workgroup (compile time only)
; SGPRBlocks: 2
; VGPRBlocks: 5
; NumSGPRsForWavesPerEU: 24
; NumVGPRsForWavesPerEU: 46
; AccumOffset: 48
; Occupancy: 8
; WaveLimiterHint : 1
; COMPUTE_PGM_RSRC2:SCRATCH_EN: 0
; COMPUTE_PGM_RSRC2:USER_SGPR: 6
; COMPUTE_PGM_RSRC2:TRAP_HANDLER: 0
; COMPUTE_PGM_RSRC2:TGID_X_EN: 1
; COMPUTE_PGM_RSRC2:TGID_Y_EN: 0
; COMPUTE_PGM_RSRC2:TGID_Z_EN: 1
; COMPUTE_PGM_RSRC2:TIDIG_COMP_CNT: 1
; COMPUTE_PGM_RSRC3_GFX90A:ACCUM_OFFSET: 11
; COMPUTE_PGM_RSRC3_GFX90A:TG_SPLIT: 0
	.section	.text._ZL9moe_vec_qIN3c108BFloat16ELi256ELi16E10block_q3_KLi1EXadL_ZL17vec_dot_q3_K_q8_1PKvPK10block_q8_1RKiEEEvS4_S4_PT_PS8_iiii,"axG",@progbits,_ZL9moe_vec_qIN3c108BFloat16ELi256ELi16E10block_q3_KLi1EXadL_ZL17vec_dot_q3_K_q8_1PKvPK10block_q8_1RKiEEEvS4_S4_PT_PS8_iiii,comdat
	.globl	_ZL9moe_vec_qIN3c108BFloat16ELi256ELi16E10block_q3_KLi1EXadL_ZL17vec_dot_q3_K_q8_1PKvPK10block_q8_1RKiEEEvS4_S4_PT_PS8_iiii ; -- Begin function _ZL9moe_vec_qIN3c108BFloat16ELi256ELi16E10block_q3_KLi1EXadL_ZL17vec_dot_q3_K_q8_1PKvPK10block_q8_1RKiEEEvS4_S4_PT_PS8_iiii
	.p2align	8
	.type	_ZL9moe_vec_qIN3c108BFloat16ELi256ELi16E10block_q3_KLi1EXadL_ZL17vec_dot_q3_K_q8_1PKvPK10block_q8_1RKiEEEvS4_S4_PT_PS8_iiii,@function
_ZL9moe_vec_qIN3c108BFloat16ELi256ELi16E10block_q3_KLi1EXadL_ZL17vec_dot_q3_K_q8_1PKvPK10block_q8_1RKiEEEvS4_S4_PT_PS8_iiii: ; @_ZL9moe_vec_qIN3c108BFloat16ELi256ELi16E10block_q3_KLi1EXadL_ZL17vec_dot_q3_K_q8_1PKvPK10block_q8_1RKiEEEvS4_S4_PT_PS8_iiii
; %bb.0:
	s_mov_b32 s8, s7
	s_load_dword s7, s[4:5], 0x3c
	s_load_dwordx4 s[0:3], s[4:5], 0x20
	v_bfe_u32 v1, v0, 10, 10
	s_waitcnt lgkmcnt(0)
	s_lshr_b32 s7, s7, 16
	s_mul_i32 s6, s6, s7
	v_add_u32_e32 v26, s6, v1
	v_cmp_gt_u32_e32 vcc, s2, v26
	s_and_saveexec_b64 s[6:7], vcc
	s_cbranch_execz .LBB281_7
; %bb.1:
	v_cvt_f32_u32_e32 v1, s0
	v_and_b32_e32 v27, 0x3ff, v0
	s_load_dwordx2 s[6:7], s[4:5], 0x10
	s_ashr_i32 s9, s1, 31
	v_rcp_iflag_f32_e32 v1, v1
	s_lshr_b32 s9, s9, 24
	s_add_i32 s1, s1, s9
	v_lshrrev_b32_e32 v28, 4, v27
	v_mul_f32_e32 v0, 0x4f7ffffe, v1
	v_cvt_u32_f32_e32 v0, v0
	s_ashr_i32 s14, s1, 8
	v_cmp_gt_u32_e32 vcc, s14, v28
	v_mov_b32_e32 v1, 0
	v_readfirstlane_b32 s1, v0
	s_and_saveexec_b64 s[10:11], vcc
	s_cbranch_execz .LBB281_5
; %bb.2:
	s_sub_i32 s12, 0, s0
	v_and_b32_e32 v3, 15, v27
	s_mul_i32 s15, s12, s1
	s_load_dwordx4 s[16:19], s[4:5], 0x0
	s_load_dwordx2 s[12:13], s[4:5], 0x18
	v_cmp_lt_u32_e32 vcc, 7, v3
	v_cndmask_b32_e64 v0, 0, 1, vcc
	v_lshlrev_b32_e32 v30, 2, v0
	v_add_u32_e32 v0, -8, v3
	v_cmp_gt_u32_e32 vcc, 8, v3
	s_mov_b32 s9, 0
	s_mul_hi_u32 s4, s1, s15
	v_cndmask_b32_e32 v0, v0, v3, vcc
	s_add_i32 s1, s1, s4
	s_lshl_b64 s[4:5], s[8:9], 2
	v_lshlrev_b32_e32 v2, 2, v3
	v_sub_u32_e32 v3, v3, v0
	v_cmp_lt_u32_e32 vcc, 3, v0
	s_waitcnt lgkmcnt(0)
	s_add_u32 s4, s12, s4
	v_addc_co_u32_e32 v16, vcc, 0, v3, vcc
	s_mul_hi_u32 s1, s8, s1
	s_addc_u32 s5, s13, s5
	v_mov_b32_e32 v17, 7
	v_add_u16_e32 v10, 2, v16
	s_load_dword s4, s[4:5], 0x0
	s_mul_i32 s5, s1, s0
	v_mov_b32_e32 v18, 5
	v_mov_b32_e32 v21, 6
	v_lshrrev_b16_sdwa v11, v17, sext(v10) dst_sel:DWORD dst_unused:UNUSED_PAD src0_sel:DWORD src1_sel:BYTE_0
	s_sub_i32 s5, s8, s5
	v_lshrrev_b16_sdwa v8, v18, v11 dst_sel:DWORD dst_unused:UNUSED_PAD src0_sel:DWORD src1_sel:BYTE_0
	v_lshrrev_b16_sdwa v11, v21, v11 dst_sel:DWORD dst_unused:UNUSED_PAD src0_sel:DWORD src1_sel:BYTE_0
	s_add_i32 s12, s1, 1
	s_sub_i32 s13, s5, s0
	v_mov_b32_e32 v20, 2
	v_add_u16_e32 v11, v10, v11
	v_add_u16_e32 v14, 4, v16
	s_cmp_ge_u32 s5, s0
	v_mov_b32_e32 v22, 1
	v_ashrrev_i16_sdwa v12, v20, sext(v11) dst_sel:DWORD dst_unused:UNUSED_PAD src0_sel:DWORD src1_sel:BYTE_0
	v_lshrrev_b16_sdwa v15, v17, sext(v14) dst_sel:DWORD dst_unused:UNUSED_PAD src0_sel:DWORD src1_sel:BYTE_0
	s_cselect_b32 s1, s12, s1
	v_lshlrev_b32_sdwa v34, v22, sext(v12) dst_sel:DWORD dst_unused:UNUSED_PAD src0_sel:DWORD src1_sel:WORD_0
	v_lshrrev_b16_sdwa v12, v18, v15 dst_sel:DWORD dst_unused:UNUSED_PAD src0_sel:DWORD src1_sel:BYTE_0
	v_lshrrev_b16_sdwa v15, v21, v15 dst_sel:DWORD dst_unused:UNUSED_PAD src0_sel:DWORD src1_sel:BYTE_0
	s_cselect_b32 s5, s13, s5
	s_add_i32 s12, s1, 1
	v_mov_b32_e32 v1, 0
	v_lshrrev_b16_sdwa v6, v17, sext(v16) dst_sel:DWORD dst_unused:UNUSED_PAD src0_sel:DWORD src1_sel:BYTE_0
	v_add_u16_e32 v15, v14, v15
	s_cmp_ge_u32 s5, s0
	v_lshlrev_b64 v[4:5], 2, v[0:1]
	v_lshrrev_b16_sdwa v0, v18, v6 dst_sel:DWORD dst_unused:UNUSED_PAD src0_sel:DWORD src1_sel:BYTE_0
	v_lshrrev_b16_sdwa v6, v21, v6 dst_sel:DWORD dst_unused:UNUSED_PAD src0_sel:DWORD src1_sel:BYTE_0
	v_lshrrev_b16_sdwa v23, v20, sext(v15) dst_sel:DWORD dst_unused:UNUSED_PAD src0_sel:DWORD src1_sel:BYTE_0
	s_cselect_b32 s0, s12, s1
	s_mul_i32 s1, s14, s2
	v_add_u16_e32 v0, v16, v0
	v_mov_b32_e32 v19, 3
	v_add_u16_e32 v6, v16, v6
	v_lshlrev_b32_sdwa v36, v22, v23 dst_sel:DWORD dst_unused:UNUSED_PAD src0_sel:DWORD src1_sel:BYTE_0
	v_add_u16_e32 v23, 6, v16
	s_waitcnt lgkmcnt(0)
	s_mul_i32 s1, s1, s4
	v_lshrrev_b16_sdwa v3, v19, sext(v0) dst_sel:DWORD dst_unused:UNUSED_PAD src0_sel:DWORD src1_sel:BYTE_0
	v_and_b32_e32 v0, 0xf8, v0
	v_ashrrev_i16_sdwa v7, v20, sext(v6) dst_sel:DWORD dst_unused:UNUSED_PAD src0_sel:DWORD src1_sel:BYTE_0
	v_and_b32_e32 v6, 0xfc, v6
	v_lshrrev_b16_sdwa v24, v17, sext(v23) dst_sel:DWORD dst_unused:UNUSED_PAD src0_sel:DWORD src1_sel:BYTE_0
	s_mul_hi_i32 s5, s1, 0x6e
	s_mulk_i32 s1, 0x6e
	v_sub_u16_e32 v0, v16, v0
	v_sub_u16_e32 v6, v16, v6
	v_lshrrev_b16_sdwa v16, v18, v24 dst_sel:DWORD dst_unused:UNUSED_PAD src0_sel:DWORD src1_sel:BYTE_0
	v_lshrrev_b16_sdwa v18, v21, v24 dst_sel:DWORD dst_unused:UNUSED_PAD src0_sel:DWORD src1_sel:BYTE_0
	s_add_u32 s4, s16, s1
	s_mul_i32 s0, s0, s3
	s_mov_b32 s1, s9
	v_add_u16_e32 v8, v10, v8
	v_add_u16_e32 v12, v14, v12
	;; [unrolled: 1-line block ×4, first 2 shown]
	s_addc_u32 s5, s17, s5
	s_lshl_b64 s[0:1], s[0:1], 2
	v_lshrrev_b16_sdwa v9, v19, sext(v8) dst_sel:DWORD dst_unused:UNUSED_PAD src0_sel:DWORD src1_sel:BYTE_0
	v_and_b32_e32 v8, 0xf8, v8
	v_and_b32_e32 v11, 0xfc, v11
	v_lshrrev_b16_sdwa v13, v19, sext(v12) dst_sel:DWORD dst_unused:UNUSED_PAD src0_sel:DWORD src1_sel:BYTE_0
	v_and_b32_e32 v12, 0xf8, v12
	v_and_b32_e32 v15, 0xfc, v15
	v_lshrrev_b16_sdwa v17, v19, sext(v16) dst_sel:DWORD dst_unused:UNUSED_PAD src0_sel:DWORD src1_sel:BYTE_0
	v_and_b32_e32 v16, 0xf8, v16
	v_lshrrev_b16_sdwa v19, v20, sext(v18) dst_sel:DWORD dst_unused:UNUSED_PAD src0_sel:DWORD src1_sel:BYTE_0
	v_and_b32_e32 v18, 0xfc, v18
	s_add_u32 s0, s18, s0
	v_sub_u16_e32 v8, v10, v8
	v_sub_u16_e32 v10, v10, v11
	;; [unrolled: 1-line block ×6, first 2 shown]
	s_addc_u32 s1, s19, s1
	v_bfe_i32 v0, v0, 0, 8
	v_bfe_i32 v6, v6, 0, 8
	v_bfe_i32 v8, v8, 0, 8
	v_bfe_i32 v10, v10, 0, 8
	v_bfe_i32 v12, v12, 0, 8
	v_bfe_i32 v14, v14, 0, 8
	v_bfe_i32 v16, v16, 0, 8
	v_bfe_i32 v18, v18, 0, 8
	s_movk_i32 s15, 0x6e
	v_mul_lo_u32 v29, v26, s14
	v_lshlrev_b32_sdwa v31, v20, v3 dst_sel:DWORD dst_unused:UNUSED_PAD src0_sel:DWORD src1_sel:BYTE_0
	v_ashrrev_i32_e32 v3, 31, v0
	v_lshlrev_b32_sdwa v32, v22, sext(v7) dst_sel:DWORD dst_unused:UNUSED_PAD src0_sel:DWORD src1_sel:WORD_0
	v_ashrrev_i32_e32 v7, 31, v6
	v_lshlrev_b32_sdwa v33, v20, v9 dst_sel:DWORD dst_unused:UNUSED_PAD src0_sel:DWORD src1_sel:BYTE_0
	v_ashrrev_i32_e32 v9, 31, v8
	v_ashrrev_i32_e32 v11, 31, v10
	v_lshlrev_b32_sdwa v35, v20, v13 dst_sel:DWORD dst_unused:UNUSED_PAD src0_sel:DWORD src1_sel:BYTE_0
	v_ashrrev_i32_e32 v13, 31, v12
	;; [unrolled: 3-line block ×3, first 2 shown]
	v_lshlrev_b32_sdwa v38, v22, v19 dst_sel:DWORD dst_unused:UNUSED_PAD src0_sel:DWORD src1_sel:BYTE_0
	v_ashrrev_i32_e32 v19, 31, v18
	v_mad_u64_u32 v[20:21], s[0:1], v30, 36, s[0:1]
	v_lshlrev_b32_e32 v39, 3, v28
	s_mov_b64 s[12:13], 0
	s_movk_i32 s3, 0x48
	s_movk_i32 s9, 0x6c
.LBB281_3:                              ; =>This Inner Loop Header: Depth=1
	v_add_u32_e32 v40, v29, v28
	v_pk_mov_b32 v[24:25], s[4:5], s[4:5] op_sel:[0,1]
	v_mad_i64_i32 v[22:23], s[0:1], v39, 36, v[20:21]
	v_mad_i64_i32 v[24:25], s[0:1], v40, s15, v[24:25]
	v_add_co_u32_e32 v40, vcc, s3, v22
	v_addc_co_u32_e32 v41, vcc, 0, v23, vcc
	v_add_co_u32_e32 v42, vcc, s9, v22
	v_addc_co_u32_e32 v43, vcc, 0, v23, vcc
	;; [unrolled: 2-line block ×4, first 2 shown]
	global_load_dword v46, v[44:45], off
	v_add_co_u32_e32 v44, vcc, v24, v2
	v_add_co_u32_e64 v40, s[0:1], v40, v4
	v_addc_co_u32_e32 v45, vcc, 0, v25, vcc
	v_addc_co_u32_e64 v41, s[0:1], v41, v5, s[0:1]
	global_load_dword v47, v[44:45], off offset:32
	global_load_dword v48, v[40:41], off offset:4
	global_load_dword v49, v[42:43], off offset:4
	v_mov_b32_e32 v56, 0
	v_mov_b32_e32 v57, 0
	;; [unrolled: 1-line block ×4, first 2 shown]
	v_add_u32_e32 v28, 4, v28
	v_add_u32_e32 v39, 32, v39
	global_load_dword v58, v[22:23], off offset:108
	s_waitcnt vmcnt(4)
	v_ashrrev_i32_e32 v40, v30, v46
	v_not_b32_e32 v42, v40
	v_and_b32_e32 v43, 0x4040404, v42
	s_waitcnt vmcnt(3)
	v_lshrrev_b32_e32 v40, 4, v47
	v_and_b32_e32 v41, 0x3030303, v40
	v_bfe_u32 v40, v40, 24, 2
	v_sub_u16_sdwa v40, v40, v43 dst_sel:BYTE_1 dst_unused:UNUSED_PAD src0_sel:DWORD src1_sel:BYTE_3
	v_sub_u16_e32 v44, v41, v43
	v_sub_u16_sdwa v45, v41, v43 dst_sel:BYTE_1 dst_unused:UNUSED_PAD src0_sel:BYTE_1 src1_sel:BYTE_1
	v_sub_u16_sdwa v41, v41, v43 dst_sel:DWORD dst_unused:UNUSED_PAD src0_sel:WORD_1 src1_sel:WORD_1
	v_or_b32_sdwa v43, v44, v45 dst_sel:DWORD dst_unused:UNUSED_PAD src0_sel:BYTE_0 src1_sel:DWORD
	v_or_b32_sdwa v40, v41, v40 dst_sel:WORD_1 dst_unused:UNUSED_PAD src0_sel:BYTE_0 src1_sel:DWORD
	v_or_b32_sdwa v40, v43, v40 dst_sel:DWORD dst_unused:UNUSED_PAD src0_sel:WORD_0 src1_sel:DWORD
	s_waitcnt vmcnt(2)
	v_dot4c_i32_i8_e32 v56, v40, v48
	v_add_co_u32_e32 v40, vcc, v22, v4
	v_addc_co_u32_e32 v41, vcc, v23, v5, vcc
	global_load_dword v43, v[40:41], off offset:4
	v_add_co_u32_e32 v40, vcc, 36, v22
	v_addc_co_u32_e32 v41, vcc, 0, v23, vcc
	v_add_co_u32_e32 v40, vcc, v40, v4
	v_addc_co_u32_e32 v41, vcc, v41, v5, vcc
	global_load_dword v40, v[40:41], off offset:4
	v_lshlrev_b32_e32 v41, 2, v42
	v_and_b32_e32 v41, 0x4040404, v41
	v_bfe_u32 v44, v47, 24, 2
	v_and_b32_e32 v45, 0x3030303, v47
	v_sub_u16_sdwa v44, v44, v41 dst_sel:BYTE_1 dst_unused:UNUSED_PAD src0_sel:DWORD src1_sel:BYTE_3
	v_sub_u16_e32 v46, v45, v41
	v_sub_u16_sdwa v48, v45, v41 dst_sel:BYTE_1 dst_unused:UNUSED_PAD src0_sel:BYTE_1 src1_sel:BYTE_1
	v_sub_u16_sdwa v41, v45, v41 dst_sel:DWORD dst_unused:UNUSED_PAD src0_sel:WORD_1 src1_sel:WORD_1
	v_or_b32_sdwa v45, v46, v48 dst_sel:DWORD dst_unused:UNUSED_PAD src0_sel:BYTE_0 src1_sel:DWORD
	v_or_b32_sdwa v41, v41, v44 dst_sel:WORD_1 dst_unused:UNUSED_PAD src0_sel:BYTE_0 src1_sel:DWORD
	v_or_b32_sdwa v41, v45, v41 dst_sel:DWORD dst_unused:UNUSED_PAD src0_sel:WORD_0 src1_sel:DWORD
	v_lshlrev_b32_e32 v44, 1, v42
	v_and_b32_e32 v44, 0x4040404, v44
	v_lshrrev_b32_e32 v42, 1, v42
	v_and_b32_e32 v42, 0x4040404, v42
	s_waitcnt vmcnt(1)
	v_dot4c_i32_i8_e32 v57, v41, v43
	v_lshrrev_b32_e32 v41, 2, v47
	v_and_b32_e32 v43, 0x3030303, v41
	v_bfe_u32 v41, v41, 24, 2
	v_sub_u16_sdwa v41, v41, v44 dst_sel:BYTE_1 dst_unused:UNUSED_PAD src0_sel:DWORD src1_sel:BYTE_3
	v_sub_u16_e32 v45, v43, v44
	v_sub_u16_sdwa v46, v43, v44 dst_sel:BYTE_1 dst_unused:UNUSED_PAD src0_sel:BYTE_1 src1_sel:BYTE_1
	v_sub_u16_sdwa v43, v43, v44 dst_sel:DWORD dst_unused:UNUSED_PAD src0_sel:WORD_1 src1_sel:WORD_1
	v_or_b32_sdwa v44, v45, v46 dst_sel:DWORD dst_unused:UNUSED_PAD src0_sel:BYTE_0 src1_sel:DWORD
	v_or_b32_sdwa v41, v43, v41 dst_sel:WORD_1 dst_unused:UNUSED_PAD src0_sel:BYTE_0 src1_sel:DWORD
	v_or_b32_sdwa v41, v44, v41 dst_sel:DWORD dst_unused:UNUSED_PAD src0_sel:WORD_0 src1_sel:DWORD
	s_waitcnt vmcnt(0)
	v_dot4c_i32_i8_e32 v59, v41, v40
	v_lshrrev_b32_e32 v40, 6, v47
	v_lshrrev_b32_e32 v41, 30, v47
	v_and_b32_e32 v40, 0x3030303, v40
	v_sub_u16_sdwa v41, v41, v42 dst_sel:BYTE_1 dst_unused:UNUSED_PAD src0_sel:DWORD src1_sel:BYTE_3
	v_sub_u16_e32 v43, v40, v42
	v_sub_u16_sdwa v44, v40, v42 dst_sel:BYTE_1 dst_unused:UNUSED_PAD src0_sel:BYTE_1 src1_sel:BYTE_1
	v_sub_u16_sdwa v40, v40, v42 dst_sel:DWORD dst_unused:UNUSED_PAD src0_sel:WORD_1 src1_sel:WORD_1
	v_or_b32_sdwa v42, v43, v44 dst_sel:DWORD dst_unused:UNUSED_PAD src0_sel:BYTE_0 src1_sel:DWORD
	v_or_b32_sdwa v40, v40, v41 dst_sel:WORD_1 dst_unused:UNUSED_PAD src0_sel:BYTE_0 src1_sel:DWORD
	v_or_b32_sdwa v40, v42, v40 dst_sel:DWORD dst_unused:UNUSED_PAD src0_sel:WORD_0 src1_sel:DWORD
	v_dot4c_i32_i8_e32 v60, v40, v49
	v_add_co_u32_e32 v40, vcc, v24, v0
	v_addc_co_u32_e32 v41, vcc, v25, v3, vcc
	v_add_co_u32_e32 v42, vcc, v24, v6
	v_addc_co_u32_e32 v43, vcc, v25, v7, vcc
	;; [unrolled: 2-line block ×8, first 2 shown]
	global_load_ushort v61, v[24:25], off offset:108
	global_load_ubyte v62, v[40:41], off offset:96
	global_load_ubyte v63, v[42:43], off offset:104
                                        ; kill: killed $vgpr40 killed $vgpr41
                                        ; kill: killed $vgpr24 killed $vgpr25
                                        ; kill: killed $vgpr42 killed $vgpr43
	s_nop 0
	global_load_ubyte v24, v[44:45], off offset:96
	global_load_ubyte v25, v[46:47], off offset:104
	;; [unrolled: 1-line block ×6, first 2 shown]
                                        ; kill: killed $vgpr48 killed $vgpr49
                                        ; kill: killed $vgpr46 killed $vgpr47
                                        ; kill: killed $vgpr50 killed $vgpr51
                                        ; kill: killed $vgpr52 killed $vgpr53
                                        ; kill: killed $vgpr54 killed $vgpr55
                                        ; kill: killed $vgpr44 killed $vgpr45
	global_load_dword v44, v[22:23], off
	global_load_dword v45, v[22:23], off offset:36
	global_load_dword v46, v[22:23], off offset:72
	v_cmp_le_u32_e32 vcc, s14, v28
	s_or_b64 s[12:13], vcc, s[12:13]
	s_waitcnt vmcnt(10)
	v_bfe_u32 v22, v62, v31, 4
	s_waitcnt vmcnt(9)
	v_lshrrev_b32_e32 v23, v32, v63
	v_lshlrev_b32_e32 v23, 4, v23
	v_and_or_b32 v22, v23, 48, v22
	v_subrev_u32_e32 v22, 32, v22
	s_waitcnt vmcnt(8)
	v_bfe_u32 v23, v24, v33, 4
	s_waitcnt vmcnt(7)
	v_lshrrev_b32_e32 v24, v34, v25
	v_lshlrev_b32_e32 v24, 4, v24
	s_waitcnt vmcnt(5)
	v_lshrrev_b32_e32 v25, v36, v41
	v_and_or_b32 v23, v24, 48, v23
	v_bfe_u32 v24, v40, v35, 4
	v_lshlrev_b32_e32 v25, 4, v25
	s_waitcnt vmcnt(3)
	v_lshrrev_b32_e32 v40, v38, v43
	v_and_or_b32 v24, v25, 48, v24
	v_bfe_u32 v25, v42, v37, 4
	v_lshlrev_b32_e32 v40, 4, v40
	v_mul_lo_u32 v22, v22, v57
	v_subrev_u32_e32 v23, 32, v23
	v_and_or_b32 v25, v40, 48, v25
	v_subrev_u32_e32 v24, 32, v24
	v_mul_lo_u32 v23, v23, v59
	v_cvt_f32_i32_e32 v22, v22
	v_mul_lo_u32 v24, v24, v56
	v_subrev_u32_e32 v25, 32, v25
	v_cvt_f32_i32_e32 v23, v23
	v_mul_lo_u32 v25, v25, v60
	v_cvt_f32_i32_e32 v24, v24
	v_cvt_f32_i32_e32 v25, v25
	s_waitcnt vmcnt(2)
	v_fma_mix_f32 v22, v44, v22, 0 op_sel_hi:[1,0,0]
	s_waitcnt vmcnt(1)
	v_fma_mix_f32 v22, v45, v23, v22 op_sel_hi:[1,0,0]
	;; [unrolled: 2-line block ×3, first 2 shown]
	v_fma_mix_f32 v22, v58, v25, v22 op_sel_hi:[1,0,0]
	v_fma_mix_f32 v1, v22, v61, v1 op_sel_hi:[0,1,0]
	s_andn2_b64 exec, exec, s[12:13]
	s_cbranch_execnz .LBB281_3
; %bb.4:
	s_or_b64 exec, exec, s[12:13]
.LBB281_5:
	s_or_b64 exec, exec, s[10:11]
	v_mbcnt_lo_u32_b32 v0, -1, 0
	v_mbcnt_hi_u32_b32 v2, -1, v0
	v_and_b32_e32 v0, 64, v2
	v_add_u32_e32 v3, 64, v0
	v_xor_b32_e32 v0, 32, v2
	v_cmp_lt_i32_e32 vcc, v0, v3
	v_cndmask_b32_e32 v0, v2, v0, vcc
	v_lshlrev_b32_e32 v0, 2, v0
	ds_bpermute_b32 v0, v0, v1
	v_xor_b32_e32 v4, 16, v2
	v_cmp_lt_i32_e32 vcc, v4, v3
	s_waitcnt lgkmcnt(0)
	v_add_f32_e32 v0, v1, v0
	v_cndmask_b32_e32 v1, v2, v4, vcc
	v_lshlrev_b32_e32 v1, 2, v1
	ds_bpermute_b32 v1, v1, v0
	v_xor_b32_e32 v4, 8, v2
	v_cmp_lt_i32_e32 vcc, v4, v3
	s_waitcnt lgkmcnt(0)
	v_add_f32_e32 v0, v0, v1
	;; [unrolled: 7-line block ×5, first 2 shown]
	v_cndmask_b32_e32 v1, v2, v4, vcc
	v_lshlrev_b32_e32 v1, 2, v1
	ds_bpermute_b32 v1, v1, v0
	v_cmp_eq_u32_e32 vcc, 0, v27
	s_and_b64 exec, exec, vcc
	s_cbranch_execz .LBB281_7
; %bb.6:
	s_waitcnt lgkmcnt(0)
	v_add_f32_e32 v0, v0, v1
	v_bfe_u32 v1, v0, 16, 1
	s_movk_i32 s0, 0x7fff
	v_add3_u32 v1, v0, v1, s0
	v_lshrrev_b32_e32 v1, 16, v1
	v_mov_b32_e32 v2, 0x7fc0
	v_cmp_o_f32_e32 vcc, v0, v0
	s_mul_i32 s0, s8, s2
	v_cndmask_b32_e32 v2, v2, v1, vcc
	v_add_u32_e32 v0, s0, v26
	v_mov_b32_e32 v1, 0
	v_lshlrev_b64 v[0:1], 1, v[0:1]
	v_mov_b32_e32 v3, s7
	v_add_co_u32_e32 v0, vcc, s6, v0
	v_addc_co_u32_e32 v1, vcc, v3, v1, vcc
	global_store_short v[0:1], v2, off
.LBB281_7:
	s_endpgm
	.section	.rodata,"a",@progbits
	.p2align	6, 0x0
	.amdhsa_kernel _ZL9moe_vec_qIN3c108BFloat16ELi256ELi16E10block_q3_KLi1EXadL_ZL17vec_dot_q3_K_q8_1PKvPK10block_q8_1RKiEEEvS4_S4_PT_PS8_iiii
		.amdhsa_group_segment_fixed_size 0
		.amdhsa_private_segment_fixed_size 0
		.amdhsa_kernarg_size 304
		.amdhsa_user_sgpr_count 6
		.amdhsa_user_sgpr_private_segment_buffer 1
		.amdhsa_user_sgpr_dispatch_ptr 0
		.amdhsa_user_sgpr_queue_ptr 0
		.amdhsa_user_sgpr_kernarg_segment_ptr 1
		.amdhsa_user_sgpr_dispatch_id 0
		.amdhsa_user_sgpr_flat_scratch_init 0
		.amdhsa_user_sgpr_kernarg_preload_length 0
		.amdhsa_user_sgpr_kernarg_preload_offset 0
		.amdhsa_user_sgpr_private_segment_size 0
		.amdhsa_uses_dynamic_stack 0
		.amdhsa_system_sgpr_private_segment_wavefront_offset 0
		.amdhsa_system_sgpr_workgroup_id_x 1
		.amdhsa_system_sgpr_workgroup_id_y 0
		.amdhsa_system_sgpr_workgroup_id_z 1
		.amdhsa_system_sgpr_workgroup_info 0
		.amdhsa_system_vgpr_workitem_id 1
		.amdhsa_next_free_vgpr 64
		.amdhsa_next_free_sgpr 20
		.amdhsa_accum_offset 64
		.amdhsa_reserve_vcc 1
		.amdhsa_reserve_flat_scratch 0
		.amdhsa_float_round_mode_32 0
		.amdhsa_float_round_mode_16_64 0
		.amdhsa_float_denorm_mode_32 3
		.amdhsa_float_denorm_mode_16_64 3
		.amdhsa_dx10_clamp 1
		.amdhsa_ieee_mode 1
		.amdhsa_fp16_overflow 0
		.amdhsa_tg_split 0
		.amdhsa_exception_fp_ieee_invalid_op 0
		.amdhsa_exception_fp_denorm_src 0
		.amdhsa_exception_fp_ieee_div_zero 0
		.amdhsa_exception_fp_ieee_overflow 0
		.amdhsa_exception_fp_ieee_underflow 0
		.amdhsa_exception_fp_ieee_inexact 0
		.amdhsa_exception_int_div_zero 0
	.end_amdhsa_kernel
	.section	.text._ZL9moe_vec_qIN3c108BFloat16ELi256ELi16E10block_q3_KLi1EXadL_ZL17vec_dot_q3_K_q8_1PKvPK10block_q8_1RKiEEEvS4_S4_PT_PS8_iiii,"axG",@progbits,_ZL9moe_vec_qIN3c108BFloat16ELi256ELi16E10block_q3_KLi1EXadL_ZL17vec_dot_q3_K_q8_1PKvPK10block_q8_1RKiEEEvS4_S4_PT_PS8_iiii,comdat
.Lfunc_end281:
	.size	_ZL9moe_vec_qIN3c108BFloat16ELi256ELi16E10block_q3_KLi1EXadL_ZL17vec_dot_q3_K_q8_1PKvPK10block_q8_1RKiEEEvS4_S4_PT_PS8_iiii, .Lfunc_end281-_ZL9moe_vec_qIN3c108BFloat16ELi256ELi16E10block_q3_KLi1EXadL_ZL17vec_dot_q3_K_q8_1PKvPK10block_q8_1RKiEEEvS4_S4_PT_PS8_iiii
                                        ; -- End function
	.section	.AMDGPU.csdata,"",@progbits
; Kernel info:
; codeLenInByte = 2160
; NumSgprs: 24
; NumVgprs: 64
; NumAgprs: 0
; TotalNumVgprs: 64
; ScratchSize: 0
; MemoryBound: 0
; FloatMode: 240
; IeeeMode: 1
; LDSByteSize: 0 bytes/workgroup (compile time only)
; SGPRBlocks: 2
; VGPRBlocks: 7
; NumSGPRsForWavesPerEU: 24
; NumVGPRsForWavesPerEU: 64
; AccumOffset: 64
; Occupancy: 8
; WaveLimiterHint : 1
; COMPUTE_PGM_RSRC2:SCRATCH_EN: 0
; COMPUTE_PGM_RSRC2:USER_SGPR: 6
; COMPUTE_PGM_RSRC2:TRAP_HANDLER: 0
; COMPUTE_PGM_RSRC2:TGID_X_EN: 1
; COMPUTE_PGM_RSRC2:TGID_Y_EN: 0
; COMPUTE_PGM_RSRC2:TGID_Z_EN: 1
; COMPUTE_PGM_RSRC2:TIDIG_COMP_CNT: 1
; COMPUTE_PGM_RSRC3_GFX90A:ACCUM_OFFSET: 15
; COMPUTE_PGM_RSRC3_GFX90A:TG_SPLIT: 0
	.section	.text._ZL9moe_vec_qIN3c108BFloat16ELi256ELi32E10block_q4_KLi2EXadL_ZL17vec_dot_q4_K_q8_1PKvPK10block_q8_1RKiEEEvS4_S4_PT_PS8_iiii,"axG",@progbits,_ZL9moe_vec_qIN3c108BFloat16ELi256ELi32E10block_q4_KLi2EXadL_ZL17vec_dot_q4_K_q8_1PKvPK10block_q8_1RKiEEEvS4_S4_PT_PS8_iiii,comdat
	.globl	_ZL9moe_vec_qIN3c108BFloat16ELi256ELi32E10block_q4_KLi2EXadL_ZL17vec_dot_q4_K_q8_1PKvPK10block_q8_1RKiEEEvS4_S4_PT_PS8_iiii ; -- Begin function _ZL9moe_vec_qIN3c108BFloat16ELi256ELi32E10block_q4_KLi2EXadL_ZL17vec_dot_q4_K_q8_1PKvPK10block_q8_1RKiEEEvS4_S4_PT_PS8_iiii
	.p2align	8
	.type	_ZL9moe_vec_qIN3c108BFloat16ELi256ELi32E10block_q4_KLi2EXadL_ZL17vec_dot_q4_K_q8_1PKvPK10block_q8_1RKiEEEvS4_S4_PT_PS8_iiii,@function
_ZL9moe_vec_qIN3c108BFloat16ELi256ELi32E10block_q4_KLi2EXadL_ZL17vec_dot_q4_K_q8_1PKvPK10block_q8_1RKiEEEvS4_S4_PT_PS8_iiii: ; @_ZL9moe_vec_qIN3c108BFloat16ELi256ELi32E10block_q4_KLi2EXadL_ZL17vec_dot_q4_K_q8_1PKvPK10block_q8_1RKiEEEvS4_S4_PT_PS8_iiii
; %bb.0:
	s_mov_b32 s8, s7
	s_load_dword s7, s[4:5], 0x3c
	s_load_dwordx4 s[0:3], s[4:5], 0x20
	v_bfe_u32 v1, v0, 10, 10
	s_waitcnt lgkmcnt(0)
	s_lshr_b32 s7, s7, 16
	s_mul_i32 s6, s6, s7
	v_add_u32_e32 v1, s6, v1
	v_cmp_gt_u32_e32 vcc, s2, v1
	s_and_saveexec_b64 s[6:7], vcc
	s_cbranch_execz .LBB282_11
; %bb.1:
	s_load_dwordx2 s[6:7], s[4:5], 0x10
	s_ashr_i32 s9, s1, 31
	s_lshr_b32 s9, s9, 24
	s_add_i32 s1, s1, s9
	v_and_b32_e32 v3, 0x3ff, v0
	s_ashr_i32 s12, s1, 8
	v_lshrrev_b32_e32 v12, 4, v3
	v_cmp_gt_u32_e32 vcc, s12, v12
	v_mov_b32_e32 v13, 0
	s_and_saveexec_b64 s[10:11], vcc
	s_cbranch_execz .LBB282_9
; %bb.2:
	s_load_dwordx2 s[14:15], s[4:5], 0x18
	v_cvt_f32_u32_e32 v0, s0
	s_mov_b32 s9, 0
	s_lshl_b64 s[16:17], s[8:9], 2
	v_and_b32_e32 v10, 3, v3
	s_waitcnt lgkmcnt(0)
	s_add_u32 s14, s14, s16
	v_rcp_iflag_f32_e32 v0, v0
	s_addc_u32 s15, s15, s17
	s_load_dword s1, s[14:15], 0x0
	s_load_dwordx4 s[16:19], s[4:5], 0x0
	s_mul_i32 s4, s12, s2
	v_mul_f32_e32 v0, 0x4f7ffffe, v0
	v_cvt_u32_f32_e32 v0, v0
	s_waitcnt lgkmcnt(0)
	s_mul_i32 s1, s4, s1
	s_mul_hi_i32 s4, s1, 0x90
	s_mulk_i32 s1, 0x90
	s_add_u32 s14, s16, s1
	s_addc_u32 s15, s17, s4
	s_sub_i32 s1, 0, s0
	v_readfirstlane_b32 s4, v0
	s_mul_i32 s1, s1, s4
	s_mul_hi_u32 s1, s4, s1
	s_add_i32 s4, s4, s1
	s_mul_hi_u32 s1, s8, s4
	s_mul_i32 s4, s1, s0
	s_sub_i32 s4, s8, s4
	s_add_i32 s5, s1, 1
	s_sub_i32 s16, s4, s0
	s_cmp_ge_u32 s4, s0
	s_cselect_b32 s1, s5, s1
	s_cselect_b32 s4, s16, s4
	s_add_i32 s5, s1, 1
	s_cmp_ge_u32 s4, s0
	s_cselect_b32 s0, s5, s1
	s_mul_i32 s0, s0, s3
	s_mov_b32 s1, s9
	s_lshl_b64 s[0:1], s[0:1], 2
	v_lshlrev_b32_e32 v0, 1, v3
	s_add_u32 s0, s18, s0
	v_and_b32_e32 v4, 30, v0
	v_bfe_u32 v8, v0, 3, 2
	s_addc_u32 s1, s19, s1
	v_cmp_lt_u32_e32 vcc, 15, v4
	v_lshlrev_b32_e32 v4, 1, v8
	s_movk_i32 s13, 0x90
	v_mul_lo_u32 v14, v1, s12
	v_lshlrev_b32_e32 v0, 5, v8
	v_mov_b32_e32 v13, 0
	v_lshlrev_b32_e32 v2, 2, v10
	v_mad_u64_u32 v[4:5], s[0:1], v4, 36, s[0:1]
	v_lshlrev_b32_e32 v15, 3, v12
	s_mov_b64 s[4:5], 0
	v_pk_mov_b32 v[6:7], s[14:15], s[14:15] op_sel:[0,1]
	v_lshlrev_b32_e32 v16, 1, v8
	s_mov_b32 s3, 0x5040100
	s_mov_b32 s9, 0x30303030
	v_lshlrev_b32_e32 v17, 2, v10
	s_branch .LBB282_4
.LBB282_3:                              ;   in Loop: Header=BB282_4 Depth=1
	s_or_b64 exec, exec, s[0:1]
	v_mad_i64_i32 v[10:11], s[0:1], v15, 36, v[4:5]
	v_add_co_u32_e64 v22, s[0:1], v10, v17
	global_load_dword v21, v[10:11], off
	v_addc_co_u32_e64 v23, s[0:1], 0, v11, s[0:1]
	global_load_dword v24, v[8:9], off
	global_load_dword v25, v[22:23], off offset:20
	global_load_dword v26, v[22:23], off offset:40
	;; [unrolled: 1-line block ×5, first 2 shown]
	s_waitcnt vmcnt(8)
	v_and_b32_e32 v11, 0xf0f0f0f, v19
	v_mov_b32_e32 v23, 0
	v_mov_b32_e32 v30, 0
	v_lshrrev_b32_e32 v10, 4, v19
	v_pk_lshrrev_b16 v8, 8, v20 op_sel_hi:[0,1]
	s_waitcnt vmcnt(7)
	v_and_b32_e32 v22, 0xf0f0f0f, v18
	v_and_b32_e32 v9, 0xff00ff, v20
	v_lshrrev_b32_e32 v18, 4, v18
	v_mov_b32_e32 v19, 0
	v_mov_b32_e32 v20, 0
	v_and_b32_e32 v31, 0xf0f0f0f, v10
	v_and_b32_e32 v32, 0xf0f0f0f, v18
	v_lshrrev_b32_e32 v34, 16, v9
	v_and_b32_e32 v35, 0xff, v9
	v_lshrrev_b32_e32 v33, 16, v8
	v_and_b32_e32 v8, 0xff, v8
	v_add_u32_e32 v12, 4, v12
	v_cmp_le_u32_e64 s[0:1], s12, v12
	s_or_b64 s[4:5], s[0:1], s[4:5]
	v_add_u32_e32 v15, 32, v15
	s_waitcnt vmcnt(5)
	v_cvt_f32_f16_sdwa v9, v24 dst_sel:DWORD dst_unused:UNUSED_PAD src0_sel:WORD_1
	s_waitcnt vmcnt(3)
	v_dot4c_i32_i8_e32 v19, v31, v26
	v_dot4c_i32_i8_e32 v20, 0x1010101, v26
	v_cvt_f32_f16_e32 v10, v21
	s_waitcnt vmcnt(0)
	v_dot4c_i32_i8_e32 v23, v11, v29
	v_dot4c_i32_i8_e32 v30, 0x1010101, v29
	;; [unrolled: 1-line block ×6, first 2 shown]
	v_mul_lo_u32 v11, v23, v35
	v_mul_lo_u32 v21, v30, v34
	v_mul_lo_u32 v8, v19, v8
	v_mul_lo_u32 v19, v20, v33
	v_cvt_f32_i32_e32 v21, v21
	v_cvt_f32_i32_e32 v20, v11
	v_cvt_f32_f16_e32 v18, v28
	v_cvt_f32_i32_e32 v23, v19
	v_cvt_f32_i32_e32 v22, v8
	v_cvt_f32_f16_e32 v8, v24
	v_pk_fma_f32 v[10:11], v[10:11], v[20:21], 0 op_sel_hi:[0,1,0]
	v_pk_fma_f32 v[10:11], v[18:19], v[22:23], v[10:11] op_sel_hi:[0,1,1]
	v_pk_mul_f32 v[8:9], v[10:11], v[8:9]
	v_sub_f32_e32 v8, v8, v9
	v_add_f32_e32 v13, v13, v8
	s_andn2_b64 exec, exec, s[4:5]
	s_cbranch_execz .LBB282_8
.LBB282_4:                              ; =>This Inner Loop Header: Depth=1
	v_add_u32_e32 v8, v14, v12
	v_mad_i64_i32 v[8:9], s[0:1], v8, s13, v[6:7]
	v_add_co_u32_e64 v10, s[0:1], v8, v0
	v_addc_co_u32_e64 v11, s[0:1], 0, v9, s[0:1]
	v_add_co_u32_e64 v10, s[0:1], v10, v2
	v_addc_co_u32_e64 v11, s[0:1], 0, v11, s[0:1]
	global_load_dword v19, v[10:11], off offset:16
	global_load_dword v18, v[10:11], off offset:32
	v_add_co_u32_e64 v10, s[0:1], v8, v16
	v_addc_co_u32_e64 v11, s[0:1], 0, v9, s[0:1]
                                        ; implicit-def: $vgpr20
	s_and_saveexec_b64 s[0:1], vcc
	s_xor_b64 s[0:1], exec, s[0:1]
	s_cbranch_execz .LBB282_6
; %bb.5:                                ;   in Loop: Header=BB282_4 Depth=1
	global_load_ushort v20, v[10:11], off
	global_load_ushort v21, v[10:11], off offset:8
	global_load_ushort v22, v[10:11], off offset:4
	s_waitcnt vmcnt(1)
	v_lshrrev_b16_e32 v10, 4, v21
	s_waitcnt vmcnt(0)
	v_perm_b32 v11, v22, v20, s3
	v_perm_b32 v10, v10, v21, s3
	v_and_b32_e32 v10, 0xf0f0f0f, v10
	v_pk_lshrrev_b16 v11, 2, v11 op_sel_hi:[0,1]
	v_and_or_b32 v20, v11, s9, v10
                                        ; implicit-def: $vgpr10_vgpr11
.LBB282_6:                              ;   in Loop: Header=BB282_4 Depth=1
	s_andn2_saveexec_b64 s[0:1], s[0:1]
	s_cbranch_execz .LBB282_3
; %bb.7:                                ;   in Loop: Header=BB282_4 Depth=1
	global_load_ushort v20, v[10:11], off offset:4
	global_load_ushort v21, v[10:11], off offset:8
	s_waitcnt vmcnt(0)
	v_perm_b32 v10, v21, v20, s3
	v_and_b32_e32 v20, 0x3f3f3f3f, v10
	s_branch .LBB282_3
.LBB282_8:
	s_or_b64 exec, exec, s[4:5]
.LBB282_9:
	s_or_b64 exec, exec, s[10:11]
	v_mbcnt_lo_u32_b32 v0, -1, 0
	v_mbcnt_hi_u32_b32 v2, -1, v0
	v_and_b32_e32 v0, 64, v2
	v_add_u32_e32 v4, 64, v0
	v_xor_b32_e32 v0, 32, v2
	v_cmp_lt_i32_e32 vcc, v0, v4
	v_cndmask_b32_e32 v0, v2, v0, vcc
	v_lshlrev_b32_e32 v0, 2, v0
	ds_bpermute_b32 v0, v0, v13
	v_xor_b32_e32 v5, 16, v2
	v_cmp_lt_i32_e32 vcc, v5, v4
	v_cndmask_b32_e32 v5, v2, v5, vcc
	v_lshlrev_b32_e32 v5, 2, v5
	s_waitcnt lgkmcnt(0)
	v_add_f32_e32 v0, v13, v0
	ds_bpermute_b32 v5, v5, v0
	v_xor_b32_e32 v6, 8, v2
	v_cmp_lt_i32_e32 vcc, v6, v4
	s_waitcnt lgkmcnt(0)
	v_add_f32_e32 v0, v0, v5
	v_cndmask_b32_e32 v5, v2, v6, vcc
	v_lshlrev_b32_e32 v5, 2, v5
	ds_bpermute_b32 v5, v5, v0
	v_xor_b32_e32 v6, 4, v2
	v_cmp_lt_i32_e32 vcc, v6, v4
	s_waitcnt lgkmcnt(0)
	v_add_f32_e32 v0, v0, v5
	v_cndmask_b32_e32 v5, v2, v6, vcc
	v_lshlrev_b32_e32 v5, 2, v5
	;; [unrolled: 7-line block ×3, first 2 shown]
	ds_bpermute_b32 v5, v5, v0
	v_xor_b32_e32 v6, 1, v2
	v_cmp_lt_i32_e32 vcc, v6, v4
	v_cndmask_b32_e32 v2, v2, v6, vcc
	v_lshlrev_b32_e32 v2, 2, v2
	s_waitcnt lgkmcnt(0)
	v_add_f32_e32 v0, v0, v5
	ds_bpermute_b32 v2, v2, v0
	v_cmp_eq_u32_e32 vcc, 0, v3
	s_and_b64 exec, exec, vcc
	s_cbranch_execz .LBB282_11
; %bb.10:
	s_waitcnt lgkmcnt(0)
	v_add_f32_e32 v0, v0, v2
	v_bfe_u32 v2, v0, 16, 1
	s_movk_i32 s0, 0x7fff
	v_add3_u32 v2, v0, v2, s0
	s_mul_i32 s0, s8, s2
	v_cmp_o_f32_e32 vcc, v0, v0
	v_add_u32_e32 v0, s0, v1
	v_mov_b32_e32 v1, 0
	v_lshrrev_b32_e32 v2, 16, v2
	v_mov_b32_e32 v3, 0x7fc0
	v_lshlrev_b64 v[0:1], 1, v[0:1]
	v_cndmask_b32_e32 v2, v3, v2, vcc
	v_mov_b32_e32 v3, s7
	v_add_co_u32_e32 v0, vcc, s6, v0
	v_addc_co_u32_e32 v1, vcc, v3, v1, vcc
	global_store_short v[0:1], v2, off
.LBB282_11:
	s_endpgm
	.section	.rodata,"a",@progbits
	.p2align	6, 0x0
	.amdhsa_kernel _ZL9moe_vec_qIN3c108BFloat16ELi256ELi32E10block_q4_KLi2EXadL_ZL17vec_dot_q4_K_q8_1PKvPK10block_q8_1RKiEEEvS4_S4_PT_PS8_iiii
		.amdhsa_group_segment_fixed_size 0
		.amdhsa_private_segment_fixed_size 0
		.amdhsa_kernarg_size 304
		.amdhsa_user_sgpr_count 6
		.amdhsa_user_sgpr_private_segment_buffer 1
		.amdhsa_user_sgpr_dispatch_ptr 0
		.amdhsa_user_sgpr_queue_ptr 0
		.amdhsa_user_sgpr_kernarg_segment_ptr 1
		.amdhsa_user_sgpr_dispatch_id 0
		.amdhsa_user_sgpr_flat_scratch_init 0
		.amdhsa_user_sgpr_kernarg_preload_length 0
		.amdhsa_user_sgpr_kernarg_preload_offset 0
		.amdhsa_user_sgpr_private_segment_size 0
		.amdhsa_uses_dynamic_stack 0
		.amdhsa_system_sgpr_private_segment_wavefront_offset 0
		.amdhsa_system_sgpr_workgroup_id_x 1
		.amdhsa_system_sgpr_workgroup_id_y 0
		.amdhsa_system_sgpr_workgroup_id_z 1
		.amdhsa_system_sgpr_workgroup_info 0
		.amdhsa_system_vgpr_workitem_id 1
		.amdhsa_next_free_vgpr 36
		.amdhsa_next_free_sgpr 20
		.amdhsa_accum_offset 36
		.amdhsa_reserve_vcc 1
		.amdhsa_reserve_flat_scratch 0
		.amdhsa_float_round_mode_32 0
		.amdhsa_float_round_mode_16_64 0
		.amdhsa_float_denorm_mode_32 3
		.amdhsa_float_denorm_mode_16_64 3
		.amdhsa_dx10_clamp 1
		.amdhsa_ieee_mode 1
		.amdhsa_fp16_overflow 0
		.amdhsa_tg_split 0
		.amdhsa_exception_fp_ieee_invalid_op 0
		.amdhsa_exception_fp_denorm_src 0
		.amdhsa_exception_fp_ieee_div_zero 0
		.amdhsa_exception_fp_ieee_overflow 0
		.amdhsa_exception_fp_ieee_underflow 0
		.amdhsa_exception_fp_ieee_inexact 0
		.amdhsa_exception_int_div_zero 0
	.end_amdhsa_kernel
	.section	.text._ZL9moe_vec_qIN3c108BFloat16ELi256ELi32E10block_q4_KLi2EXadL_ZL17vec_dot_q4_K_q8_1PKvPK10block_q8_1RKiEEEvS4_S4_PT_PS8_iiii,"axG",@progbits,_ZL9moe_vec_qIN3c108BFloat16ELi256ELi32E10block_q4_KLi2EXadL_ZL17vec_dot_q4_K_q8_1PKvPK10block_q8_1RKiEEEvS4_S4_PT_PS8_iiii,comdat
.Lfunc_end282:
	.size	_ZL9moe_vec_qIN3c108BFloat16ELi256ELi32E10block_q4_KLi2EXadL_ZL17vec_dot_q4_K_q8_1PKvPK10block_q8_1RKiEEEvS4_S4_PT_PS8_iiii, .Lfunc_end282-_ZL9moe_vec_qIN3c108BFloat16ELi256ELi32E10block_q4_KLi2EXadL_ZL17vec_dot_q4_K_q8_1PKvPK10block_q8_1RKiEEEvS4_S4_PT_PS8_iiii
                                        ; -- End function
	.section	.AMDGPU.csdata,"",@progbits
; Kernel info:
; codeLenInByte = 1300
; NumSgprs: 24
; NumVgprs: 36
; NumAgprs: 0
; TotalNumVgprs: 36
; ScratchSize: 0
; MemoryBound: 0
; FloatMode: 240
; IeeeMode: 1
; LDSByteSize: 0 bytes/workgroup (compile time only)
; SGPRBlocks: 2
; VGPRBlocks: 4
; NumSGPRsForWavesPerEU: 24
; NumVGPRsForWavesPerEU: 36
; AccumOffset: 36
; Occupancy: 8
; WaveLimiterHint : 1
; COMPUTE_PGM_RSRC2:SCRATCH_EN: 0
; COMPUTE_PGM_RSRC2:USER_SGPR: 6
; COMPUTE_PGM_RSRC2:TRAP_HANDLER: 0
; COMPUTE_PGM_RSRC2:TGID_X_EN: 1
; COMPUTE_PGM_RSRC2:TGID_Y_EN: 0
; COMPUTE_PGM_RSRC2:TGID_Z_EN: 1
; COMPUTE_PGM_RSRC2:TIDIG_COMP_CNT: 1
; COMPUTE_PGM_RSRC3_GFX90A:ACCUM_OFFSET: 8
; COMPUTE_PGM_RSRC3_GFX90A:TG_SPLIT: 0
	.section	.text._ZL9moe_vec_qIN3c108BFloat16ELi256ELi32E10block_q5_KLi2EXadL_ZL17vec_dot_q5_K_q8_1PKvPK10block_q8_1RKiEEEvS4_S4_PT_PS8_iiii,"axG",@progbits,_ZL9moe_vec_qIN3c108BFloat16ELi256ELi32E10block_q5_KLi2EXadL_ZL17vec_dot_q5_K_q8_1PKvPK10block_q8_1RKiEEEvS4_S4_PT_PS8_iiii,comdat
	.globl	_ZL9moe_vec_qIN3c108BFloat16ELi256ELi32E10block_q5_KLi2EXadL_ZL17vec_dot_q5_K_q8_1PKvPK10block_q8_1RKiEEEvS4_S4_PT_PS8_iiii ; -- Begin function _ZL9moe_vec_qIN3c108BFloat16ELi256ELi32E10block_q5_KLi2EXadL_ZL17vec_dot_q5_K_q8_1PKvPK10block_q8_1RKiEEEvS4_S4_PT_PS8_iiii
	.p2align	8
	.type	_ZL9moe_vec_qIN3c108BFloat16ELi256ELi32E10block_q5_KLi2EXadL_ZL17vec_dot_q5_K_q8_1PKvPK10block_q8_1RKiEEEvS4_S4_PT_PS8_iiii,@function
_ZL9moe_vec_qIN3c108BFloat16ELi256ELi32E10block_q5_KLi2EXadL_ZL17vec_dot_q5_K_q8_1PKvPK10block_q8_1RKiEEEvS4_S4_PT_PS8_iiii: ; @_ZL9moe_vec_qIN3c108BFloat16ELi256ELi32E10block_q5_KLi2EXadL_ZL17vec_dot_q5_K_q8_1PKvPK10block_q8_1RKiEEEvS4_S4_PT_PS8_iiii
; %bb.0:
	s_mov_b32 s8, s7
	s_load_dword s7, s[4:5], 0x3c
	s_load_dwordx4 s[0:3], s[4:5], 0x20
	v_bfe_u32 v1, v0, 10, 10
	s_waitcnt lgkmcnt(0)
	s_lshr_b32 s7, s7, 16
	s_mul_i32 s6, s6, s7
	v_add_u32_e32 v1, s6, v1
	v_cmp_gt_u32_e32 vcc, s2, v1
	s_and_saveexec_b64 s[6:7], vcc
	s_cbranch_execz .LBB283_11
; %bb.1:
	s_load_dwordx2 s[6:7], s[4:5], 0x10
	s_ashr_i32 s9, s1, 31
	s_lshr_b32 s9, s9, 24
	s_add_i32 s1, s1, s9
	v_and_b32_e32 v3, 0x3ff, v0
	s_ashr_i32 s12, s1, 8
	v_lshrrev_b32_e32 v12, 4, v3
	v_cmp_gt_u32_e32 vcc, s12, v12
	v_mov_b32_e32 v13, 0
	s_and_saveexec_b64 s[10:11], vcc
	s_cbranch_execz .LBB283_9
; %bb.2:
	s_load_dwordx2 s[14:15], s[4:5], 0x18
	v_cvt_f32_u32_e32 v0, s0
	s_mov_b32 s9, 0
	s_lshl_b64 s[16:17], s[8:9], 2
	v_and_b32_e32 v10, 3, v3
	s_waitcnt lgkmcnt(0)
	s_add_u32 s14, s14, s16
	v_rcp_iflag_f32_e32 v0, v0
	s_addc_u32 s15, s15, s17
	s_load_dword s1, s[14:15], 0x0
	s_load_dwordx4 s[16:19], s[4:5], 0x0
	s_mul_i32 s4, s12, s2
	v_mul_f32_e32 v0, 0x4f7ffffe, v0
	v_cvt_u32_f32_e32 v0, v0
	s_waitcnt lgkmcnt(0)
	s_mul_i32 s1, s4, s1
	s_mul_hi_i32 s4, s1, 0xb0
	s_mulk_i32 s1, 0xb0
	s_add_u32 s14, s16, s1
	s_addc_u32 s15, s17, s4
	s_sub_i32 s1, 0, s0
	v_readfirstlane_b32 s4, v0
	s_mul_i32 s1, s1, s4
	s_mul_hi_u32 s1, s4, s1
	s_add_i32 s4, s4, s1
	s_mul_hi_u32 s1, s8, s4
	s_mul_i32 s4, s1, s0
	s_sub_i32 s4, s8, s4
	s_add_i32 s5, s1, 1
	s_sub_i32 s16, s4, s0
	s_cmp_ge_u32 s4, s0
	s_cselect_b32 s1, s5, s1
	s_cselect_b32 s4, s16, s4
	s_add_i32 s5, s1, 1
	s_cmp_ge_u32 s4, s0
	s_cselect_b32 s0, s5, s1
	s_mul_i32 s0, s0, s3
	s_mov_b32 s1, s9
	s_lshl_b64 s[0:1], s[0:1], 2
	v_lshlrev_b32_e32 v0, 1, v3
	s_add_u32 s0, s18, s0
	v_bfe_u32 v8, v0, 3, 2
	s_addc_u32 s1, s19, s1
	v_and_b32_e32 v4, 30, v0
	v_lshlrev_b32_e32 v15, 1, v8
	s_movk_i32 s13, 0xb0
	v_mul_lo_u32 v14, v1, s12
	v_lshlrev_b32_e32 v0, 5, v8
	v_mov_b32_e32 v13, 0
	v_lshlrev_b32_e32 v2, 2, v10
	v_cmp_lt_u32_e32 vcc, 15, v4
	v_mad_u64_u32 v[4:5], s[0:1], v15, 36, s[0:1]
	v_lshlrev_b32_e32 v16, 3, v12
	s_mov_b64 s[4:5], 0
	v_pk_mov_b32 v[6:7], s[14:15], s[14:15] op_sel:[0,1]
	v_lshlrev_b32_e32 v17, 1, v8
	s_mov_b32 s3, 0x5040100
	s_mov_b32 s9, 0x30303030
	v_lshlrev_b32_e32 v18, 2, v10
	s_mov_b32 s14, 0x10101010
	s_branch .LBB283_4
.LBB283_3:                              ;   in Loop: Header=BB283_4 Depth=1
	s_or_b64 exec, exec, s[0:1]
	v_mad_i64_i32 v[10:11], s[0:1], v16, 36, v[4:5]
	v_add_co_u32_e64 v24, s[0:1], v10, v18
	global_load_dword v26, v[10:11], off
	v_addc_co_u32_e64 v25, s[0:1], 0, v11, s[0:1]
	global_load_dword v27, v[8:9], off
	global_load_dword v28, v[24:25], off offset:20
	global_load_dword v29, v[24:25], off offset:40
	;; [unrolled: 1-line block ×5, first 2 shown]
	s_waitcnt vmcnt(7)
	v_ashrrev_i32_e32 v9, v15, v22
	v_ashrrev_i32_e32 v10, v15, v21
	v_and_b32_e32 v21, 0xf0f0f0f, v19
	v_lshrrev_b32_e32 v19, 4, v19
	v_lshlrev_b32_e32 v35, 4, v9
	v_and_b32_e32 v11, 0xf0f0f0f, v20
	v_mov_b32_e32 v22, 0
	v_mov_b32_e32 v24, 0
	v_lshrrev_b32_e32 v20, 4, v20
	v_lshlrev_b32_e32 v34, 4, v10
	v_and_b32_e32 v19, 0xf0f0f0f, v19
	v_lshlrev_b32_e32 v9, 3, v9
	v_and_or_b32 v21, v35, s14, v21
	v_pk_lshrrev_b16 v8, 8, v23 op_sel_hi:[0,1]
	v_and_b32_e32 v23, 0xff00ff, v23
	v_mov_b32_e32 v25, 0
	v_mov_b32_e32 v33, 0
	v_and_b32_e32 v20, 0xf0f0f0f, v20
	v_lshlrev_b32_e32 v10, 3, v10
	v_and_or_b32 v11, v34, s14, v11
	v_and_or_b32 v19, v9, s14, v19
	v_lshrrev_b32_e32 v37, 16, v23
	v_and_b32_e32 v23, 0xff, v23
	v_and_or_b32 v34, v10, s14, v20
	v_lshrrev_b32_e32 v36, 16, v8
	v_and_b32_e32 v8, 0xff, v8
	v_add_u32_e32 v12, 4, v12
	v_cmp_le_u32_e64 s[0:1], s12, v12
	s_or_b64 s[4:5], s[0:1], s[4:5]
	v_add_u32_e32 v16, 32, v16
	s_waitcnt vmcnt(5)
	v_cvt_f32_f16_sdwa v9, v27 dst_sel:DWORD dst_unused:UNUSED_PAD src0_sel:WORD_1
	s_waitcnt vmcnt(4)
	v_dot4c_i32_i8_e32 v22, v21, v28
	v_dot4c_i32_i8_e32 v24, 0x1010101, v28
	s_waitcnt vmcnt(2)
	v_dot4c_i32_i8_e32 v25, v19, v30
	v_dot4c_i32_i8_e32 v33, 0x1010101, v30
	;; [unrolled: 3-line block ×3, first 2 shown]
	v_dot4c_i32_i8_e32 v25, v34, v29
	v_dot4c_i32_i8_e32 v33, 0x1010101, v29
	v_mul_lo_u32 v11, v22, v23
	v_mul_lo_u32 v19, v24, v37
	v_cvt_f32_f16_e32 v10, v26
	v_mul_lo_u32 v8, v25, v8
	v_mul_lo_u32 v21, v33, v36
	v_cvt_f32_i32_e32 v23, v19
	v_cvt_f32_i32_e32 v22, v11
	v_cvt_f32_f16_e32 v20, v31
	v_cvt_f32_i32_e32 v25, v21
	v_cvt_f32_i32_e32 v24, v8
	v_cvt_f32_f16_e32 v8, v27
	v_pk_fma_f32 v[10:11], v[10:11], v[22:23], 0 op_sel_hi:[0,1,0]
	v_pk_fma_f32 v[10:11], v[20:21], v[24:25], v[10:11] op_sel_hi:[0,1,1]
	v_pk_mul_f32 v[8:9], v[10:11], v[8:9]
	v_sub_f32_e32 v8, v8, v9
	v_add_f32_e32 v13, v13, v8
	s_andn2_b64 exec, exec, s[4:5]
	s_cbranch_execz .LBB283_8
.LBB283_4:                              ; =>This Inner Loop Header: Depth=1
	v_add_u32_e32 v8, v14, v12
	v_mad_i64_i32 v[8:9], s[0:1], v8, s13, v[6:7]
	v_add_co_u32_e64 v10, s[0:1], v8, v2
	v_addc_co_u32_e64 v11, s[0:1], 0, v9, s[0:1]
	v_add_co_u32_e64 v24, s[0:1], v10, v0
	v_addc_co_u32_e64 v25, s[0:1], 0, v11, s[0:1]
	global_load_dword v19, v[24:25], off offset:64
	global_load_dword v21, v[10:11], off offset:16
	;; [unrolled: 1-line block ×4, first 2 shown]
	v_add_co_u32_e64 v10, s[0:1], v8, v17
	v_addc_co_u32_e64 v11, s[0:1], 0, v9, s[0:1]
                                        ; implicit-def: $vgpr23
	s_and_saveexec_b64 s[0:1], vcc
	s_xor_b64 s[0:1], exec, s[0:1]
	s_cbranch_execz .LBB283_6
; %bb.5:                                ;   in Loop: Header=BB283_4 Depth=1
	global_load_ushort v23, v[10:11], off
	global_load_ushort v24, v[10:11], off offset:8
	global_load_ushort v25, v[10:11], off offset:4
	s_waitcnt vmcnt(1)
	v_lshrrev_b16_e32 v10, 4, v24
	s_waitcnt vmcnt(0)
	v_perm_b32 v11, v25, v23, s3
	v_perm_b32 v10, v10, v24, s3
	v_and_b32_e32 v10, 0xf0f0f0f, v10
	v_pk_lshrrev_b16 v11, 2, v11 op_sel_hi:[0,1]
	v_and_or_b32 v23, v11, s9, v10
                                        ; implicit-def: $vgpr10_vgpr11
.LBB283_6:                              ;   in Loop: Header=BB283_4 Depth=1
	s_andn2_saveexec_b64 s[0:1], s[0:1]
	s_cbranch_execz .LBB283_3
; %bb.7:                                ;   in Loop: Header=BB283_4 Depth=1
	global_load_ushort v23, v[10:11], off offset:4
	global_load_ushort v24, v[10:11], off offset:8
	s_waitcnt vmcnt(0)
	v_perm_b32 v10, v24, v23, s3
	v_and_b32_e32 v23, 0x3f3f3f3f, v10
	s_branch .LBB283_3
.LBB283_8:
	s_or_b64 exec, exec, s[4:5]
.LBB283_9:
	s_or_b64 exec, exec, s[10:11]
	v_mbcnt_lo_u32_b32 v0, -1, 0
	v_mbcnt_hi_u32_b32 v2, -1, v0
	v_and_b32_e32 v0, 64, v2
	v_add_u32_e32 v4, 64, v0
	v_xor_b32_e32 v0, 32, v2
	v_cmp_lt_i32_e32 vcc, v0, v4
	v_cndmask_b32_e32 v0, v2, v0, vcc
	v_lshlrev_b32_e32 v0, 2, v0
	ds_bpermute_b32 v0, v0, v13
	v_xor_b32_e32 v5, 16, v2
	v_cmp_lt_i32_e32 vcc, v5, v4
	v_cndmask_b32_e32 v5, v2, v5, vcc
	v_lshlrev_b32_e32 v5, 2, v5
	s_waitcnt lgkmcnt(0)
	v_add_f32_e32 v0, v13, v0
	ds_bpermute_b32 v5, v5, v0
	v_xor_b32_e32 v6, 8, v2
	v_cmp_lt_i32_e32 vcc, v6, v4
	s_waitcnt lgkmcnt(0)
	v_add_f32_e32 v0, v0, v5
	v_cndmask_b32_e32 v5, v2, v6, vcc
	v_lshlrev_b32_e32 v5, 2, v5
	ds_bpermute_b32 v5, v5, v0
	v_xor_b32_e32 v6, 4, v2
	v_cmp_lt_i32_e32 vcc, v6, v4
	s_waitcnt lgkmcnt(0)
	v_add_f32_e32 v0, v0, v5
	v_cndmask_b32_e32 v5, v2, v6, vcc
	v_lshlrev_b32_e32 v5, 2, v5
	;; [unrolled: 7-line block ×3, first 2 shown]
	ds_bpermute_b32 v5, v5, v0
	v_xor_b32_e32 v6, 1, v2
	v_cmp_lt_i32_e32 vcc, v6, v4
	v_cndmask_b32_e32 v2, v2, v6, vcc
	v_lshlrev_b32_e32 v2, 2, v2
	s_waitcnt lgkmcnt(0)
	v_add_f32_e32 v0, v0, v5
	ds_bpermute_b32 v2, v2, v0
	v_cmp_eq_u32_e32 vcc, 0, v3
	s_and_b64 exec, exec, vcc
	s_cbranch_execz .LBB283_11
; %bb.10:
	s_waitcnt lgkmcnt(0)
	v_add_f32_e32 v0, v0, v2
	v_bfe_u32 v2, v0, 16, 1
	s_movk_i32 s0, 0x7fff
	v_add3_u32 v2, v0, v2, s0
	s_mul_i32 s0, s8, s2
	v_cmp_o_f32_e32 vcc, v0, v0
	v_add_u32_e32 v0, s0, v1
	v_mov_b32_e32 v1, 0
	v_lshrrev_b32_e32 v2, 16, v2
	v_mov_b32_e32 v3, 0x7fc0
	v_lshlrev_b64 v[0:1], 1, v[0:1]
	v_cndmask_b32_e32 v2, v3, v2, vcc
	v_mov_b32_e32 v3, s7
	v_add_co_u32_e32 v0, vcc, s6, v0
	v_addc_co_u32_e32 v1, vcc, v3, v1, vcc
	global_store_short v[0:1], v2, off
.LBB283_11:
	s_endpgm
	.section	.rodata,"a",@progbits
	.p2align	6, 0x0
	.amdhsa_kernel _ZL9moe_vec_qIN3c108BFloat16ELi256ELi32E10block_q5_KLi2EXadL_ZL17vec_dot_q5_K_q8_1PKvPK10block_q8_1RKiEEEvS4_S4_PT_PS8_iiii
		.amdhsa_group_segment_fixed_size 0
		.amdhsa_private_segment_fixed_size 0
		.amdhsa_kernarg_size 304
		.amdhsa_user_sgpr_count 6
		.amdhsa_user_sgpr_private_segment_buffer 1
		.amdhsa_user_sgpr_dispatch_ptr 0
		.amdhsa_user_sgpr_queue_ptr 0
		.amdhsa_user_sgpr_kernarg_segment_ptr 1
		.amdhsa_user_sgpr_dispatch_id 0
		.amdhsa_user_sgpr_flat_scratch_init 0
		.amdhsa_user_sgpr_kernarg_preload_length 0
		.amdhsa_user_sgpr_kernarg_preload_offset 0
		.amdhsa_user_sgpr_private_segment_size 0
		.amdhsa_uses_dynamic_stack 0
		.amdhsa_system_sgpr_private_segment_wavefront_offset 0
		.amdhsa_system_sgpr_workgroup_id_x 1
		.amdhsa_system_sgpr_workgroup_id_y 0
		.amdhsa_system_sgpr_workgroup_id_z 1
		.amdhsa_system_sgpr_workgroup_info 0
		.amdhsa_system_vgpr_workitem_id 1
		.amdhsa_next_free_vgpr 38
		.amdhsa_next_free_sgpr 20
		.amdhsa_accum_offset 40
		.amdhsa_reserve_vcc 1
		.amdhsa_reserve_flat_scratch 0
		.amdhsa_float_round_mode_32 0
		.amdhsa_float_round_mode_16_64 0
		.amdhsa_float_denorm_mode_32 3
		.amdhsa_float_denorm_mode_16_64 3
		.amdhsa_dx10_clamp 1
		.amdhsa_ieee_mode 1
		.amdhsa_fp16_overflow 0
		.amdhsa_tg_split 0
		.amdhsa_exception_fp_ieee_invalid_op 0
		.amdhsa_exception_fp_denorm_src 0
		.amdhsa_exception_fp_ieee_div_zero 0
		.amdhsa_exception_fp_ieee_overflow 0
		.amdhsa_exception_fp_ieee_underflow 0
		.amdhsa_exception_fp_ieee_inexact 0
		.amdhsa_exception_int_div_zero 0
	.end_amdhsa_kernel
	.section	.text._ZL9moe_vec_qIN3c108BFloat16ELi256ELi32E10block_q5_KLi2EXadL_ZL17vec_dot_q5_K_q8_1PKvPK10block_q8_1RKiEEEvS4_S4_PT_PS8_iiii,"axG",@progbits,_ZL9moe_vec_qIN3c108BFloat16ELi256ELi32E10block_q5_KLi2EXadL_ZL17vec_dot_q5_K_q8_1PKvPK10block_q8_1RKiEEEvS4_S4_PT_PS8_iiii,comdat
.Lfunc_end283:
	.size	_ZL9moe_vec_qIN3c108BFloat16ELi256ELi32E10block_q5_KLi2EXadL_ZL17vec_dot_q5_K_q8_1PKvPK10block_q8_1RKiEEEvS4_S4_PT_PS8_iiii, .Lfunc_end283-_ZL9moe_vec_qIN3c108BFloat16ELi256ELi32E10block_q5_KLi2EXadL_ZL17vec_dot_q5_K_q8_1PKvPK10block_q8_1RKiEEEvS4_S4_PT_PS8_iiii
                                        ; -- End function
	.section	.AMDGPU.csdata,"",@progbits
; Kernel info:
; codeLenInByte = 1380
; NumSgprs: 24
; NumVgprs: 38
; NumAgprs: 0
; TotalNumVgprs: 38
; ScratchSize: 0
; MemoryBound: 0
; FloatMode: 240
; IeeeMode: 1
; LDSByteSize: 0 bytes/workgroup (compile time only)
; SGPRBlocks: 2
; VGPRBlocks: 4
; NumSGPRsForWavesPerEU: 24
; NumVGPRsForWavesPerEU: 38
; AccumOffset: 40
; Occupancy: 8
; WaveLimiterHint : 1
; COMPUTE_PGM_RSRC2:SCRATCH_EN: 0
; COMPUTE_PGM_RSRC2:USER_SGPR: 6
; COMPUTE_PGM_RSRC2:TRAP_HANDLER: 0
; COMPUTE_PGM_RSRC2:TGID_X_EN: 1
; COMPUTE_PGM_RSRC2:TGID_Y_EN: 0
; COMPUTE_PGM_RSRC2:TGID_Z_EN: 1
; COMPUTE_PGM_RSRC2:TIDIG_COMP_CNT: 1
; COMPUTE_PGM_RSRC3_GFX90A:ACCUM_OFFSET: 9
; COMPUTE_PGM_RSRC3_GFX90A:TG_SPLIT: 0
	.section	.text._ZL9moe_vec_qIN3c108BFloat16ELi256ELi32E10block_q6_KLi1EXadL_ZL17vec_dot_q6_K_q8_1PKvPK10block_q8_1RKiEEEvS4_S4_PT_PS8_iiii,"axG",@progbits,_ZL9moe_vec_qIN3c108BFloat16ELi256ELi32E10block_q6_KLi1EXadL_ZL17vec_dot_q6_K_q8_1PKvPK10block_q8_1RKiEEEvS4_S4_PT_PS8_iiii,comdat
	.globl	_ZL9moe_vec_qIN3c108BFloat16ELi256ELi32E10block_q6_KLi1EXadL_ZL17vec_dot_q6_K_q8_1PKvPK10block_q8_1RKiEEEvS4_S4_PT_PS8_iiii ; -- Begin function _ZL9moe_vec_qIN3c108BFloat16ELi256ELi32E10block_q6_KLi1EXadL_ZL17vec_dot_q6_K_q8_1PKvPK10block_q8_1RKiEEEvS4_S4_PT_PS8_iiii
	.p2align	8
	.type	_ZL9moe_vec_qIN3c108BFloat16ELi256ELi32E10block_q6_KLi1EXadL_ZL17vec_dot_q6_K_q8_1PKvPK10block_q8_1RKiEEEvS4_S4_PT_PS8_iiii,@function
_ZL9moe_vec_qIN3c108BFloat16ELi256ELi32E10block_q6_KLi1EXadL_ZL17vec_dot_q6_K_q8_1PKvPK10block_q8_1RKiEEEvS4_S4_PT_PS8_iiii: ; @_ZL9moe_vec_qIN3c108BFloat16ELi256ELi32E10block_q6_KLi1EXadL_ZL17vec_dot_q6_K_q8_1PKvPK10block_q8_1RKiEEEvS4_S4_PT_PS8_iiii
; %bb.0:
	s_mov_b32 s8, s7
	s_load_dword s7, s[4:5], 0x3c
	s_load_dwordx4 s[0:3], s[4:5], 0x20
	v_bfe_u32 v1, v0, 10, 10
	s_waitcnt lgkmcnt(0)
	s_lshr_b32 s7, s7, 16
	s_mul_i32 s6, s6, s7
	v_add_u32_e32 v1, s6, v1
	v_cmp_gt_u32_e32 vcc, s2, v1
	s_and_saveexec_b64 s[6:7], vcc
	s_cbranch_execz .LBB284_7
; %bb.1:
	s_load_dwordx2 s[6:7], s[4:5], 0x10
	s_ashr_i32 s9, s1, 31
	s_lshr_b32 s9, s9, 24
	s_add_i32 s1, s1, s9
	v_and_b32_e32 v3, 0x3ff, v0
	s_ashr_i32 s12, s1, 8
	v_lshrrev_b32_e32 v5, 5, v3
	v_cmp_gt_u32_e32 vcc, s12, v5
	v_mov_b32_e32 v9, 0
	s_and_saveexec_b64 s[10:11], vcc
	s_cbranch_execz .LBB284_5
; %bb.2:
	s_load_dwordx2 s[14:15], s[4:5], 0x18
	v_cvt_f32_u32_e32 v0, s0
	s_mov_b32 s9, 0
	s_lshl_b64 s[16:17], s[8:9], 2
	v_and_b32_e32 v4, 7, v3
	s_waitcnt lgkmcnt(0)
	s_add_u32 s14, s14, s16
	v_rcp_iflag_f32_e32 v0, v0
	s_addc_u32 s15, s15, s17
	s_load_dword s1, s[14:15], 0x0
	s_load_dwordx4 s[16:19], s[4:5], 0x0
	s_mul_i32 s5, s12, s2
	v_mul_f32_e32 v0, 0x4f7ffffe, v0
	v_cvt_u32_f32_e32 v0, v0
	s_waitcnt lgkmcnt(0)
	s_mul_i32 s1, s5, s1
	s_mul_hi_i32 s5, s1, 0xd2
	s_mulk_i32 s1, 0xd2
	s_add_u32 s14, s16, s1
	s_addc_u32 s15, s17, s5
	s_sub_i32 s1, 0, s0
	v_readfirstlane_b32 s5, v0
	s_mul_i32 s1, s1, s5
	s_mul_hi_u32 s1, s5, s1
	s_add_i32 s5, s5, s1
	s_mul_hi_u32 s1, s8, s5
	s_mul_i32 s5, s1, s0
	s_sub_i32 s5, s8, s5
	s_add_i32 s13, s1, 1
	s_sub_i32 s16, s5, s0
	s_cmp_ge_u32 s5, s0
	s_cselect_b32 s1, s13, s1
	v_and_b32_e32 v0, 31, v3
	s_cselect_b32 s5, s16, s5
	s_add_i32 s13, s1, 1
	v_add_u32_e32 v2, 0xf0, v0
	v_cmp_gt_u32_e32 vcc, 16, v0
	s_cmp_ge_u32 s5, s0
	v_cndmask_b32_e32 v8, v2, v0, vcc
	s_cselect_b32 s0, s13, s1
	v_and_b32_e32 v2, 0xf8, v8
	s_mul_i32 s0, s0, s3
	s_mov_b32 s1, s9
	v_cmp_ne_u32_e32 vcc, 0, v2
	s_lshl_b64 s[0:1], s[0:1], 2
	v_cndmask_b32_e64 v10, 0, 1, vcc
	v_cmp_lt_u32_e32 vcc, 15, v0
	s_add_u32 s0, s18, s0
	v_cndmask_b32_e64 v2, 0, 1, vcc
	s_addc_u32 s1, s19, s1
	v_lshl_or_b32 v6, v2, 2, v10
	v_lshlrev_b32_e32 v11, 3, v2
	v_or_b32_e32 v2, v11, v4
	v_mad_u64_u32 v[6:7], s[0:1], v6, 36, s[0:1]
	v_bfe_u32 v8, v8, 2, 6
	s_movk_i32 s4, 0xd2
	v_mul_lo_u32 v12, v1, s12
	v_lshlrev_b32_e32 v0, 2, v0
	v_mov_b32_e32 v9, 0
	v_lshlrev_b32_e32 v2, 2, v2
	v_lshlrev_b32_e32 v4, 2, v4
	;; [unrolled: 1-line block ×3, first 2 shown]
	v_add_u32_e32 v8, v8, v11
	v_lshlrev_b32_e32 v14, 3, v5
	s_mov_b64 s[0:1], 0
	v_pk_mov_b32 v[10:11], s[14:15], s[14:15] op_sel:[0,1]
	s_mov_b32 s3, 0xf0f0f0f
	s_mov_b32 s5, 0x30303030
	s_movk_i32 s9, 0x3f00
	s_movk_i32 s13, 0xe000
	v_mov_b32_e32 v15, 8
.LBB284_3:                              ; =>This Inner Loop Header: Depth=1
	v_mad_i64_i32 v[16:17], s[14:15], v14, 36, v[6:7]
	v_add_u32_e32 v18, v12, v5
	v_add_co_u32_e32 v20, vcc, v16, v4
	v_mad_i64_i32 v[18:19], s[14:15], v18, s4, v[10:11]
	v_addc_co_u32_e32 v21, vcc, 0, v17, vcc
	v_add_co_u32_e32 v22, vcc, v18, v0
	v_addc_co_u32_e32 v23, vcc, 0, v19, vcc
	v_add_co_u32_e32 v24, vcc, v18, v2
	v_addc_co_u32_e32 v25, vcc, 0, v19, vcc
	global_load_dword v26, v[24:25], off offset:128
	global_load_dword v27, v[22:23], off
	global_load_dword v28, v[20:21], off offset:4
	global_load_dword v29, v[20:21], off offset:76
	v_add_co_u32_e32 v20, vcc, v18, v8
	v_addc_co_u32_e32 v21, vcc, 0, v19, vcc
	global_load_sbyte v22, v[20:21], off offset:192
	global_load_sbyte v23, v[20:21], off offset:196
	global_load_dword v24, v[16:17], off
	global_load_dword v25, v[16:17], off offset:72
	global_load_ushort v30, v[18:19], off offset:208
	v_mov_b32_e32 v16, 0
	v_mov_b32_e32 v17, 0
	v_add_u32_e32 v5, 2, v5
	v_cmp_le_u32_e32 vcc, s12, v5
	v_add_u32_e32 v14, 16, v14
	s_or_b64 s[0:1], vcc, s[0:1]
	s_waitcnt vmcnt(8)
	v_ashrrev_i32_e32 v18, v13, v26
	s_waitcnt vmcnt(7)
	v_and_b32_e32 v19, 0xf0f0f0f, v27
	v_lshlrev_b32_e32 v21, 4, v18
	v_lshrrev_b32_e32 v20, 4, v27
	v_and_b32_e32 v18, 0x30303030, v18
	v_and_or_b32 v19, v21, s5, v19
	v_and_or_b32 v18, v20, s3, v18
	v_and_b32_e32 v20, 0x3f00, v19
	v_lshlrev_b16_e32 v21, 8, v19
	v_and_b32_sdwa v26, v19, s9 dst_sel:DWORD dst_unused:UNUSED_PAD src0_sel:WORD_1 src1_sel:DWORD
	v_lshlrev_b16_sdwa v19, v15, v19 dst_sel:DWORD dst_unused:UNUSED_PAD src0_sel:DWORD src1_sel:WORD_1
	v_and_b32_e32 v27, 0x3f00, v18
	v_lshlrev_b16_e32 v31, 8, v18
	v_and_b32_sdwa v32, v18, s9 dst_sel:DWORD dst_unused:UNUSED_PAD src0_sel:WORD_1 src1_sel:DWORD
	v_lshlrev_b16_sdwa v18, v15, v18 dst_sel:DWORD dst_unused:UNUSED_PAD src0_sel:DWORD src1_sel:WORD_1
	v_add_u16_e32 v21, 0xe000, v21
	v_add_u16_e32 v19, 0xe000, v19
	;; [unrolled: 1-line block ×4, first 2 shown]
	v_or_b32_sdwa v20, v20, v21 dst_sel:DWORD dst_unused:UNUSED_PAD src0_sel:DWORD src1_sel:BYTE_1
	v_or_b32_sdwa v19, v26, v19 dst_sel:DWORD dst_unused:UNUSED_PAD src0_sel:DWORD src1_sel:BYTE_1
	;; [unrolled: 1-line block ×4, first 2 shown]
	v_add_u16_e32 v20, 0xe000, v20
	v_add_u16_sdwa v19, v19, s13 dst_sel:WORD_1 dst_unused:UNUSED_PAD src0_sel:DWORD src1_sel:DWORD
	v_add_u16_e32 v21, 0xe000, v21
	v_add_u16_sdwa v18, v18, s13 dst_sel:WORD_1 dst_unused:UNUSED_PAD src0_sel:DWORD src1_sel:DWORD
	v_or_b32_e32 v19, v20, v19
	v_or_b32_e32 v18, v21, v18
	s_waitcnt vmcnt(6)
	v_dot4c_i32_i8_e32 v16, v19, v28
	s_waitcnt vmcnt(5)
	v_dot4c_i32_i8_e32 v17, v18, v29
	s_waitcnt vmcnt(4)
	v_mul_lo_u32 v16, v16, v22
	s_waitcnt vmcnt(3)
	v_mul_lo_u32 v17, v17, v23
	v_cvt_f32_i32_e32 v16, v16
	v_cvt_f32_i32_e32 v17, v17
	s_waitcnt vmcnt(2)
	v_fma_mix_f32 v16, v24, v16, 0 op_sel_hi:[1,0,0]
	s_waitcnt vmcnt(1)
	v_fma_mix_f32 v16, v25, v17, v16 op_sel_hi:[1,0,0]
	;; [unrolled: 2-line block ×3, first 2 shown]
	s_andn2_b64 exec, exec, s[0:1]
	s_cbranch_execnz .LBB284_3
; %bb.4:
	s_or_b64 exec, exec, s[0:1]
.LBB284_5:
	s_or_b64 exec, exec, s[10:11]
	v_mbcnt_lo_u32_b32 v0, -1, 0
	v_mbcnt_hi_u32_b32 v2, -1, v0
	v_and_b32_e32 v0, 64, v2
	v_add_u32_e32 v4, 64, v0
	v_xor_b32_e32 v0, 32, v2
	v_cmp_lt_i32_e32 vcc, v0, v4
	v_cndmask_b32_e32 v0, v2, v0, vcc
	v_lshlrev_b32_e32 v0, 2, v0
	ds_bpermute_b32 v0, v0, v9
	v_xor_b32_e32 v5, 16, v2
	v_cmp_lt_i32_e32 vcc, v5, v4
	v_cndmask_b32_e32 v5, v2, v5, vcc
	v_lshlrev_b32_e32 v5, 2, v5
	s_waitcnt lgkmcnt(0)
	v_add_f32_e32 v0, v9, v0
	ds_bpermute_b32 v5, v5, v0
	v_xor_b32_e32 v6, 8, v2
	v_cmp_lt_i32_e32 vcc, v6, v4
	s_waitcnt lgkmcnt(0)
	v_add_f32_e32 v0, v0, v5
	v_cndmask_b32_e32 v5, v2, v6, vcc
	v_lshlrev_b32_e32 v5, 2, v5
	ds_bpermute_b32 v5, v5, v0
	v_xor_b32_e32 v6, 4, v2
	v_cmp_lt_i32_e32 vcc, v6, v4
	s_waitcnt lgkmcnt(0)
	v_add_f32_e32 v0, v0, v5
	v_cndmask_b32_e32 v5, v2, v6, vcc
	v_lshlrev_b32_e32 v5, 2, v5
	;; [unrolled: 7-line block ×3, first 2 shown]
	ds_bpermute_b32 v5, v5, v0
	v_xor_b32_e32 v6, 1, v2
	v_cmp_lt_i32_e32 vcc, v6, v4
	v_cndmask_b32_e32 v2, v2, v6, vcc
	v_lshlrev_b32_e32 v2, 2, v2
	s_waitcnt lgkmcnt(0)
	v_add_f32_e32 v0, v0, v5
	ds_bpermute_b32 v2, v2, v0
	v_cmp_eq_u32_e32 vcc, 0, v3
	s_and_b64 exec, exec, vcc
	s_cbranch_execz .LBB284_7
; %bb.6:
	s_waitcnt lgkmcnt(0)
	v_add_f32_e32 v0, v0, v2
	v_bfe_u32 v2, v0, 16, 1
	s_movk_i32 s0, 0x7fff
	v_add3_u32 v2, v0, v2, s0
	s_mul_i32 s0, s8, s2
	v_cmp_o_f32_e32 vcc, v0, v0
	v_add_u32_e32 v0, s0, v1
	v_mov_b32_e32 v1, 0
	v_lshrrev_b32_e32 v2, 16, v2
	v_mov_b32_e32 v3, 0x7fc0
	v_lshlrev_b64 v[0:1], 1, v[0:1]
	v_cndmask_b32_e32 v2, v3, v2, vcc
	v_mov_b32_e32 v3, s7
	v_add_co_u32_e32 v0, vcc, s6, v0
	v_addc_co_u32_e32 v1, vcc, v3, v1, vcc
	global_store_short v[0:1], v2, off
.LBB284_7:
	s_endpgm
	.section	.rodata,"a",@progbits
	.p2align	6, 0x0
	.amdhsa_kernel _ZL9moe_vec_qIN3c108BFloat16ELi256ELi32E10block_q6_KLi1EXadL_ZL17vec_dot_q6_K_q8_1PKvPK10block_q8_1RKiEEEvS4_S4_PT_PS8_iiii
		.amdhsa_group_segment_fixed_size 0
		.amdhsa_private_segment_fixed_size 0
		.amdhsa_kernarg_size 304
		.amdhsa_user_sgpr_count 6
		.amdhsa_user_sgpr_private_segment_buffer 1
		.amdhsa_user_sgpr_dispatch_ptr 0
		.amdhsa_user_sgpr_queue_ptr 0
		.amdhsa_user_sgpr_kernarg_segment_ptr 1
		.amdhsa_user_sgpr_dispatch_id 0
		.amdhsa_user_sgpr_flat_scratch_init 0
		.amdhsa_user_sgpr_kernarg_preload_length 0
		.amdhsa_user_sgpr_kernarg_preload_offset 0
		.amdhsa_user_sgpr_private_segment_size 0
		.amdhsa_uses_dynamic_stack 0
		.amdhsa_system_sgpr_private_segment_wavefront_offset 0
		.amdhsa_system_sgpr_workgroup_id_x 1
		.amdhsa_system_sgpr_workgroup_id_y 0
		.amdhsa_system_sgpr_workgroup_id_z 1
		.amdhsa_system_sgpr_workgroup_info 0
		.amdhsa_system_vgpr_workitem_id 1
		.amdhsa_next_free_vgpr 33
		.amdhsa_next_free_sgpr 20
		.amdhsa_accum_offset 36
		.amdhsa_reserve_vcc 1
		.amdhsa_reserve_flat_scratch 0
		.amdhsa_float_round_mode_32 0
		.amdhsa_float_round_mode_16_64 0
		.amdhsa_float_denorm_mode_32 3
		.amdhsa_float_denorm_mode_16_64 3
		.amdhsa_dx10_clamp 1
		.amdhsa_ieee_mode 1
		.amdhsa_fp16_overflow 0
		.amdhsa_tg_split 0
		.amdhsa_exception_fp_ieee_invalid_op 0
		.amdhsa_exception_fp_denorm_src 0
		.amdhsa_exception_fp_ieee_div_zero 0
		.amdhsa_exception_fp_ieee_overflow 0
		.amdhsa_exception_fp_ieee_underflow 0
		.amdhsa_exception_fp_ieee_inexact 0
		.amdhsa_exception_int_div_zero 0
	.end_amdhsa_kernel
	.section	.text._ZL9moe_vec_qIN3c108BFloat16ELi256ELi32E10block_q6_KLi1EXadL_ZL17vec_dot_q6_K_q8_1PKvPK10block_q8_1RKiEEEvS4_S4_PT_PS8_iiii,"axG",@progbits,_ZL9moe_vec_qIN3c108BFloat16ELi256ELi32E10block_q6_KLi1EXadL_ZL17vec_dot_q6_K_q8_1PKvPK10block_q8_1RKiEEEvS4_S4_PT_PS8_iiii,comdat
.Lfunc_end284:
	.size	_ZL9moe_vec_qIN3c108BFloat16ELi256ELi32E10block_q6_KLi1EXadL_ZL17vec_dot_q6_K_q8_1PKvPK10block_q8_1RKiEEEvS4_S4_PT_PS8_iiii, .Lfunc_end284-_ZL9moe_vec_qIN3c108BFloat16ELi256ELi32E10block_q6_KLi1EXadL_ZL17vec_dot_q6_K_q8_1PKvPK10block_q8_1RKiEEEvS4_S4_PT_PS8_iiii
                                        ; -- End function
	.section	.AMDGPU.csdata,"",@progbits
; Kernel info:
; codeLenInByte = 1228
; NumSgprs: 24
; NumVgprs: 33
; NumAgprs: 0
; TotalNumVgprs: 33
; ScratchSize: 0
; MemoryBound: 0
; FloatMode: 240
; IeeeMode: 1
; LDSByteSize: 0 bytes/workgroup (compile time only)
; SGPRBlocks: 2
; VGPRBlocks: 4
; NumSGPRsForWavesPerEU: 24
; NumVGPRsForWavesPerEU: 33
; AccumOffset: 36
; Occupancy: 8
; WaveLimiterHint : 1
; COMPUTE_PGM_RSRC2:SCRATCH_EN: 0
; COMPUTE_PGM_RSRC2:USER_SGPR: 6
; COMPUTE_PGM_RSRC2:TRAP_HANDLER: 0
; COMPUTE_PGM_RSRC2:TGID_X_EN: 1
; COMPUTE_PGM_RSRC2:TGID_Y_EN: 0
; COMPUTE_PGM_RSRC2:TGID_Z_EN: 1
; COMPUTE_PGM_RSRC2:TIDIG_COMP_CNT: 1
; COMPUTE_PGM_RSRC3_GFX90A:ACCUM_OFFSET: 8
; COMPUTE_PGM_RSRC3_GFX90A:TG_SPLIT: 0
	.section	.text._ZL9moe_vec_qIN3c108BFloat16ELi256ELi8E13block_iq2_xxsLi1EXadL_ZL20vec_dot_iq2_xxs_q8_1PKvPK10block_q8_1RKiEEEvS4_S4_PT_PS8_iiii,"axG",@progbits,_ZL9moe_vec_qIN3c108BFloat16ELi256ELi8E13block_iq2_xxsLi1EXadL_ZL20vec_dot_iq2_xxs_q8_1PKvPK10block_q8_1RKiEEEvS4_S4_PT_PS8_iiii,comdat
	.globl	_ZL9moe_vec_qIN3c108BFloat16ELi256ELi8E13block_iq2_xxsLi1EXadL_ZL20vec_dot_iq2_xxs_q8_1PKvPK10block_q8_1RKiEEEvS4_S4_PT_PS8_iiii ; -- Begin function _ZL9moe_vec_qIN3c108BFloat16ELi256ELi8E13block_iq2_xxsLi1EXadL_ZL20vec_dot_iq2_xxs_q8_1PKvPK10block_q8_1RKiEEEvS4_S4_PT_PS8_iiii
	.p2align	8
	.type	_ZL9moe_vec_qIN3c108BFloat16ELi256ELi8E13block_iq2_xxsLi1EXadL_ZL20vec_dot_iq2_xxs_q8_1PKvPK10block_q8_1RKiEEEvS4_S4_PT_PS8_iiii,@function
_ZL9moe_vec_qIN3c108BFloat16ELi256ELi8E13block_iq2_xxsLi1EXadL_ZL20vec_dot_iq2_xxs_q8_1PKvPK10block_q8_1RKiEEEvS4_S4_PT_PS8_iiii: ; @_ZL9moe_vec_qIN3c108BFloat16ELi256ELi8E13block_iq2_xxsLi1EXadL_ZL20vec_dot_iq2_xxs_q8_1PKvPK10block_q8_1RKiEEEvS4_S4_PT_PS8_iiii
; %bb.0:
	s_load_dword s0, s[4:5], 0x3c
	s_load_dwordx4 s[48:51], s[4:5], 0x20
	v_bfe_u32 v1, v0, 10, 10
	s_waitcnt lgkmcnt(0)
	s_lshr_b32 s0, s0, 16
	s_mul_i32 s6, s6, s0
	v_add_u32_e32 v6, s6, v1
	v_cmp_gt_u32_e32 vcc, s50, v6
	s_and_saveexec_b64 s[0:1], vcc
	s_cbranch_execz .LBB285_7
; %bb.1:
	s_load_dwordx2 s[54:55], s[4:5], 0x10
	s_ashr_i32 s0, s49, 31
	s_lshr_b32 s0, s0, 24
	s_add_i32 s0, s49, s0
	v_and_b32_e32 v7, 0x3ff, v0
	s_ashr_i32 s33, s0, 8
	v_lshrrev_b32_e32 v8, 3, v7
	s_mov_b32 s52, s7
	v_cmp_gt_u32_e32 vcc, s33, v8
	v_mov_b32_e32 v9, 0
	s_and_saveexec_b64 s[56:57], vcc
	s_cbranch_execz .LBB285_5
; %bb.2:
	s_load_dwordx2 s[0:1], s[4:5], 0x18
	v_cvt_f32_u32_e32 v0, s48
	s_mov_b32 s53, 0
	s_lshl_b64 s[2:3], s[52:53], 2
	s_movk_i32 s60, 0x42
	s_waitcnt lgkmcnt(0)
	s_add_u32 s6, s0, s2
	v_rcp_iflag_f32_e32 v0, v0
	s_addc_u32 s7, s1, s3
	s_load_dword s8, s[6:7], 0x0
	s_load_dwordx4 s[0:3], s[4:5], 0x0
	s_mul_i32 s4, s33, s50
	v_mul_f32_e32 v0, 0x4f7ffffe, v0
	v_cvt_u32_f32_e32 v0, v0
	s_waitcnt lgkmcnt(0)
	s_mul_i32 s4, s4, s8
	s_mul_hi_i32 s5, s4, 0x42
	s_mulk_i32 s4, 0x42
	s_add_u32 s0, s0, s4
	s_addc_u32 s1, s1, s5
	s_sub_i32 s4, 0, s48
	v_readfirstlane_b32 s5, v0
	s_mul_i32 s4, s4, s5
	s_mul_hi_u32 s4, s5, s4
	s_add_i32 s5, s5, s4
	s_mul_hi_u32 s4, s52, s5
	s_mul_i32 s5, s4, s48
	s_sub_i32 s5, s52, s5
	s_add_i32 s6, s4, 1
	s_sub_i32 s7, s5, s48
	s_cmp_ge_u32 s5, s48
	s_cselect_b32 s4, s6, s4
	s_cselect_b32 s5, s7, s5
	s_add_i32 s6, s4, 1
	s_cmp_ge_u32 s5, s48
	s_cselect_b32 s4, s6, s4
	s_mul_i32 s4, s4, s51
	s_mov_b32 s5, s53
	s_lshl_b64 s[4:5], s[4:5], 2
	s_add_u32 s2, s2, s4
	v_and_b32_e32 v0, 7, v7
	s_addc_u32 s3, s3, s5
	v_lshlrev_b32_e32 v4, 2, v0
	v_mul_lo_u32 v10, v6, s33
	v_mov_b32_e32 v9, 0
	v_mad_u64_u32 v[0:1], s[2:3], v0, 36, s[2:3]
	v_lshlrev_b32_e32 v11, 3, v8
	s_mov_b64 s[58:59], 0
	v_pk_mov_b32 v[2:3], s[0:1], s[0:1] op_sel:[0,1]
	v_lshlrev_b32_e32 v12, 1, v4
	s_mov_b32 s51, 0xffff
	v_mov_b32_e32 v13, 3
.LBB285_3:                              ; =>This Inner Loop Header: Depth=1
	v_add_u32_e32 v14, v10, v8
	v_mad_i64_i32 v[4:5], s[0:1], v11, 36, v[0:1]
	s_getpc_b64 s[2:3]
	s_add_u32 s2, s2, _ZL11iq2xxs_grid@rel32@lo+4
	s_addc_u32 s3, s3, _ZL11iq2xxs_grid@rel32@hi+12
	v_add_u32_e32 v8, 8, v8
	v_mad_i64_i32 v[22:23], s[0:1], v14, s60, v[2:3]
	s_getpc_b64 s[6:7]
	s_add_u32 s6, s6, _ZL12ksigns_iq2xs@rel32@lo+4
	s_addc_u32 s7, s7, _ZL12ksigns_iq2xs@rel32@hi+12
	global_load_dwordx4 v[14:17], v[4:5], off offset:20
	global_load_dwordx4 v[18:21], v[4:5], off offset:4
	global_load_ushort v24, v[4:5], off
	v_cmp_le_u32_e32 vcc, s33, v8
	v_add_co_u32_e64 v4, s[0:1], v22, v12
	s_or_b64 s[58:59], vcc, s[58:59]
	v_addc_co_u32_e64 v5, vcc, 0, v23, s[0:1]
	global_load_ushort v22, v[22:23], off
	s_nop 0
	global_load_dword v23, v[4:5], off offset:2
	global_load_dword v28, v[4:5], off offset:6
	v_add_u32_e32 v11, 64, v11
	s_waitcnt vmcnt(3)
	v_cvt_f32_f16_e32 v29, v24
	s_waitcnt vmcnt(1)
	v_lshlrev_b32_sdwa v31, v13, v23 dst_sel:DWORD dst_unused:UNUSED_PAD src0_sel:DWORD src1_sel:BYTE_0
	v_cvt_f32_f16_e32 v30, v22
	v_lshlrev_b32_sdwa v33, v13, v23 dst_sel:DWORD dst_unused:UNUSED_PAD src0_sel:DWORD src1_sel:BYTE_1
	v_lshlrev_b32_sdwa v35, v13, v23 dst_sel:DWORD dst_unused:UNUSED_PAD src0_sel:DWORD src1_sel:BYTE_2
	v_lshlrev_b32_sdwa v36, v13, v23 dst_sel:DWORD dst_unused:UNUSED_PAD src0_sel:DWORD src1_sel:BYTE_3
	global_load_dwordx2 v[4:5], v31, s[2:3]
	global_load_dwordx2 v[22:23], v33, s[2:3]
	;; [unrolled: 1-line block ×4, first 2 shown]
	s_waitcnt vmcnt(4)
	v_and_b32_e32 v32, 0x7f, v28
	v_bfe_u32 v34, v28, 7, 7
	v_bfe_u32 v37, v28, 21, 7
	global_load_sbyte v52, v32, s[6:7]
	global_load_sbyte v53, v34, s[6:7]
	global_load_sbyte v54, v37, s[6:7]
	v_lshrrev_b32_e32 v51, 28, v28
	v_cmp_gt_u32_e64 s[0:1], 64, v32
	v_cmp_gt_u32_e32 vcc, 64, v37
	v_cmp_gt_u32_e64 s[2:3], 64, v34
	s_waitcnt vmcnt(6)
	v_mul_i32_i24_sdwa v31, v4, sext(v18) dst_sel:DWORD dst_unused:UNUSED_PAD src0_sel:BYTE_0 src1_sel:BYTE_0
	v_mul_i32_i24_sdwa v33, v4, sext(v18) dst_sel:DWORD dst_unused:UNUSED_PAD src0_sel:BYTE_1 src1_sel:BYTE_1
	v_mul_i32_i24_sdwa v35, v4, sext(v18) dst_sel:DWORD dst_unused:UNUSED_PAD src0_sel:BYTE_2 src1_sel:BYTE_2
	v_mul_i32_i24_sdwa v4, v4, sext(v18) dst_sel:DWORD dst_unused:UNUSED_PAD src0_sel:BYTE_3 src1_sel:BYTE_3
	v_mul_i32_i24_sdwa v18, v5, sext(v19) dst_sel:DWORD dst_unused:UNUSED_PAD src0_sel:BYTE_0 src1_sel:BYTE_0
	v_mul_i32_i24_sdwa v36, v5, sext(v19) dst_sel:DWORD dst_unused:UNUSED_PAD src0_sel:BYTE_1 src1_sel:BYTE_1
	v_mul_i32_i24_sdwa v38, v5, sext(v19) dst_sel:DWORD dst_unused:UNUSED_PAD src0_sel:BYTE_2 src1_sel:BYTE_2
	v_mul_i32_i24_sdwa v5, v5, sext(v19) dst_sel:DWORD dst_unused:UNUSED_PAD src0_sel:BYTE_3 src1_sel:BYTE_3
	s_waitcnt vmcnt(5)
	v_mul_i32_i24_sdwa v19, v22, sext(v20) dst_sel:DWORD dst_unused:UNUSED_PAD src0_sel:BYTE_0 src1_sel:BYTE_0
	v_mul_i32_i24_sdwa v39, v22, sext(v20) dst_sel:DWORD dst_unused:UNUSED_PAD src0_sel:BYTE_1 src1_sel:BYTE_1
	v_mul_i32_i24_sdwa v40, v22, sext(v20) dst_sel:DWORD dst_unused:UNUSED_PAD src0_sel:BYTE_2 src1_sel:BYTE_2
	v_mul_i32_i24_sdwa v20, v22, sext(v20) dst_sel:DWORD dst_unused:UNUSED_PAD src0_sel:BYTE_3 src1_sel:BYTE_3
	v_mul_i32_i24_sdwa v22, v23, sext(v21) dst_sel:DWORD dst_unused:UNUSED_PAD src0_sel:BYTE_0 src1_sel:BYTE_0
	v_mul_i32_i24_sdwa v41, v23, sext(v21) dst_sel:DWORD dst_unused:UNUSED_PAD src0_sel:BYTE_1 src1_sel:BYTE_1
	v_mul_i32_i24_sdwa v42, v23, sext(v21) dst_sel:DWORD dst_unused:UNUSED_PAD src0_sel:BYTE_2 src1_sel:BYTE_2
	v_mul_i32_i24_sdwa v21, v23, sext(v21) dst_sel:DWORD dst_unused:UNUSED_PAD src0_sel:BYTE_3 src1_sel:BYTE_3
	s_waitcnt vmcnt(4)
	v_mul_i32_i24_sdwa v23, v24, sext(v14) dst_sel:DWORD dst_unused:UNUSED_PAD src0_sel:BYTE_0 src1_sel:BYTE_0
	v_mul_i32_i24_sdwa v43, v24, sext(v14) dst_sel:DWORD dst_unused:UNUSED_PAD src0_sel:BYTE_1 src1_sel:BYTE_1
	v_mul_i32_i24_sdwa v44, v24, sext(v14) dst_sel:DWORD dst_unused:UNUSED_PAD src0_sel:BYTE_2 src1_sel:BYTE_2
	v_mul_i32_i24_sdwa v14, v24, sext(v14) dst_sel:DWORD dst_unused:UNUSED_PAD src0_sel:BYTE_3 src1_sel:BYTE_3
	v_mul_i32_i24_sdwa v24, v25, sext(v15) dst_sel:DWORD dst_unused:UNUSED_PAD src0_sel:BYTE_0 src1_sel:BYTE_0
	v_mul_i32_i24_sdwa v45, v25, sext(v15) dst_sel:DWORD dst_unused:UNUSED_PAD src0_sel:BYTE_1 src1_sel:BYTE_1
	v_mul_i32_i24_sdwa v46, v25, sext(v15) dst_sel:DWORD dst_unused:UNUSED_PAD src0_sel:BYTE_2 src1_sel:BYTE_2
	v_mul_i32_i24_sdwa v15, v25, sext(v15) dst_sel:DWORD dst_unused:UNUSED_PAD src0_sel:BYTE_3 src1_sel:BYTE_3
	s_waitcnt vmcnt(3)
	v_mul_i32_i24_sdwa v25, v26, sext(v16) dst_sel:DWORD dst_unused:UNUSED_PAD src0_sel:BYTE_0 src1_sel:BYTE_0
	v_mul_i32_i24_sdwa v47, v26, sext(v16) dst_sel:DWORD dst_unused:UNUSED_PAD src0_sel:BYTE_1 src1_sel:BYTE_1
	v_mul_i32_i24_sdwa v48, v26, sext(v16) dst_sel:DWORD dst_unused:UNUSED_PAD src0_sel:BYTE_2 src1_sel:BYTE_2
	v_mul_i32_i24_sdwa v16, v26, sext(v16) dst_sel:DWORD dst_unused:UNUSED_PAD src0_sel:BYTE_3 src1_sel:BYTE_3
	v_mul_i32_i24_sdwa v26, v27, sext(v17) dst_sel:DWORD dst_unused:UNUSED_PAD src0_sel:BYTE_0 src1_sel:BYTE_0
	v_mul_i32_i24_sdwa v49, v27, sext(v17) dst_sel:DWORD dst_unused:UNUSED_PAD src0_sel:BYTE_1 src1_sel:BYTE_1
	v_mul_i32_i24_sdwa v50, v27, sext(v17) dst_sel:DWORD dst_unused:UNUSED_PAD src0_sel:BYTE_2 src1_sel:BYTE_2
	v_mul_i32_i24_sdwa v17, v27, sext(v17) dst_sel:DWORD dst_unused:UNUSED_PAD src0_sel:BYTE_3 src1_sel:BYTE_3
	v_and_b32_e32 v27, 0xffff0000, v28
	v_and_or_b32 v27, v28, s51, v27
	v_bfe_u32 v27, v27, 14, 7
	v_cmp_gt_u32_e64 s[4:5], 64, v27
	global_load_sbyte v27, v27, s[6:7]
	s_waitcnt vmcnt(3)
	v_and_b32_e32 v32, 2, v52
	v_and_b32_e32 v37, 8, v52
	v_cvt_f32_ubyte0_e32 v28, v51
	v_and_b32_e32 v34, 4, v52
	v_and_b32_e32 v51, 16, v52
	v_cmp_eq_u16_e64 s[6:7], 0, v32
	v_and_b32_e32 v32, 32, v52
	v_cmp_eq_u16_e64 s[10:11], 0, v37
	s_waitcnt vmcnt(2)
	v_and_b32_e32 v37, 2, v53
	v_cmp_eq_u16_e64 s[8:9], 0, v34
	v_and_b32_e32 v34, 1, v53
	v_cmp_eq_u16_e64 s[12:13], 0, v51
	;; [unrolled: 2-line block ×4, first 2 shown]
	s_waitcnt vmcnt(1)
	v_and_b32_e32 v37, 1, v54
	v_cmp_gt_i16_e64 s[34:35], 0, v52
	v_and_b32_e32 v52, 1, v52
	v_cmp_eq_u16_e64 s[16:17], 0, v34
	v_and_b32_e32 v34, 16, v53
	v_cmp_gt_i16_e64 s[18:19], 0, v53
	v_and_b32_e32 v53, 32, v53
	v_cmp_eq_u16_e64 s[22:23], 0, v51
	v_and_b32_e32 v51, 2, v54
	v_cmp_eq_u16_e64 s[24:25], 0, v32
	;; [unrolled: 2-line block ×3, first 2 shown]
	v_sub_u32_e32 v37, 0, v33
	v_cmp_eq_u16_e64 s[48:49], 0, v52
	v_sub_u32_e32 v52, 0, v31
	v_cmp_eq_u16_e64 s[26:27], 0, v34
	v_and_b32_e32 v34, 8, v54
	v_cmp_eq_u16_e64 s[28:29], 0, v53
	v_and_b32_e32 v53, 16, v54
	v_cmp_gt_i16_e64 s[30:31], 0, v54
	v_and_b32_e32 v54, 32, v54
	v_cmp_eq_u16_e64 s[38:39], 0, v51
	v_sub_u32_e32 v51, 0, v35
	v_cmp_eq_u16_e64 s[40:41], 0, v32
	v_sub_u32_e32 v32, 0, v4
	v_cndmask_b32_e64 v31, v52, v31, s[48:49]
	v_sub_u32_e32 v52, 0, v19
	v_cndmask_b32_e64 v33, v37, v33, s[6:7]
	v_cmp_eq_u16_e64 s[42:43], 0, v34
	v_sub_u32_e32 v34, 0, v18
	v_cmp_eq_u16_e64 s[44:45], 0, v53
	v_sub_u32_e32 v53, 0, v36
	;; [unrolled: 2-line block ×3, first 2 shown]
	v_cndmask_b32_e64 v35, v51, v35, s[8:9]
	v_cndmask_b32_e64 v4, v32, v4, s[10:11]
	;; [unrolled: 1-line block ×3, first 2 shown]
	v_sub_u32_e32 v52, 0, v21
	v_add_u32_e32 v31, v33, v31
	v_cndmask_b32_e64 v18, v34, v18, s[12:13]
	v_cndmask_b32_e64 v36, v53, v36, s[14:15]
	v_cndmask_b32_e64 v38, v54, v38, s[0:1]
	v_sub_u32_e32 v54, 0, v5
	v_cndmask_b32_e64 v21, v21, v52, s[18:19]
	v_sub_u32_e32 v52, 0, v46
	v_add3_u32 v4, v31, v35, v4
	v_sub_u32_e32 v37, 0, v39
	v_cndmask_b32_e64 v5, v5, v54, s[34:35]
	v_cndmask_b32_e64 v46, v52, v46, s[4:5]
	v_sub_u32_e32 v52, 0, v50
	v_add3_u32 v4, v4, v18, v36
	v_sub_u32_e32 v51, 0, v40
	v_sub_u32_e32 v32, 0, v20
	v_cndmask_b32_e64 v37, v37, v39, s[20:21]
	v_cndmask_b32_e32 v50, v52, v50, vcc
	v_sub_u32_e32 v52, 0, v15
	v_add3_u32 v4, v4, v38, v5
	v_sub_u32_e32 v34, 0, v22
	v_sub_u32_e32 v53, 0, v41
	v_cndmask_b32_e64 v40, v51, v40, s[22:23]
	v_cndmask_b32_e64 v20, v32, v20, s[24:25]
	v_add3_u32 v4, v4, v19, v37
	v_sub_u32_e32 v54, 0, v42
	s_waitcnt vmcnt(0)
	v_cmp_gt_i16_e32 vcc, 0, v27
	v_cndmask_b32_e32 v15, v15, v52, vcc
	v_and_b32_e32 v52, 1, v27
	v_sub_u32_e32 v51, 0, v47
	v_sub_u32_e32 v32, 0, v48
	v_cndmask_b32_e64 v22, v34, v22, s[26:27]
	v_cndmask_b32_e64 v41, v53, v41, s[28:29]
	v_and_b32_e32 v33, 2, v27
	v_cmp_eq_u16_e32 vcc, 0, v52
	v_and_b32_e32 v52, 4, v27
	v_add3_u32 v4, v4, v40, v20
	v_sub_u32_e32 v39, 0, v25
	v_sub_u32_e32 v34, 0, v16
	;; [unrolled: 1-line block ×3, first 2 shown]
	v_cndmask_b32_e64 v42, v54, v42, s[2:3]
	v_cndmask_b32_e64 v47, v51, v47, s[38:39]
	v_sub_u32_e32 v51, 0, v23
	v_cndmask_b32_e64 v32, v32, v48, s[40:41]
	v_sub_u32_e32 v48, 0, v43
	v_cmp_eq_u16_e64 s[0:1], 0, v33
	v_and_b32_e32 v33, 8, v27
	v_cmp_eq_u16_e64 s[2:3], 0, v52
	v_and_b32_e32 v52, 16, v27
	v_and_b32_e32 v27, 32, v27
	v_add3_u32 v4, v4, v22, v41
	v_sub_u32_e32 v54, 0, v49
	v_cndmask_b32_e64 v25, v39, v25, s[36:37]
	v_sub_u32_e32 v39, 0, v17
	v_cndmask_b32_e64 v16, v34, v16, s[42:43]
	;; [unrolled: 2-line block ×3, first 2 shown]
	v_sub_u32_e32 v53, 0, v14
	v_cmp_eq_u16_e64 s[4:5], 0, v33
	v_cmp_eq_u16_e64 s[8:9], 0, v27
	v_cndmask_b32_e32 v23, v51, v23, vcc
	v_cndmask_b32_e64 v27, v48, v43, s[0:1]
	v_add3_u32 v4, v4, v42, v21
	v_cndmask_b32_e64 v49, v54, v49, s[46:47]
	v_sub_u32_e32 v54, 0, v24
	v_cndmask_b32_e64 v17, v17, v39, s[30:31]
	v_sub_u32_e32 v39, 0, v45
	v_cmp_eq_u16_e64 s[6:7], 0, v52
	v_cndmask_b32_e64 v33, v34, v44, s[2:3]
	v_cndmask_b32_e64 v14, v53, v14, s[4:5]
	v_add3_u32 v4, v4, v23, v27
	v_cndmask_b32_e64 v24, v54, v24, s[6:7]
	v_cndmask_b32_e64 v34, v39, v45, s[8:9]
	v_add3_u32 v4, v4, v33, v14
	v_add3_u32 v4, v4, v24, v34
	;; [unrolled: 1-line block ×7, first 2 shown]
	v_add_f32_e32 v28, 0.5, v28
	v_cvt_f32_i32_e32 v4, v4
	v_mul_f32_e32 v5, v28, v30
	v_mul_f32_e32 v5, v5, v29
	;; [unrolled: 1-line block ×3, first 2 shown]
	v_fmac_f32_e32 v9, v5, v4
	s_andn2_b64 exec, exec, s[58:59]
	s_cbranch_execnz .LBB285_3
; %bb.4:
	s_or_b64 exec, exec, s[58:59]
.LBB285_5:
	s_or_b64 exec, exec, s[56:57]
	v_mbcnt_lo_u32_b32 v0, -1, 0
	v_mbcnt_hi_u32_b32 v1, -1, v0
	v_and_b32_e32 v0, 64, v1
	v_add_u32_e32 v2, 64, v0
	v_xor_b32_e32 v0, 32, v1
	v_cmp_lt_i32_e32 vcc, v0, v2
	v_cndmask_b32_e32 v0, v1, v0, vcc
	v_lshlrev_b32_e32 v0, 2, v0
	ds_bpermute_b32 v0, v0, v9
	v_xor_b32_e32 v3, 16, v1
	v_cmp_lt_i32_e32 vcc, v3, v2
	v_cndmask_b32_e32 v3, v1, v3, vcc
	v_lshlrev_b32_e32 v3, 2, v3
	s_waitcnt lgkmcnt(0)
	v_add_f32_e32 v0, v9, v0
	ds_bpermute_b32 v3, v3, v0
	v_xor_b32_e32 v4, 8, v1
	v_cmp_lt_i32_e32 vcc, v4, v2
	s_waitcnt lgkmcnt(0)
	v_add_f32_e32 v0, v0, v3
	v_cndmask_b32_e32 v3, v1, v4, vcc
	v_lshlrev_b32_e32 v3, 2, v3
	ds_bpermute_b32 v3, v3, v0
	v_xor_b32_e32 v4, 4, v1
	v_cmp_lt_i32_e32 vcc, v4, v2
	s_waitcnt lgkmcnt(0)
	v_add_f32_e32 v0, v0, v3
	v_cndmask_b32_e32 v3, v1, v4, vcc
	v_lshlrev_b32_e32 v3, 2, v3
	;; [unrolled: 7-line block ×3, first 2 shown]
	ds_bpermute_b32 v3, v3, v0
	v_xor_b32_e32 v4, 1, v1
	v_cmp_lt_i32_e32 vcc, v4, v2
	v_cndmask_b32_e32 v1, v1, v4, vcc
	v_lshlrev_b32_e32 v1, 2, v1
	s_waitcnt lgkmcnt(0)
	v_add_f32_e32 v0, v0, v3
	ds_bpermute_b32 v1, v1, v0
	v_cmp_eq_u32_e32 vcc, 0, v7
	s_and_b64 exec, exec, vcc
	s_cbranch_execz .LBB285_7
; %bb.6:
	s_waitcnt lgkmcnt(0)
	v_add_f32_e32 v0, v0, v1
	v_bfe_u32 v1, v0, 16, 1
	s_movk_i32 s0, 0x7fff
	v_add3_u32 v1, v0, v1, s0
	v_lshrrev_b32_e32 v1, 16, v1
	v_mov_b32_e32 v2, 0x7fc0
	v_cmp_o_f32_e32 vcc, v0, v0
	s_mul_i32 s0, s52, s50
	v_cndmask_b32_e32 v2, v2, v1, vcc
	v_add_u32_e32 v0, s0, v6
	v_mov_b32_e32 v1, 0
	v_lshlrev_b64 v[0:1], 1, v[0:1]
	v_mov_b32_e32 v3, s55
	v_add_co_u32_e32 v0, vcc, s54, v0
	v_addc_co_u32_e32 v1, vcc, v3, v1, vcc
	global_store_short v[0:1], v2, off
.LBB285_7:
	s_endpgm
	.section	.rodata,"a",@progbits
	.p2align	6, 0x0
	.amdhsa_kernel _ZL9moe_vec_qIN3c108BFloat16ELi256ELi8E13block_iq2_xxsLi1EXadL_ZL20vec_dot_iq2_xxs_q8_1PKvPK10block_q8_1RKiEEEvS4_S4_PT_PS8_iiii
		.amdhsa_group_segment_fixed_size 0
		.amdhsa_private_segment_fixed_size 0
		.amdhsa_kernarg_size 304
		.amdhsa_user_sgpr_count 6
		.amdhsa_user_sgpr_private_segment_buffer 1
		.amdhsa_user_sgpr_dispatch_ptr 0
		.amdhsa_user_sgpr_queue_ptr 0
		.amdhsa_user_sgpr_kernarg_segment_ptr 1
		.amdhsa_user_sgpr_dispatch_id 0
		.amdhsa_user_sgpr_flat_scratch_init 0
		.amdhsa_user_sgpr_kernarg_preload_length 0
		.amdhsa_user_sgpr_kernarg_preload_offset 0
		.amdhsa_user_sgpr_private_segment_size 0
		.amdhsa_uses_dynamic_stack 0
		.amdhsa_system_sgpr_private_segment_wavefront_offset 0
		.amdhsa_system_sgpr_workgroup_id_x 1
		.amdhsa_system_sgpr_workgroup_id_y 0
		.amdhsa_system_sgpr_workgroup_id_z 1
		.amdhsa_system_sgpr_workgroup_info 0
		.amdhsa_system_vgpr_workitem_id 1
		.amdhsa_next_free_vgpr 55
		.amdhsa_next_free_sgpr 61
		.amdhsa_accum_offset 56
		.amdhsa_reserve_vcc 1
		.amdhsa_reserve_flat_scratch 0
		.amdhsa_float_round_mode_32 0
		.amdhsa_float_round_mode_16_64 0
		.amdhsa_float_denorm_mode_32 3
		.amdhsa_float_denorm_mode_16_64 3
		.amdhsa_dx10_clamp 1
		.amdhsa_ieee_mode 1
		.amdhsa_fp16_overflow 0
		.amdhsa_tg_split 0
		.amdhsa_exception_fp_ieee_invalid_op 0
		.amdhsa_exception_fp_denorm_src 0
		.amdhsa_exception_fp_ieee_div_zero 0
		.amdhsa_exception_fp_ieee_overflow 0
		.amdhsa_exception_fp_ieee_underflow 0
		.amdhsa_exception_fp_ieee_inexact 0
		.amdhsa_exception_int_div_zero 0
	.end_amdhsa_kernel
	.section	.text._ZL9moe_vec_qIN3c108BFloat16ELi256ELi8E13block_iq2_xxsLi1EXadL_ZL20vec_dot_iq2_xxs_q8_1PKvPK10block_q8_1RKiEEEvS4_S4_PT_PS8_iiii,"axG",@progbits,_ZL9moe_vec_qIN3c108BFloat16ELi256ELi8E13block_iq2_xxsLi1EXadL_ZL20vec_dot_iq2_xxs_q8_1PKvPK10block_q8_1RKiEEEvS4_S4_PT_PS8_iiii,comdat
.Lfunc_end285:
	.size	_ZL9moe_vec_qIN3c108BFloat16ELi256ELi8E13block_iq2_xxsLi1EXadL_ZL20vec_dot_iq2_xxs_q8_1PKvPK10block_q8_1RKiEEEvS4_S4_PT_PS8_iiii, .Lfunc_end285-_ZL9moe_vec_qIN3c108BFloat16ELi256ELi8E13block_iq2_xxsLi1EXadL_ZL20vec_dot_iq2_xxs_q8_1PKvPK10block_q8_1RKiEEEvS4_S4_PT_PS8_iiii
                                        ; -- End function
	.section	.AMDGPU.csdata,"",@progbits
; Kernel info:
; codeLenInByte = 2148
; NumSgprs: 65
; NumVgprs: 55
; NumAgprs: 0
; TotalNumVgprs: 55
; ScratchSize: 0
; MemoryBound: 0
; FloatMode: 240
; IeeeMode: 1
; LDSByteSize: 0 bytes/workgroup (compile time only)
; SGPRBlocks: 8
; VGPRBlocks: 6
; NumSGPRsForWavesPerEU: 65
; NumVGPRsForWavesPerEU: 55
; AccumOffset: 56
; Occupancy: 8
; WaveLimiterHint : 1
; COMPUTE_PGM_RSRC2:SCRATCH_EN: 0
; COMPUTE_PGM_RSRC2:USER_SGPR: 6
; COMPUTE_PGM_RSRC2:TRAP_HANDLER: 0
; COMPUTE_PGM_RSRC2:TGID_X_EN: 1
; COMPUTE_PGM_RSRC2:TGID_Y_EN: 0
; COMPUTE_PGM_RSRC2:TGID_Z_EN: 1
; COMPUTE_PGM_RSRC2:TIDIG_COMP_CNT: 1
; COMPUTE_PGM_RSRC3_GFX90A:ACCUM_OFFSET: 13
; COMPUTE_PGM_RSRC3_GFX90A:TG_SPLIT: 0
	.section	.text._ZL9moe_vec_qIN3c108BFloat16ELi256ELi8E12block_iq2_xsLi1EXadL_ZL19vec_dot_iq2_xs_q8_1PKvPK10block_q8_1RKiEEEvS4_S4_PT_PS8_iiii,"axG",@progbits,_ZL9moe_vec_qIN3c108BFloat16ELi256ELi8E12block_iq2_xsLi1EXadL_ZL19vec_dot_iq2_xs_q8_1PKvPK10block_q8_1RKiEEEvS4_S4_PT_PS8_iiii,comdat
	.globl	_ZL9moe_vec_qIN3c108BFloat16ELi256ELi8E12block_iq2_xsLi1EXadL_ZL19vec_dot_iq2_xs_q8_1PKvPK10block_q8_1RKiEEEvS4_S4_PT_PS8_iiii ; -- Begin function _ZL9moe_vec_qIN3c108BFloat16ELi256ELi8E12block_iq2_xsLi1EXadL_ZL19vec_dot_iq2_xs_q8_1PKvPK10block_q8_1RKiEEEvS4_S4_PT_PS8_iiii
	.p2align	8
	.type	_ZL9moe_vec_qIN3c108BFloat16ELi256ELi8E12block_iq2_xsLi1EXadL_ZL19vec_dot_iq2_xs_q8_1PKvPK10block_q8_1RKiEEEvS4_S4_PT_PS8_iiii,@function
_ZL9moe_vec_qIN3c108BFloat16ELi256ELi8E12block_iq2_xsLi1EXadL_ZL19vec_dot_iq2_xs_q8_1PKvPK10block_q8_1RKiEEEvS4_S4_PT_PS8_iiii: ; @_ZL9moe_vec_qIN3c108BFloat16ELi256ELi8E12block_iq2_xsLi1EXadL_ZL19vec_dot_iq2_xs_q8_1PKvPK10block_q8_1RKiEEEvS4_S4_PT_PS8_iiii
; %bb.0:
	s_load_dword s0, s[4:5], 0x3c
	s_load_dwordx4 s[64:67], s[4:5], 0x20
	v_bfe_u32 v1, v0, 10, 10
	s_waitcnt lgkmcnt(0)
	s_lshr_b32 s0, s0, 16
	s_mul_i32 s6, s6, s0
	v_add_u32_e32 v9, s6, v1
	v_cmp_gt_u32_e32 vcc, s66, v9
	s_and_saveexec_b64 s[0:1], vcc
	s_cbranch_execz .LBB286_7
; %bb.1:
	s_load_dwordx2 s[70:71], s[4:5], 0x10
	s_ashr_i32 s0, s65, 31
	s_lshr_b32 s0, s0, 24
	s_add_i32 s0, s65, s0
	v_and_b32_e32 v16, 0x3ff, v0
	s_ashr_i32 s33, s0, 8
	v_lshrrev_b32_e32 v17, 3, v16
	s_mov_b32 s68, s7
	v_cmp_gt_u32_e32 vcc, s33, v17
	v_mov_b32_e32 v18, 0
	s_and_saveexec_b64 s[72:73], vcc
	s_cbranch_execz .LBB286_5
; %bb.2:
	s_load_dwordx2 s[0:1], s[4:5], 0x18
	v_cvt_f32_u32_e32 v0, s64
	s_mov_b32 s69, 0
	s_lshl_b64 s[2:3], s[68:69], 2
	v_and_b32_e32 v8, 7, v16
	s_waitcnt lgkmcnt(0)
	s_add_u32 s6, s0, s2
	v_rcp_iflag_f32_e32 v0, v0
	s_addc_u32 s7, s1, s3
	s_load_dword s8, s[6:7], 0x0
	s_load_dwordx4 s[0:3], s[4:5], 0x0
	s_mul_i32 s4, s33, s66
	v_mul_f32_e32 v0, 0x4f7ffffe, v0
	v_cvt_u32_f32_e32 v0, v0
	s_waitcnt lgkmcnt(0)
	s_mul_i32 s4, s4, s8
	s_mul_hi_i32 s5, s4, 0x4a
	s_mulk_i32 s4, 0x4a
	s_add_u32 s0, s0, s4
	s_addc_u32 s1, s1, s5
	s_sub_i32 s4, 0, s64
	v_readfirstlane_b32 s5, v0
	s_mul_i32 s4, s4, s5
	s_mul_hi_u32 s4, s5, s4
	s_add_i32 s5, s5, s4
	s_mul_hi_u32 s4, s68, s5
	s_mul_i32 s5, s4, s64
	s_sub_i32 s5, s68, s5
	s_add_i32 s6, s4, 1
	s_sub_i32 s7, s5, s64
	s_cmp_ge_u32 s5, s64
	s_cselect_b32 s4, s6, s4
	s_cselect_b32 s5, s7, s5
	s_add_i32 s6, s4, 1
	s_cmp_ge_u32 s5, s64
	s_cselect_b32 s4, s6, s4
	s_mul_i32 s4, s4, s67
	s_mov_b32 s5, s69
	s_lshl_b64 s[4:5], s[4:5], 2
	s_add_u32 s2, s2, s4
	s_addc_u32 s3, s3, s5
	v_lshlrev_b32_e32 v0, 2, v8
	s_movk_i32 s74, 0x4a
	v_mul_lo_u32 v19, v9, s33
	v_mov_b32_e32 v20, 0
	v_mad_u64_u32 v[10:11], s[2:3], v8, 36, s[2:3]
	v_lshlrev_b32_e32 v21, 3, v17
	s_mov_b64 s[64:65], 0
	v_pk_mov_b32 v[12:13], s[0:1], s[0:1] op_sel:[0,1]
	v_lshlrev_b32_e32 v22, 1, v0
	v_mov_b32_e32 v18, 0
.LBB286_3:                              ; =>This Inner Loop Header: Depth=1
	v_add_u32_e32 v0, v19, v17
	v_mad_i64_i32 v[26:27], s[4:5], v0, s74, v[12:13]
	v_add_co_u32_e32 v28, vcc, v26, v22
	v_addc_co_u32_e32 v29, vcc, 0, v27, vcc
	v_mad_i64_i32 v[14:15], s[0:1], v21, 36, v[10:11]
	v_add_co_u32_e32 v30, vcc, v26, v8
	global_load_dwordx4 v[0:3], v[14:15], off offset:20
	global_load_dwordx4 v[4:7], v[14:15], off offset:4
	global_load_ushort v23, v[14:15], off
	v_addc_co_u32_e32 v31, vcc, 0, v27, vcc
	global_load_ushort v25, v[26:27], off
	global_load_dwordx2 v[14:15], v[28:29], off offset:2
	global_load_ubyte v24, v[30:31], off offset:66
	s_getpc_b64 s[0:1]
	s_add_u32 s0, s0, _ZL10iq2xs_grid@rel32@lo+4
	s_addc_u32 s1, s1, _ZL10iq2xs_grid@rel32@hi+12
	s_getpc_b64 s[2:3]
	s_add_u32 s2, s2, _ZL12ksigns_iq2xs@rel32@lo+4
	s_addc_u32 s3, s3, _ZL12ksigns_iq2xs@rel32@hi+12
	v_add_u32_e32 v17, 8, v17
	v_add_u32_e32 v21, 64, v21
	s_waitcnt vmcnt(3)
	v_cvt_f32_f16_e32 v23, v23
	s_waitcnt vmcnt(2)
	v_cvt_f32_f16_e32 v25, v25
	s_waitcnt vmcnt(1)
	v_bfe_u32 v27, v14, 9, 7
	v_and_b32_e32 v26, 0x1ff, v14
	v_lshrrev_b32_e32 v28, 13, v14
	v_lshrrev_b32_e32 v29, 25, v14
	v_and_b32_e32 v30, 0x1ff, v15
	v_bfe_u32 v31, v15, 9, 7
	v_lshrrev_b32_e32 v32, 13, v15
	v_lshrrev_b32_e32 v34, 25, v15
	global_load_sbyte v35, v27, s[2:3]
	global_load_sbyte v36, v29, s[2:3]
	;; [unrolled: 1-line block ×3, first 2 shown]
	v_lshlrev_b32_e32 v38, 3, v26
	v_and_b32_e32 v39, 0xff8, v28
	v_lshlrev_b32_e32 v40, 3, v30
	v_and_b32_e32 v41, 0xff8, v32
	global_load_sbyte v42, v34, s[2:3]
	global_load_dwordx2 v[26:27], v38, s[0:1]
	global_load_dwordx2 v[28:29], v39, s[0:1]
	;; [unrolled: 1-line block ×4, first 2 shown]
	v_cmp_gt_i16_e64 s[0:1], 0, v15
	v_cmp_lt_i16_sdwa vcc, v15, v20 src0_sel:WORD_1 src1_sel:DWORD
	v_cmp_gt_i16_e64 s[4:5], 0, v14
	v_cmp_lt_i16_sdwa s[2:3], v14, v20 src0_sel:WORD_1 src1_sel:DWORD
	s_waitcnt vmcnt(7)
	v_and_b32_e32 v34, 2, v35
	s_waitcnt vmcnt(6)
	v_and_b32_e32 v45, 4, v36
	v_and_b32_e32 v46, 8, v36
	;; [unrolled: 1-line block ×3, first 2 shown]
	s_waitcnt vmcnt(5)
	v_and_b32_e32 v49, 1, v37
	v_and_b32_e32 v50, 2, v37
	s_waitcnt vmcnt(3)
	v_mul_i32_i24_sdwa v56, v26, sext(v4) dst_sel:DWORD dst_unused:UNUSED_PAD src0_sel:BYTE_0 src1_sel:BYTE_0
	v_mul_i32_i24_sdwa v57, v26, sext(v4) dst_sel:DWORD dst_unused:UNUSED_PAD src0_sel:BYTE_1 src1_sel:BYTE_1
	v_mul_i32_i24_sdwa v58, v26, sext(v4) dst_sel:DWORD dst_unused:UNUSED_PAD src0_sel:BYTE_2 src1_sel:BYTE_2
	v_mul_i32_i24_sdwa v4, v26, sext(v4) dst_sel:DWORD dst_unused:UNUSED_PAD src0_sel:BYTE_3 src1_sel:BYTE_3
	v_mul_i32_i24_sdwa v26, v27, sext(v5) dst_sel:DWORD dst_unused:UNUSED_PAD src0_sel:BYTE_0 src1_sel:BYTE_0
	v_mul_i32_i24_sdwa v59, v27, sext(v5) dst_sel:DWORD dst_unused:UNUSED_PAD src0_sel:BYTE_1 src1_sel:BYTE_1
	v_mul_i32_i24_sdwa v60, v27, sext(v5) dst_sel:DWORD dst_unused:UNUSED_PAD src0_sel:BYTE_2 src1_sel:BYTE_2
	v_mul_i32_i24_sdwa v5, v27, sext(v5) dst_sel:DWORD dst_unused:UNUSED_PAD src0_sel:BYTE_3 src1_sel:BYTE_3
	s_waitcnt vmcnt(2)
	v_mul_i32_i24_sdwa v27, v28, sext(v6) dst_sel:DWORD dst_unused:UNUSED_PAD src0_sel:BYTE_0 src1_sel:BYTE_0
	v_mul_i32_i24_sdwa v61, v28, sext(v6) dst_sel:DWORD dst_unused:UNUSED_PAD src0_sel:BYTE_1 src1_sel:BYTE_1
	v_mul_i32_i24_sdwa v62, v28, sext(v6) dst_sel:DWORD dst_unused:UNUSED_PAD src0_sel:BYTE_2 src1_sel:BYTE_2
	v_mul_i32_i24_sdwa v6, v28, sext(v6) dst_sel:DWORD dst_unused:UNUSED_PAD src0_sel:BYTE_3 src1_sel:BYTE_3
	v_mul_i32_i24_sdwa v28, v29, sext(v7) dst_sel:DWORD dst_unused:UNUSED_PAD src0_sel:BYTE_0 src1_sel:BYTE_0
	v_mul_i32_i24_sdwa v63, v29, sext(v7) dst_sel:DWORD dst_unused:UNUSED_PAD src0_sel:BYTE_1 src1_sel:BYTE_1
	v_mul_i32_i24_sdwa v64, v29, sext(v7) dst_sel:DWORD dst_unused:UNUSED_PAD src0_sel:BYTE_2 src1_sel:BYTE_2
	v_mul_i32_i24_sdwa v7, v29, sext(v7) dst_sel:DWORD dst_unused:UNUSED_PAD src0_sel:BYTE_3 src1_sel:BYTE_3
	s_waitcnt vmcnt(1)
	v_mul_i32_i24_sdwa v29, v30, sext(v0) dst_sel:DWORD dst_unused:UNUSED_PAD src0_sel:BYTE_0 src1_sel:BYTE_0
	v_mul_i32_i24_sdwa v65, v30, sext(v0) dst_sel:DWORD dst_unused:UNUSED_PAD src0_sel:BYTE_1 src1_sel:BYTE_1
	v_and_b32_e32 v15, 4, v42
	v_and_b32_e32 v38, 4, v35
	v_and_b32_e32 v39, 8, v35
	v_and_b32_e32 v40, 16, v35
	v_and_b32_e32 v41, 32, v35
	v_and_b32_e32 v47, 16, v36
	v_and_b32_e32 v51, 4, v37
	v_and_b32_e32 v52, 8, v37
	v_mul_i32_i24_sdwa v66, v30, sext(v0) dst_sel:DWORD dst_unused:UNUSED_PAD src0_sel:BYTE_2 src1_sel:BYTE_2
	v_mul_i32_i24_sdwa v0, v30, sext(v0) dst_sel:DWORD dst_unused:UNUSED_PAD src0_sel:BYTE_3 src1_sel:BYTE_3
	v_cmp_eq_u16_e64 s[24:25], 0, v45
	v_sub_u32_e32 v45, 0, v6
	v_cmp_eq_u16_e64 s[26:27], 0, v46
	v_cmp_eq_u16_e64 s[30:31], 0, v48
	v_sub_u32_e32 v48, 0, v29
	v_cmp_eq_u16_e64 s[34:35], 0, v49
	v_sub_u32_e32 v49, 0, v65
	v_cmp_eq_u16_e64 s[36:37], 0, v50
	v_cmp_eq_u16_e64 s[50:51], 0, v15
	v_and_b32_e32 v15, 8, v42
	v_cmp_gt_i16_e64 s[60:61], 0, v35
	v_and_b32_e32 v35, 1, v35
	v_and_b32_e32 v43, 1, v36
	;; [unrolled: 1-line block ×5, first 2 shown]
	v_mul_i32_i24_sdwa v30, v31, sext(v1) dst_sel:DWORD dst_unused:UNUSED_PAD src0_sel:BYTE_0 src1_sel:BYTE_0
	v_mul_i32_i24_sdwa v67, v31, sext(v1) dst_sel:DWORD dst_unused:UNUSED_PAD src0_sel:BYTE_1 src1_sel:BYTE_1
	v_mul_i32_i24_sdwa v68, v31, sext(v1) dst_sel:DWORD dst_unused:UNUSED_PAD src0_sel:BYTE_2 src1_sel:BYTE_2
	v_mul_i32_i24_sdwa v1, v31, sext(v1) dst_sel:DWORD dst_unused:UNUSED_PAD src0_sel:BYTE_3 src1_sel:BYTE_3
	s_waitcnt vmcnt(0)
	v_mul_i32_i24_sdwa v31, v32, sext(v2) dst_sel:DWORD dst_unused:UNUSED_PAD src0_sel:BYTE_0 src1_sel:BYTE_0
	v_mul_i32_i24_sdwa v69, v32, sext(v2) dst_sel:DWORD dst_unused:UNUSED_PAD src0_sel:BYTE_1 src1_sel:BYTE_1
	v_mul_i32_i24_sdwa v70, v32, sext(v2) dst_sel:DWORD dst_unused:UNUSED_PAD src0_sel:BYTE_2 src1_sel:BYTE_2
	v_mul_i32_i24_sdwa v2, v32, sext(v2) dst_sel:DWORD dst_unused:UNUSED_PAD src0_sel:BYTE_3 src1_sel:BYTE_3
	v_mul_i32_i24_sdwa v32, v33, sext(v3) dst_sel:DWORD dst_unused:UNUSED_PAD src0_sel:BYTE_0 src1_sel:BYTE_0
	v_mul_i32_i24_sdwa v71, v33, sext(v3) dst_sel:DWORD dst_unused:UNUSED_PAD src0_sel:BYTE_1 src1_sel:BYTE_1
	v_mul_i32_i24_sdwa v72, v33, sext(v3) dst_sel:DWORD dst_unused:UNUSED_PAD src0_sel:BYTE_2 src1_sel:BYTE_2
	v_mul_i32_i24_sdwa v3, v33, sext(v3) dst_sel:DWORD dst_unused:UNUSED_PAD src0_sel:BYTE_3 src1_sel:BYTE_3
	v_cmp_gt_i16_e64 s[8:9], 0, v37
	v_sub_u32_e32 v37, 0, v57
	v_cmp_eq_u16_e64 s[10:11], 0, v34
	v_sub_u32_e32 v46, 0, v28
	v_cmp_eq_u16_e64 s[28:29], 0, v47
	;; [unrolled: 2-line block ×4, first 2 shown]
	v_cmp_eq_u16_e64 s[52:53], 0, v15
	v_and_b32_e32 v15, 16, v42
	v_sub_u32_e32 v80, 0, v56
	v_cmp_eq_u16_e64 s[62:63], 0, v35
	v_cndmask_b32_e64 v6, v45, v6, s[26:27]
	v_cndmask_b32_e64 v29, v48, v29, s[34:35]
	;; [unrolled: 1-line block ×3, first 2 shown]
	v_sub_u32_e32 v34, 0, v58
	v_cmp_eq_u16_e64 s[12:13], 0, v38
	v_sub_u32_e32 v38, 0, v4
	v_cmp_eq_u16_e64 s[14:15], 0, v39
	v_cmp_eq_u16_e64 s[18:19], 0, v41
	v_sub_u32_e32 v41, 0, v27
	v_cmp_eq_u16_e64 s[20:21], 0, v43
	v_sub_u32_e32 v43, 0, v61
	;; [unrolled: 2-line block ×3, first 2 shown]
	v_sub_u32_e32 v52, 0, v30
	v_cmp_eq_u16_e64 s[42:43], 0, v53
	v_sub_u32_e32 v53, 0, v67
	v_cmp_eq_u16_e64 s[44:45], 0, v54
	v_cmp_eq_u16_e64 s[54:55], 0, v15
	v_sub_u32_e32 v15, 0, v3
	v_cmp_gt_i16_e64 s[56:57], 0, v42
	v_cndmask_b32_e64 v35, v80, v56, s[62:63]
	v_cndmask_b32_e64 v37, v37, v57, s[10:11]
	;; [unrolled: 1-line block ×5, first 2 shown]
	v_add_u32_e32 v29, v45, v29
	v_and_b32_e32 v55, 1, v42
	v_and_b32_e32 v33, 2, v42
	v_sub_u32_e32 v14, 0, v68
	v_cmp_gt_i16_e64 s[6:7], 0, v36
	v_sub_u32_e32 v36, 0, v1
	v_sub_u32_e32 v39, 0, v26
	v_cmp_eq_u16_e64 s[16:17], 0, v40
	v_sub_u32_e32 v40, 0, v59
	v_and_b32_e32 v42, 32, v42
	v_cndmask_b32_e64 v34, v34, v58, s[12:13]
	v_cndmask_b32_e64 v4, v38, v4, s[14:15]
	;; [unrolled: 1-line block ×8, first 2 shown]
	v_add_u32_e32 v15, v37, v35
	v_add3_u32 v0, v29, v46, v0
	v_sub_u32_e32 v73, 0, v60
	v_sub_u32_e32 v54, 0, v31
	v_cmp_eq_u16_e64 s[46:47], 0, v55
	v_sub_u32_e32 v55, 0, v69
	v_cmp_eq_u16_e64 s[48:49], 0, v33
	v_cmp_eq_u16_e64 s[58:59], 0, v42
	v_sub_u32_e32 v42, 0, v5
	v_cndmask_b32_e64 v26, v39, v26, s[16:17]
	v_cndmask_b32_e64 v39, v40, v59, s[18:19]
	;; [unrolled: 1-line block ×4, first 2 shown]
	v_add3_u32 v4, v15, v34, v4
	v_add3_u32 v0, v0, v30, v47
	v_sub_u32_e32 v33, 0, v70
	v_sub_u32_e32 v77, 0, v2
	v_cndmask_b32_e64 v40, v60, v73, s[4:5]
	v_cndmask_b32_e64 v5, v5, v42, s[60:61]
	;; [unrolled: 1-line block ×4, first 2 shown]
	v_add3_u32 v4, v4, v26, v39
	v_add3_u32 v0, v0, v14, v1
	v_sub_u32_e32 v44, 0, v62
	v_sub_u32_e32 v78, 0, v32
	v_sub_u32_e32 v79, 0, v71
	v_cndmask_b32_e64 v33, v33, v70, s[50:51]
	v_cndmask_b32_e64 v2, v77, v2, s[52:53]
	v_add3_u32 v4, v4, v40, v5
	v_add3_u32 v0, v0, v31, v36
	v_sub_u32_e32 v75, 0, v72
	v_cndmask_b32_e64 v42, v44, v62, s[24:25]
	v_cndmask_b32_e64 v32, v78, v32, s[54:55]
	;; [unrolled: 1-line block ×3, first 2 shown]
	v_add3_u32 v1, v4, v27, v41
	v_add3_u32 v0, v0, v33, v2
	v_sub_u32_e32 v74, 0, v64
	v_sub_u32_e32 v76, 0, v7
	v_cndmask_b32_e32 v49, v72, v75, vcc
	v_add3_u32 v1, v1, v42, v6
	v_add3_u32 v0, v0, v32, v48
	v_cndmask_b32_e64 v44, v64, v74, s[2:3]
	v_cndmask_b32_e64 v7, v7, v76, s[6:7]
	v_add3_u32 v1, v1, v28, v43
	v_add3_u32 v0, v0, v49, v3
	;; [unrolled: 1-line block ×3, first 2 shown]
	v_cvt_f32_i32_e32 v0, v0
	v_lshrrev_b16_e32 v38, 4, v24
	v_cvt_f32_i32_e32 v1, v1
	v_and_b32_e32 v24, 15, v24
	v_cvt_f32_ubyte0_e32 v38, v38
	v_cvt_f32_ubyte0_e32 v24, v24
	v_add_f32_e32 v38, 0.5, v38
	v_add_f32_e32 v24, 0.5, v24
	v_mul_f32_e32 v2, v25, v23
	v_mul_f32_e32 v0, v38, v0
	v_cmp_le_u32_e64 s[10:11], s33, v17
	v_mul_f32_e32 v2, 0x3e800000, v2
	v_fmac_f32_e32 v0, v24, v1
	s_or_b64 s[64:65], s[10:11], s[64:65]
	v_fmac_f32_e32 v18, v2, v0
	s_andn2_b64 exec, exec, s[64:65]
	s_cbranch_execnz .LBB286_3
; %bb.4:
	s_or_b64 exec, exec, s[64:65]
.LBB286_5:
	s_or_b64 exec, exec, s[72:73]
	v_mbcnt_lo_u32_b32 v0, -1, 0
	v_mbcnt_hi_u32_b32 v1, -1, v0
	v_and_b32_e32 v0, 64, v1
	v_add_u32_e32 v2, 64, v0
	v_xor_b32_e32 v0, 32, v1
	v_cmp_lt_i32_e32 vcc, v0, v2
	v_cndmask_b32_e32 v0, v1, v0, vcc
	v_lshlrev_b32_e32 v0, 2, v0
	ds_bpermute_b32 v0, v0, v18
	v_xor_b32_e32 v3, 16, v1
	v_cmp_lt_i32_e32 vcc, v3, v2
	v_cndmask_b32_e32 v3, v1, v3, vcc
	v_lshlrev_b32_e32 v3, 2, v3
	s_waitcnt lgkmcnt(0)
	v_add_f32_e32 v0, v18, v0
	ds_bpermute_b32 v3, v3, v0
	v_xor_b32_e32 v4, 8, v1
	v_cmp_lt_i32_e32 vcc, v4, v2
	s_waitcnt lgkmcnt(0)
	v_add_f32_e32 v0, v0, v3
	v_cndmask_b32_e32 v3, v1, v4, vcc
	v_lshlrev_b32_e32 v3, 2, v3
	ds_bpermute_b32 v3, v3, v0
	v_xor_b32_e32 v4, 4, v1
	v_cmp_lt_i32_e32 vcc, v4, v2
	s_waitcnt lgkmcnt(0)
	v_add_f32_e32 v0, v0, v3
	v_cndmask_b32_e32 v3, v1, v4, vcc
	v_lshlrev_b32_e32 v3, 2, v3
	;; [unrolled: 7-line block ×3, first 2 shown]
	ds_bpermute_b32 v3, v3, v0
	v_xor_b32_e32 v4, 1, v1
	v_cmp_lt_i32_e32 vcc, v4, v2
	v_cndmask_b32_e32 v1, v1, v4, vcc
	v_lshlrev_b32_e32 v1, 2, v1
	s_waitcnt lgkmcnt(0)
	v_add_f32_e32 v0, v0, v3
	ds_bpermute_b32 v1, v1, v0
	v_cmp_eq_u32_e32 vcc, 0, v16
	s_and_b64 exec, exec, vcc
	s_cbranch_execz .LBB286_7
; %bb.6:
	s_waitcnt lgkmcnt(0)
	v_add_f32_e32 v0, v0, v1
	v_bfe_u32 v1, v0, 16, 1
	s_movk_i32 s0, 0x7fff
	v_add3_u32 v1, v0, v1, s0
	v_lshrrev_b32_e32 v1, 16, v1
	v_mov_b32_e32 v2, 0x7fc0
	v_cmp_o_f32_e32 vcc, v0, v0
	s_mul_i32 s0, s68, s66
	v_cndmask_b32_e32 v2, v2, v1, vcc
	v_add_u32_e32 v0, s0, v9
	v_mov_b32_e32 v1, 0
	v_lshlrev_b64 v[0:1], 1, v[0:1]
	v_mov_b32_e32 v3, s71
	v_add_co_u32_e32 v0, vcc, s70, v0
	v_addc_co_u32_e32 v1, vcc, v3, v1, vcc
	global_store_short v[0:1], v2, off
.LBB286_7:
	s_endpgm
	.section	.rodata,"a",@progbits
	.p2align	6, 0x0
	.amdhsa_kernel _ZL9moe_vec_qIN3c108BFloat16ELi256ELi8E12block_iq2_xsLi1EXadL_ZL19vec_dot_iq2_xs_q8_1PKvPK10block_q8_1RKiEEEvS4_S4_PT_PS8_iiii
		.amdhsa_group_segment_fixed_size 0
		.amdhsa_private_segment_fixed_size 0
		.amdhsa_kernarg_size 304
		.amdhsa_user_sgpr_count 6
		.amdhsa_user_sgpr_private_segment_buffer 1
		.amdhsa_user_sgpr_dispatch_ptr 0
		.amdhsa_user_sgpr_queue_ptr 0
		.amdhsa_user_sgpr_kernarg_segment_ptr 1
		.amdhsa_user_sgpr_dispatch_id 0
		.amdhsa_user_sgpr_flat_scratch_init 0
		.amdhsa_user_sgpr_kernarg_preload_length 0
		.amdhsa_user_sgpr_kernarg_preload_offset 0
		.amdhsa_user_sgpr_private_segment_size 0
		.amdhsa_uses_dynamic_stack 0
		.amdhsa_system_sgpr_private_segment_wavefront_offset 0
		.amdhsa_system_sgpr_workgroup_id_x 1
		.amdhsa_system_sgpr_workgroup_id_y 0
		.amdhsa_system_sgpr_workgroup_id_z 1
		.amdhsa_system_sgpr_workgroup_info 0
		.amdhsa_system_vgpr_workitem_id 1
		.amdhsa_next_free_vgpr 81
		.amdhsa_next_free_sgpr 75
		.amdhsa_accum_offset 84
		.amdhsa_reserve_vcc 1
		.amdhsa_reserve_flat_scratch 0
		.amdhsa_float_round_mode_32 0
		.amdhsa_float_round_mode_16_64 0
		.amdhsa_float_denorm_mode_32 3
		.amdhsa_float_denorm_mode_16_64 3
		.amdhsa_dx10_clamp 1
		.amdhsa_ieee_mode 1
		.amdhsa_fp16_overflow 0
		.amdhsa_tg_split 0
		.amdhsa_exception_fp_ieee_invalid_op 0
		.amdhsa_exception_fp_denorm_src 0
		.amdhsa_exception_fp_ieee_div_zero 0
		.amdhsa_exception_fp_ieee_overflow 0
		.amdhsa_exception_fp_ieee_underflow 0
		.amdhsa_exception_fp_ieee_inexact 0
		.amdhsa_exception_int_div_zero 0
	.end_amdhsa_kernel
	.section	.text._ZL9moe_vec_qIN3c108BFloat16ELi256ELi8E12block_iq2_xsLi1EXadL_ZL19vec_dot_iq2_xs_q8_1PKvPK10block_q8_1RKiEEEvS4_S4_PT_PS8_iiii,"axG",@progbits,_ZL9moe_vec_qIN3c108BFloat16ELi256ELi8E12block_iq2_xsLi1EXadL_ZL19vec_dot_iq2_xs_q8_1PKvPK10block_q8_1RKiEEEvS4_S4_PT_PS8_iiii,comdat
.Lfunc_end286:
	.size	_ZL9moe_vec_qIN3c108BFloat16ELi256ELi8E12block_iq2_xsLi1EXadL_ZL19vec_dot_iq2_xs_q8_1PKvPK10block_q8_1RKiEEEvS4_S4_PT_PS8_iiii, .Lfunc_end286-_ZL9moe_vec_qIN3c108BFloat16ELi256ELi8E12block_iq2_xsLi1EXadL_ZL19vec_dot_iq2_xs_q8_1PKvPK10block_q8_1RKiEEEvS4_S4_PT_PS8_iiii
                                        ; -- End function
	.section	.AMDGPU.csdata,"",@progbits
; Kernel info:
; codeLenInByte = 2164
; NumSgprs: 79
; NumVgprs: 81
; NumAgprs: 0
; TotalNumVgprs: 81
; ScratchSize: 0
; MemoryBound: 0
; FloatMode: 240
; IeeeMode: 1
; LDSByteSize: 0 bytes/workgroup (compile time only)
; SGPRBlocks: 9
; VGPRBlocks: 10
; NumSGPRsForWavesPerEU: 79
; NumVGPRsForWavesPerEU: 81
; AccumOffset: 84
; Occupancy: 5
; WaveLimiterHint : 1
; COMPUTE_PGM_RSRC2:SCRATCH_EN: 0
; COMPUTE_PGM_RSRC2:USER_SGPR: 6
; COMPUTE_PGM_RSRC2:TRAP_HANDLER: 0
; COMPUTE_PGM_RSRC2:TGID_X_EN: 1
; COMPUTE_PGM_RSRC2:TGID_Y_EN: 0
; COMPUTE_PGM_RSRC2:TGID_Z_EN: 1
; COMPUTE_PGM_RSRC2:TIDIG_COMP_CNT: 1
; COMPUTE_PGM_RSRC3_GFX90A:ACCUM_OFFSET: 20
; COMPUTE_PGM_RSRC3_GFX90A:TG_SPLIT: 0
	.section	.text._ZL9moe_vec_qIN3c108BFloat16ELi256ELi8E13block_iq3_xxsLi1EXadL_ZL20vec_dot_iq3_xxs_q8_1PKvPK10block_q8_1RKiEEEvS4_S4_PT_PS8_iiii,"axG",@progbits,_ZL9moe_vec_qIN3c108BFloat16ELi256ELi8E13block_iq3_xxsLi1EXadL_ZL20vec_dot_iq3_xxs_q8_1PKvPK10block_q8_1RKiEEEvS4_S4_PT_PS8_iiii,comdat
	.globl	_ZL9moe_vec_qIN3c108BFloat16ELi256ELi8E13block_iq3_xxsLi1EXadL_ZL20vec_dot_iq3_xxs_q8_1PKvPK10block_q8_1RKiEEEvS4_S4_PT_PS8_iiii ; -- Begin function _ZL9moe_vec_qIN3c108BFloat16ELi256ELi8E13block_iq3_xxsLi1EXadL_ZL20vec_dot_iq3_xxs_q8_1PKvPK10block_q8_1RKiEEEvS4_S4_PT_PS8_iiii
	.p2align	8
	.type	_ZL9moe_vec_qIN3c108BFloat16ELi256ELi8E13block_iq3_xxsLi1EXadL_ZL20vec_dot_iq3_xxs_q8_1PKvPK10block_q8_1RKiEEEvS4_S4_PT_PS8_iiii,@function
_ZL9moe_vec_qIN3c108BFloat16ELi256ELi8E13block_iq3_xxsLi1EXadL_ZL20vec_dot_iq3_xxs_q8_1PKvPK10block_q8_1RKiEEEvS4_S4_PT_PS8_iiii: ; @_ZL9moe_vec_qIN3c108BFloat16ELi256ELi8E13block_iq3_xxsLi1EXadL_ZL20vec_dot_iq3_xxs_q8_1PKvPK10block_q8_1RKiEEEvS4_S4_PT_PS8_iiii
; %bb.0:
	s_mov_b32 s8, s7
	s_load_dword s7, s[4:5], 0x3c
	s_load_dwordx4 s[0:3], s[4:5], 0x20
	v_bfe_u32 v1, v0, 10, 10
	s_waitcnt lgkmcnt(0)
	s_lshr_b32 s7, s7, 16
	s_mul_i32 s6, s6, s7
	v_add_u32_e32 v9, s6, v1
	v_cmp_gt_u32_e32 vcc, s2, v9
	s_and_saveexec_b64 s[6:7], vcc
	s_cbranch_execz .LBB287_7
; %bb.1:
	s_load_dwordx2 s[6:7], s[4:5], 0x10
	s_ashr_i32 s9, s1, 31
	s_lshr_b32 s9, s9, 24
	s_add_i32 s1, s1, s9
	v_and_b32_e32 v16, 0x3ff, v0
	s_ashr_i32 s16, s1, 8
	v_lshrrev_b32_e32 v17, 3, v16
	v_cmp_gt_u32_e32 vcc, s16, v17
	v_mov_b32_e32 v18, 0
	s_and_saveexec_b64 s[10:11], vcc
	s_cbranch_execz .LBB287_5
; %bb.2:
	s_load_dwordx2 s[12:13], s[4:5], 0x18
	v_cvt_f32_u32_e32 v0, s0
	s_mov_b32 s9, 0
	s_lshl_b64 s[14:15], s[8:9], 2
	v_and_b32_e32 v1, 7, v16
	s_waitcnt lgkmcnt(0)
	s_add_u32 s18, s12, s14
	v_rcp_iflag_f32_e32 v0, v0
	s_addc_u32 s19, s13, s15
	s_load_dword s1, s[18:19], 0x0
	s_load_dwordx4 s[12:15], s[4:5], 0x0
	s_mul_i32 s4, s16, s2
	v_mul_f32_e32 v0, 0x4f7ffffe, v0
	v_cvt_u32_f32_e32 v0, v0
	s_waitcnt lgkmcnt(0)
	s_mul_i32 s1, s4, s1
	s_mul_hi_i32 s4, s1, 0x62
	s_mulk_i32 s1, 0x62
	s_add_u32 s12, s12, s1
	s_addc_u32 s13, s13, s4
	s_sub_i32 s1, 0, s0
	v_readfirstlane_b32 s4, v0
	s_mul_i32 s1, s1, s4
	s_mul_hi_u32 s1, s4, s1
	s_add_i32 s4, s4, s1
	s_mul_hi_u32 s1, s8, s4
	s_mul_i32 s4, s1, s0
	s_sub_i32 s4, s8, s4
	s_add_i32 s5, s1, 1
	s_sub_i32 s18, s4, s0
	s_cmp_ge_u32 s4, s0
	s_cselect_b32 s1, s5, s1
	s_cselect_b32 s4, s18, s4
	s_add_i32 s5, s1, 1
	s_cmp_ge_u32 s4, s0
	s_cselect_b32 s0, s5, s1
	s_mul_i32 s0, s0, s3
	s_mov_b32 s1, s9
	s_lshl_b64 s[0:1], s[0:1], 2
	s_add_u32 s0, s14, s0
	s_addc_u32 s1, s15, s1
	v_lshlrev_b32_e32 v0, 1, v1
	s_movk_i32 s17, 0x62
	v_mul_lo_u32 v19, v9, s16
	v_lshlrev_b32_e32 v8, 3, v1
	v_mov_b32_e32 v18, 0
	v_mad_u64_u32 v[10:11], s[0:1], v1, 36, s[0:1]
	v_lshlrev_b32_e32 v20, 3, v17
	s_mov_b64 s[4:5], 0
	v_pk_mov_b32 v[12:13], s[12:13], s[12:13] op_sel:[0,1]
	v_lshlrev_b32_e32 v21, 1, v0
	s_mov_b32 s3, 0xffff
	s_mov_b32 s9, 0xc060c00
	v_mov_b32_e32 v22, 2
	s_getpc_b64 s[14:15]
	s_add_u32 s14, s14, _ZL11iq3xxs_grid@rel32@lo+4
	s_addc_u32 s15, s15, _ZL11iq3xxs_grid@rel32@hi+12
	s_getpc_b64 s[12:13]
	s_add_u32 s12, s12, _ZL8ksigns64@rel32@lo+4
	s_addc_u32 s13, s13, _ZL8ksigns64@rel32@hi+12
.LBB287_3:                              ; =>This Inner Loop Header: Depth=1
	v_add_u32_e32 v0, v19, v17
	v_mad_i64_i32 v[14:15], s[0:1], v20, 36, v[10:11]
	v_mad_i64_i32 v[24:25], s[0:1], v0, s17, v[12:13]
	global_load_dword v30, v[14:15], off offset:32
	global_load_dwordx4 v[4:7], v[14:15], off
	global_load_dwordx4 v[0:3], v[14:15], off offset:16
	v_add_co_u32_e64 v14, s[0:1], v24, v8
	v_addc_co_u32_e64 v15, s[0:1], 0, v25, s[0:1]
	v_add_co_u32_e64 v26, s[0:1], v24, v21
	v_addc_co_u32_e64 v27, s[0:1], 0, v25, s[0:1]
	global_load_dword v31, v[26:27], off offset:66
	global_load_dwordx2 v[28:29], v[14:15], off offset:2
	global_load_ushort v32, v[24:25], off
	v_mov_b32_e32 v23, 0
	v_add_u32_e32 v17, 8, v17
	v_cmp_le_u32_e32 vcc, s16, v17
	v_add_u32_e32 v20, 64, v20
	s_or_b64 s[4:5], vcc, s[4:5]
	s_waitcnt vmcnt(4)
	v_cvt_f32_f16_e32 v4, v4
	s_waitcnt vmcnt(2)
	v_and_b32_e32 v25, 0x7f, v31
	v_and_b32_e32 v14, 0xffff0000, v31
	s_waitcnt vmcnt(1)
	v_lshlrev_b32_sdwa v15, v22, v28 dst_sel:DWORD dst_unused:UNUSED_PAD src0_sel:DWORD src1_sel:BYTE_0
	v_lshlrev_b32_sdwa v24, v22, v28 dst_sel:DWORD dst_unused:UNUSED_PAD src0_sel:DWORD src1_sel:BYTE_1
	v_lshlrev_b32_sdwa v26, v22, v28 dst_sel:DWORD dst_unused:UNUSED_PAD src0_sel:DWORD src1_sel:BYTE_2
	v_lshlrev_b32_sdwa v27, v22, v28 dst_sel:DWORD dst_unused:UNUSED_PAD src0_sel:DWORD src1_sel:BYTE_3
	v_lshrrev_b32_e32 v28, 4, v31
	v_lshlrev_b32_sdwa v33, v22, v29 dst_sel:DWORD dst_unused:UNUSED_PAD src0_sel:DWORD src1_sel:BYTE_0
	v_lshlrev_b32_sdwa v34, v22, v29 dst_sel:DWORD dst_unused:UNUSED_PAD src0_sel:DWORD src1_sel:BYTE_1
	v_lshlrev_b32_sdwa v35, v22, v29 dst_sel:DWORD dst_unused:UNUSED_PAD src0_sel:DWORD src1_sel:BYTE_2
	v_lshrrev_b32_e32 v36, 18, v31
	v_lshlrev_b32_e32 v38, 3, v25
	v_lshlrev_b32_sdwa v29, v22, v29 dst_sel:DWORD dst_unused:UNUSED_PAD src0_sel:DWORD src1_sel:BYTE_3
	v_lshrrev_b32_e32 v37, 28, v31
	v_and_or_b32 v31, v31, s3, v14
	global_load_dword v39, v15, s[14:15]
	global_load_dword v40, v24, s[14:15]
	v_and_b32_e32 v28, 0x3f8, v28
	global_load_dword v41, v26, s[14:15]
	global_load_dword v42, v27, s[14:15]
	;; [unrolled: 1-line block ×4, first 2 shown]
	v_and_b32_e32 v33, 0x3f8, v36
	global_load_dword v34, v35, s[14:15]
	global_load_dword v36, v29, s[14:15]
	global_load_dwordx2 v[14:15], v38, s[12:13]
	global_load_dwordx2 v[24:25], v28, s[12:13]
	;; [unrolled: 1-line block ×3, first 2 shown]
	v_lshrrev_b32_e32 v28, 11, v31
	v_cvt_f32_ubyte0_e32 v29, v37
	v_and_b32_e32 v28, 0x3f8, v28
	v_add_f32_e32 v31, 0.5, v29
	global_load_dwordx2 v[28:29], v28, s[12:13]
	s_waitcnt vmcnt(12)
	v_cvt_f32_f16_e32 v32, v32
	s_waitcnt vmcnt(3)
	v_and_b32_e32 v35, 0xff000000, v14
	v_xor_b32_e32 v33, v14, v39
	v_and_b32_e32 v37, 0xff0000, v14
	v_and_b32_e32 v38, 0xff00, v14
	v_xor_b32_e32 v39, v15, v40
	v_and_b32_e32 v40, 0xff000000, v15
	v_and_b32_e32 v45, 0xff0000, v15
	v_and_b32_e32 v46, 0xff00, v15
	s_waitcnt vmcnt(2)
	v_xor_b32_e32 v41, v24, v41
	v_and_b32_e32 v47, 0xff000000, v24
	v_and_b32_e32 v48, 0xff0000, v24
	;; [unrolled: 1-line block ×3, first 2 shown]
	v_xor_b32_e32 v42, v25, v42
	v_and_b32_e32 v50, 0xff000000, v25
	v_and_b32_e32 v51, 0xff0000, v25
	;; [unrolled: 1-line block ×3, first 2 shown]
	s_waitcnt vmcnt(1)
	v_xor_b32_e32 v34, v26, v34
	v_and_b32_e32 v53, 0xff000000, v26
	v_and_b32_e32 v54, 0xff0000, v26
	;; [unrolled: 1-line block ×3, first 2 shown]
	v_xor_b32_e32 v36, v27, v36
	v_and_b32_e32 v56, 0xff000000, v27
	v_and_b32_e32 v57, 0xff0000, v27
	;; [unrolled: 1-line block ×3, first 2 shown]
	v_sub_u32_e32 v35, v33, v35
	v_sub_u32_e32 v37, v33, v37
	v_sub_u32_e32 v38, v33, v38
	v_sub_u32_e32 v14, v33, v14
	v_sub_u32_e32 v33, v39, v40
	v_sub_u32_e32 v40, v39, v45
	v_sub_u32_e32 v45, v39, v46
	v_sub_u32_e32 v15, v39, v15
	v_sub_u32_e32 v39, v41, v47
	v_sub_u32_e32 v46, v41, v48
	v_sub_u32_e32 v47, v41, v49
	v_sub_u32_e32 v24, v41, v24
	v_sub_u32_e32 v41, v42, v50
	v_sub_u32_e32 v48, v42, v51
	v_sub_u32_e32 v49, v42, v52
	v_sub_u32_e32 v25, v42, v25
	v_sub_u32_e32 v42, v34, v53
	v_sub_u32_e32 v50, v34, v54
	v_sub_u32_e32 v51, v34, v55
	v_sub_u32_e32 v26, v34, v26
	v_sub_u32_e32 v34, v36, v56
	v_sub_u32_e32 v52, v36, v57
	v_sub_u32_e32 v53, v36, v58
	v_sub_u32_e32 v27, v36, v27
	v_and_b32_e32 v35, 0xff000000, v35
	v_and_b32_e32 v36, 0xff00, v38
	v_perm_b32 v14, v37, v14, s9
	v_and_b32_e32 v33, 0xff000000, v33
	v_and_b32_e32 v37, 0xff00, v45
	v_perm_b32 v15, v40, v15, s9
	v_or3_b32 v14, v14, v35, v36
	v_and_b32_e32 v38, 0xff000000, v39
	v_and_b32_e32 v39, 0xff00, v47
	v_perm_b32 v24, v46, v24, s9
	s_waitcnt vmcnt(0)
	v_xor_b32_e32 v43, v28, v43
	v_and_b32_e32 v45, 0xff000000, v28
	v_and_b32_e32 v46, 0xff0000, v28
	;; [unrolled: 1-line block ×3, first 2 shown]
	v_or3_b32 v15, v15, v33, v37
	v_dot4c_i32_i8_e32 v23, v14, v5
	v_and_b32_e32 v40, 0xff000000, v41
	v_and_b32_e32 v41, 0xff00, v49
	v_perm_b32 v25, v48, v25, s9
	v_xor_b32_e32 v44, v29, v44
	v_and_b32_e32 v48, 0xff000000, v29
	v_and_b32_e32 v49, 0xff0000, v29
	;; [unrolled: 1-line block ×3, first 2 shown]
	v_or3_b32 v24, v24, v38, v39
	v_sub_u32_e32 v33, v43, v45
	v_sub_u32_e32 v35, v43, v46
	;; [unrolled: 1-line block ×4, first 2 shown]
	v_dot4c_i32_i8_e32 v23, v15, v6
	v_perm_b32 v26, v50, v26, s9
	v_and_b32_e32 v34, 0xff000000, v34
	v_and_b32_e32 v50, 0xff00, v53
	v_perm_b32 v27, v52, v27, s9
	v_or3_b32 v25, v25, v40, v41
	v_sub_u32_e32 v37, v44, v48
	v_sub_u32_e32 v38, v44, v49
	;; [unrolled: 1-line block ×4, first 2 shown]
	v_and_b32_e32 v5, 0xff000000, v33
	v_and_b32_e32 v14, 0xff00, v36
	v_perm_b32 v28, v35, v28, s9
	v_dot4c_i32_i8_e32 v23, v24, v7
	v_or3_b32 v27, v27, v34, v50
	v_and_b32_e32 v33, 0xff000000, v37
	v_and_b32_e32 v34, 0xff00, v39
	v_perm_b32 v29, v38, v29, s9
	v_or3_b32 v5, v28, v5, v14
	v_dot4c_i32_i8_e32 v23, v25, v0
	v_and_b32_e32 v42, 0xff000000, v42
	v_and_b32_e32 v51, 0xff00, v51
	v_or3_b32 v6, v29, v33, v34
	v_dot4c_i32_i8_e32 v23, v5, v1
	v_or3_b32 v26, v26, v42, v51
	v_dot4c_i32_i8_e32 v23, v6, v2
	v_dot4c_i32_i8_e32 v23, v26, v3
	;; [unrolled: 1-line block ×3, first 2 shown]
	v_mul_f32_e32 v1, v31, v32
	v_mul_f32_e32 v1, v1, v4
	v_mul_f32_e32 v1, 0.5, v1
	v_cvt_f32_i32_e32 v0, v23
	v_fmac_f32_e32 v18, v1, v0
	s_andn2_b64 exec, exec, s[4:5]
	s_cbranch_execnz .LBB287_3
; %bb.4:
	s_or_b64 exec, exec, s[4:5]
.LBB287_5:
	s_or_b64 exec, exec, s[10:11]
	v_mbcnt_lo_u32_b32 v0, -1, 0
	v_mbcnt_hi_u32_b32 v1, -1, v0
	v_and_b32_e32 v0, 64, v1
	v_add_u32_e32 v2, 64, v0
	v_xor_b32_e32 v0, 32, v1
	v_cmp_lt_i32_e32 vcc, v0, v2
	v_cndmask_b32_e32 v0, v1, v0, vcc
	v_lshlrev_b32_e32 v0, 2, v0
	ds_bpermute_b32 v0, v0, v18
	v_xor_b32_e32 v3, 16, v1
	v_cmp_lt_i32_e32 vcc, v3, v2
	v_cndmask_b32_e32 v3, v1, v3, vcc
	v_lshlrev_b32_e32 v3, 2, v3
	s_waitcnt lgkmcnt(0)
	v_add_f32_e32 v0, v18, v0
	ds_bpermute_b32 v3, v3, v0
	v_xor_b32_e32 v4, 8, v1
	v_cmp_lt_i32_e32 vcc, v4, v2
	s_waitcnt lgkmcnt(0)
	v_add_f32_e32 v0, v0, v3
	v_cndmask_b32_e32 v3, v1, v4, vcc
	v_lshlrev_b32_e32 v3, 2, v3
	ds_bpermute_b32 v3, v3, v0
	v_xor_b32_e32 v4, 4, v1
	v_cmp_lt_i32_e32 vcc, v4, v2
	s_waitcnt lgkmcnt(0)
	v_add_f32_e32 v0, v0, v3
	v_cndmask_b32_e32 v3, v1, v4, vcc
	v_lshlrev_b32_e32 v3, 2, v3
	;; [unrolled: 7-line block ×3, first 2 shown]
	ds_bpermute_b32 v3, v3, v0
	v_xor_b32_e32 v4, 1, v1
	v_cmp_lt_i32_e32 vcc, v4, v2
	v_cndmask_b32_e32 v1, v1, v4, vcc
	v_lshlrev_b32_e32 v1, 2, v1
	s_waitcnt lgkmcnt(0)
	v_add_f32_e32 v0, v0, v3
	ds_bpermute_b32 v1, v1, v0
	v_cmp_eq_u32_e32 vcc, 0, v16
	s_and_b64 exec, exec, vcc
	s_cbranch_execz .LBB287_7
; %bb.6:
	s_waitcnt lgkmcnt(0)
	v_add_f32_e32 v0, v0, v1
	v_bfe_u32 v1, v0, 16, 1
	s_movk_i32 s0, 0x7fff
	v_add3_u32 v1, v0, v1, s0
	v_lshrrev_b32_e32 v1, 16, v1
	v_mov_b32_e32 v2, 0x7fc0
	v_cmp_o_f32_e32 vcc, v0, v0
	s_mul_i32 s0, s8, s2
	v_cndmask_b32_e32 v2, v2, v1, vcc
	v_add_u32_e32 v0, s0, v9
	v_mov_b32_e32 v1, 0
	v_lshlrev_b64 v[0:1], 1, v[0:1]
	v_mov_b32_e32 v3, s7
	v_add_co_u32_e32 v0, vcc, s6, v0
	v_addc_co_u32_e32 v1, vcc, v3, v1, vcc
	global_store_short v[0:1], v2, off
.LBB287_7:
	s_endpgm
	.section	.rodata,"a",@progbits
	.p2align	6, 0x0
	.amdhsa_kernel _ZL9moe_vec_qIN3c108BFloat16ELi256ELi8E13block_iq3_xxsLi1EXadL_ZL20vec_dot_iq3_xxs_q8_1PKvPK10block_q8_1RKiEEEvS4_S4_PT_PS8_iiii
		.amdhsa_group_segment_fixed_size 0
		.amdhsa_private_segment_fixed_size 0
		.amdhsa_kernarg_size 304
		.amdhsa_user_sgpr_count 6
		.amdhsa_user_sgpr_private_segment_buffer 1
		.amdhsa_user_sgpr_dispatch_ptr 0
		.amdhsa_user_sgpr_queue_ptr 0
		.amdhsa_user_sgpr_kernarg_segment_ptr 1
		.amdhsa_user_sgpr_dispatch_id 0
		.amdhsa_user_sgpr_flat_scratch_init 0
		.amdhsa_user_sgpr_kernarg_preload_length 0
		.amdhsa_user_sgpr_kernarg_preload_offset 0
		.amdhsa_user_sgpr_private_segment_size 0
		.amdhsa_uses_dynamic_stack 0
		.amdhsa_system_sgpr_private_segment_wavefront_offset 0
		.amdhsa_system_sgpr_workgroup_id_x 1
		.amdhsa_system_sgpr_workgroup_id_y 0
		.amdhsa_system_sgpr_workgroup_id_z 1
		.amdhsa_system_sgpr_workgroup_info 0
		.amdhsa_system_vgpr_workitem_id 1
		.amdhsa_next_free_vgpr 59
		.amdhsa_next_free_sgpr 20
		.amdhsa_accum_offset 60
		.amdhsa_reserve_vcc 1
		.amdhsa_reserve_flat_scratch 0
		.amdhsa_float_round_mode_32 0
		.amdhsa_float_round_mode_16_64 0
		.amdhsa_float_denorm_mode_32 3
		.amdhsa_float_denorm_mode_16_64 3
		.amdhsa_dx10_clamp 1
		.amdhsa_ieee_mode 1
		.amdhsa_fp16_overflow 0
		.amdhsa_tg_split 0
		.amdhsa_exception_fp_ieee_invalid_op 0
		.amdhsa_exception_fp_denorm_src 0
		.amdhsa_exception_fp_ieee_div_zero 0
		.amdhsa_exception_fp_ieee_overflow 0
		.amdhsa_exception_fp_ieee_underflow 0
		.amdhsa_exception_fp_ieee_inexact 0
		.amdhsa_exception_int_div_zero 0
	.end_amdhsa_kernel
	.section	.text._ZL9moe_vec_qIN3c108BFloat16ELi256ELi8E13block_iq3_xxsLi1EXadL_ZL20vec_dot_iq3_xxs_q8_1PKvPK10block_q8_1RKiEEEvS4_S4_PT_PS8_iiii,"axG",@progbits,_ZL9moe_vec_qIN3c108BFloat16ELi256ELi8E13block_iq3_xxsLi1EXadL_ZL20vec_dot_iq3_xxs_q8_1PKvPK10block_q8_1RKiEEEvS4_S4_PT_PS8_iiii,comdat
.Lfunc_end287:
	.size	_ZL9moe_vec_qIN3c108BFloat16ELi256ELi8E13block_iq3_xxsLi1EXadL_ZL20vec_dot_iq3_xxs_q8_1PKvPK10block_q8_1RKiEEEvS4_S4_PT_PS8_iiii, .Lfunc_end287-_ZL9moe_vec_qIN3c108BFloat16ELi256ELi8E13block_iq3_xxsLi1EXadL_ZL20vec_dot_iq3_xxs_q8_1PKvPK10block_q8_1RKiEEEvS4_S4_PT_PS8_iiii
                                        ; -- End function
	.section	.AMDGPU.csdata,"",@progbits
; Kernel info:
; codeLenInByte = 1788
; NumSgprs: 24
; NumVgprs: 59
; NumAgprs: 0
; TotalNumVgprs: 59
; ScratchSize: 0
; MemoryBound: 0
; FloatMode: 240
; IeeeMode: 1
; LDSByteSize: 0 bytes/workgroup (compile time only)
; SGPRBlocks: 2
; VGPRBlocks: 7
; NumSGPRsForWavesPerEU: 24
; NumVGPRsForWavesPerEU: 59
; AccumOffset: 60
; Occupancy: 8
; WaveLimiterHint : 1
; COMPUTE_PGM_RSRC2:SCRATCH_EN: 0
; COMPUTE_PGM_RSRC2:USER_SGPR: 6
; COMPUTE_PGM_RSRC2:TRAP_HANDLER: 0
; COMPUTE_PGM_RSRC2:TGID_X_EN: 1
; COMPUTE_PGM_RSRC2:TGID_Y_EN: 0
; COMPUTE_PGM_RSRC2:TGID_Z_EN: 1
; COMPUTE_PGM_RSRC2:TIDIG_COMP_CNT: 1
; COMPUTE_PGM_RSRC3_GFX90A:ACCUM_OFFSET: 14
; COMPUTE_PGM_RSRC3_GFX90A:TG_SPLIT: 0
	.section	.text._ZL9moe_vec_qIN3c108BFloat16ELi256ELi8E11block_iq1_sLi1EXadL_ZL18vec_dot_iq1_s_q8_1PKvPK10block_q8_1RKiEEEvS4_S4_PT_PS8_iiii,"axG",@progbits,_ZL9moe_vec_qIN3c108BFloat16ELi256ELi8E11block_iq1_sLi1EXadL_ZL18vec_dot_iq1_s_q8_1PKvPK10block_q8_1RKiEEEvS4_S4_PT_PS8_iiii,comdat
	.globl	_ZL9moe_vec_qIN3c108BFloat16ELi256ELi8E11block_iq1_sLi1EXadL_ZL18vec_dot_iq1_s_q8_1PKvPK10block_q8_1RKiEEEvS4_S4_PT_PS8_iiii ; -- Begin function _ZL9moe_vec_qIN3c108BFloat16ELi256ELi8E11block_iq1_sLi1EXadL_ZL18vec_dot_iq1_s_q8_1PKvPK10block_q8_1RKiEEEvS4_S4_PT_PS8_iiii
	.p2align	8
	.type	_ZL9moe_vec_qIN3c108BFloat16ELi256ELi8E11block_iq1_sLi1EXadL_ZL18vec_dot_iq1_s_q8_1PKvPK10block_q8_1RKiEEEvS4_S4_PT_PS8_iiii,@function
_ZL9moe_vec_qIN3c108BFloat16ELi256ELi8E11block_iq1_sLi1EXadL_ZL18vec_dot_iq1_s_q8_1PKvPK10block_q8_1RKiEEEvS4_S4_PT_PS8_iiii: ; @_ZL9moe_vec_qIN3c108BFloat16ELi256ELi8E11block_iq1_sLi1EXadL_ZL18vec_dot_iq1_s_q8_1PKvPK10block_q8_1RKiEEEvS4_S4_PT_PS8_iiii
; %bb.0:
	s_mov_b32 s8, s7
	s_load_dword s7, s[4:5], 0x3c
	s_load_dwordx4 s[0:3], s[4:5], 0x20
	v_bfe_u32 v1, v0, 10, 10
	s_waitcnt lgkmcnt(0)
	s_lshr_b32 s7, s7, 16
	s_mul_i32 s6, s6, s7
	v_add_u32_e32 v1, s6, v1
	v_cmp_gt_u32_e32 vcc, s2, v1
	s_and_saveexec_b64 s[6:7], vcc
	s_cbranch_execz .LBB288_7
; %bb.1:
	v_cvt_f32_u32_e32 v2, s0
	s_load_dwordx2 s[6:7], s[4:5], 0x10
	s_ashr_i32 s9, s1, 31
	s_lshr_b32 s9, s9, 24
	v_rcp_iflag_f32_e32 v4, v2
	v_and_b32_e32 v2, 0x3ff, v0
	s_add_i32 s1, s1, s9
	v_lshrrev_b32_e32 v3, 3, v2
	v_mul_f32_e32 v0, 0x4f7ffffe, v4
	v_cvt_u32_f32_e32 v0, v0
	s_ashr_i32 s14, s1, 8
	v_cmp_gt_u32_e32 vcc, s14, v3
	v_mov_b32_e32 v4, 0
	v_readfirstlane_b32 s1, v0
	s_and_saveexec_b64 s[10:11], vcc
	s_cbranch_execz .LBB288_5
; %bb.2:
	s_sub_i32 s12, 0, s0
	s_mul_i32 s15, s12, s1
	s_load_dwordx4 s[16:19], s[4:5], 0x0
	s_load_dwordx2 s[12:13], s[4:5], 0x18
	s_mov_b32 s9, 0
	s_mul_hi_u32 s4, s1, s15
	s_add_i32 s1, s1, s4
	s_lshl_b64 s[4:5], s[8:9], 2
	s_waitcnt lgkmcnt(0)
	s_add_u32 s4, s12, s4
	s_mul_hi_u32 s1, s8, s1
	s_addc_u32 s5, s13, s5
	s_load_dword s4, s[4:5], 0x0
	s_mul_i32 s5, s1, s0
	s_sub_i32 s5, s8, s5
	s_add_i32 s12, s1, 1
	s_sub_i32 s13, s5, s0
	s_cmp_ge_u32 s5, s0
	s_cselect_b32 s1, s12, s1
	s_cselect_b32 s5, s13, s5
	s_add_i32 s12, s1, 1
	s_cmp_ge_u32 s5, s0
	s_mul_i32 s0, s14, s2
	s_waitcnt lgkmcnt(0)
	s_mul_i32 s0, s0, s4
	s_cselect_b32 s5, s12, s1
	s_mul_hi_i32 s1, s0, 50
	s_mul_i32 s0, s0, 50
	s_add_u32 s0, s16, s0
	s_mul_i32 s4, s5, s3
	s_mov_b32 s5, s9
	s_addc_u32 s1, s17, s1
	s_lshl_b64 s[4:5], s[4:5], 2
	v_and_b32_e32 v0, 7, v2
	s_add_u32 s4, s18, s4
	v_lshlrev_b32_e32 v8, 1, v0
	s_addc_u32 s5, s19, s5
	v_mul_lo_u32 v5, v1, s14
	v_mov_b32_e32 v4, 0
	v_lshlrev_b32_e32 v6, 3, v3
	s_mov_b64 s[12:13], 0
	v_lshlrev_b32_e32 v7, 1, v8
	v_lshlrev_b32_e32 v8, 1, v0
	s_movk_i32 s3, 0x700
.LBB288_3:                              ; =>This Inner Loop Header: Depth=1
	v_add_u32_e32 v9, v5, v3
	v_mad_i64_i32 v[18:19], s[16:17], v9, 50, s[0:1]
	v_add_co_u32_e32 v10, vcc, v18, v7
	v_addc_co_u32_e32 v11, vcc, 0, v19, vcc
	v_add_co_u32_e32 v12, vcc, v18, v8
	v_addc_co_u32_e32 v13, vcc, 0, v19, vcc
	global_load_dword v9, v[10:11], off offset:2
	global_load_ushort v22, v[12:13], off offset:34
	v_mad_i64_i32 v[10:11], s[16:17], v6, 36, s[4:5]
	v_mad_u64_u32 v[20:21], s[18:19], v0, 36, v[10:11]
	global_load_dwordx4 v[10:13], v[20:21], off
	global_load_dwordx4 v[14:17], v[20:21], off offset:16
	global_load_ushort v23, v[18:19], off
	s_getpc_b64 s[16:17]
	s_add_u32 s16, s16, _ZL13iq1s_grid_gpu@rel32@lo+4
	s_addc_u32 s17, s17, _ZL13iq1s_grid_gpu@rel32@hi+12
	v_add_u32_e32 v3, 8, v3
	v_cmp_le_u32_e32 vcc, s14, v3
	v_add_u32_e32 v6, 64, v6
	s_or_b64 s[12:13], vcc, s[12:13]
	s_waitcnt vmcnt(4)
	v_and_b32_e32 v24, 0xff, v9
	s_waitcnt vmcnt(3)
	v_lshlrev_b32_e32 v25, 8, v22
	v_lshrrev_b16_e32 v18, 8, v9
	v_lshrrev_b32_e32 v19, 24, v9
	v_lshlrev_b32_e32 v26, 5, v22
	v_bfe_u32 v9, v9, 16, 8
	v_lshlrev_b32_e32 v27, 2, v22
	v_lshrrev_b32_e32 v28, 1, v22
	v_and_or_b32 v24, v25, s3, v24
	v_and_or_b32 v18, v26, s3, v18
	;; [unrolled: 1-line block ×4, first 2 shown]
	v_lshlrev_b32_e32 v24, 3, v24
	v_lshlrev_b32_e32 v18, 3, v18
	;; [unrolled: 1-line block ×4, first 2 shown]
	global_load_dword v25, v24, s[16:17]
	global_load_dword v26, v18, s[16:17]
	;; [unrolled: 1-line block ×4, first 2 shown]
	global_load_dword v29, v[20:21], off offset:32
	v_lshrrev_b32_e32 v18, 11, v22
	v_mov_b32_e32 v9, 0
	s_waitcnt vmcnt(7)
	v_cvt_f32_f16_e32 v20, v10
	v_cvt_f32_f16_sdwa v21, v10 dst_sel:DWORD dst_unused:UNUSED_PAD src0_sel:WORD_1
	s_waitcnt vmcnt(5)
	v_cvt_f32_f16_e32 v10, v23
	v_and_or_b32 v23, v18, 14, 1
	v_and_b32_e32 v22, 0x8000, v22
	v_cvt_f32_u32_e32 v22, v22
	v_mov_b32_e32 v19, 0xbf600000
	v_fmac_f32_e32 v19, 0xb7000000, v22
	s_waitcnt vmcnt(4)
	v_and_b32_e32 v18, 0xf0f0f0f, v25
	v_lshrrev_b32_e32 v24, 4, v25
	v_and_b32_e32 v24, 0xf0f0f0f, v24
	v_dot4c_i32_i8_e32 v9, v18, v11
	s_waitcnt vmcnt(3)
	v_and_b32_e32 v25, 0xf0f0f0f, v26
	v_lshrrev_b32_e32 v26, 4, v26
	v_dot4c_i32_i8_e32 v9, v24, v12
	v_and_b32_e32 v11, 0xf0f0f0f, v26
	v_dot4c_i32_i8_e32 v9, v25, v13
	s_waitcnt vmcnt(2)
	v_and_b32_e32 v30, 0xf0f0f0f, v27
	v_lshrrev_b32_e32 v27, 4, v27
	v_dot4c_i32_i8_e32 v9, v11, v14
	v_and_b32_e32 v18, 0xf0f0f0f, v27
	v_dot4c_i32_i8_e32 v9, v30, v15
	s_waitcnt vmcnt(1)
	v_and_b32_e32 v31, 0xf0f0f0f, v28
	v_lshrrev_b32_e32 v28, 4, v28
	v_dot4c_i32_i8_e32 v9, v18, v16
	v_and_b32_e32 v26, 0xf0f0f0f, v28
	v_dot4c_i32_i8_e32 v9, v31, v17
	s_waitcnt vmcnt(0)
	v_dot4c_i32_i8_e32 v9, v26, v29
	s_nop 2
	v_cvt_f32_i32_e32 v18, v9
	v_cvt_f32_ubyte0_e32 v9, v23
	v_mul_f32_e32 v9, v9, v10
	v_pk_mul_f32 v[10:11], v[18:19], v[20:21]
	v_add_f32_e32 v10, v10, v11
	v_fmac_f32_e32 v4, v9, v10
	s_andn2_b64 exec, exec, s[12:13]
	s_cbranch_execnz .LBB288_3
; %bb.4:
	s_or_b64 exec, exec, s[12:13]
.LBB288_5:
	s_or_b64 exec, exec, s[10:11]
	v_mbcnt_lo_u32_b32 v0, -1, 0
	v_mbcnt_hi_u32_b32 v3, -1, v0
	v_and_b32_e32 v0, 64, v3
	v_add_u32_e32 v5, 64, v0
	v_xor_b32_e32 v0, 32, v3
	v_cmp_lt_i32_e32 vcc, v0, v5
	v_cndmask_b32_e32 v0, v3, v0, vcc
	v_lshlrev_b32_e32 v0, 2, v0
	ds_bpermute_b32 v0, v0, v4
	v_xor_b32_e32 v6, 16, v3
	v_cmp_lt_i32_e32 vcc, v6, v5
	s_waitcnt lgkmcnt(0)
	v_add_f32_e32 v0, v4, v0
	v_cndmask_b32_e32 v4, v3, v6, vcc
	v_lshlrev_b32_e32 v4, 2, v4
	ds_bpermute_b32 v4, v4, v0
	v_xor_b32_e32 v6, 8, v3
	v_cmp_lt_i32_e32 vcc, v6, v5
	s_waitcnt lgkmcnt(0)
	v_add_f32_e32 v0, v0, v4
	;; [unrolled: 7-line block ×4, first 2 shown]
	v_cndmask_b32_e32 v4, v3, v6, vcc
	v_lshlrev_b32_e32 v4, 2, v4
	ds_bpermute_b32 v4, v4, v0
	v_xor_b32_e32 v6, 1, v3
	v_cmp_lt_i32_e32 vcc, v6, v5
	v_cndmask_b32_e32 v3, v3, v6, vcc
	v_lshlrev_b32_e32 v3, 2, v3
	s_waitcnt lgkmcnt(0)
	v_add_f32_e32 v0, v0, v4
	ds_bpermute_b32 v3, v3, v0
	v_cmp_eq_u32_e32 vcc, 0, v2
	s_and_b64 exec, exec, vcc
	s_cbranch_execz .LBB288_7
; %bb.6:
	s_waitcnt lgkmcnt(0)
	v_add_f32_e32 v0, v0, v3
	v_bfe_u32 v2, v0, 16, 1
	s_movk_i32 s0, 0x7fff
	v_add3_u32 v2, v0, v2, s0
	s_mul_i32 s0, s8, s2
	v_cmp_o_f32_e32 vcc, v0, v0
	v_add_u32_e32 v0, s0, v1
	v_mov_b32_e32 v1, 0
	v_lshrrev_b32_e32 v2, 16, v2
	v_mov_b32_e32 v3, 0x7fc0
	v_lshlrev_b64 v[0:1], 1, v[0:1]
	v_cndmask_b32_e32 v2, v3, v2, vcc
	v_mov_b32_e32 v3, s7
	v_add_co_u32_e32 v0, vcc, s6, v0
	v_addc_co_u32_e32 v1, vcc, v3, v1, vcc
	global_store_short v[0:1], v2, off
.LBB288_7:
	s_endpgm
	.section	.rodata,"a",@progbits
	.p2align	6, 0x0
	.amdhsa_kernel _ZL9moe_vec_qIN3c108BFloat16ELi256ELi8E11block_iq1_sLi1EXadL_ZL18vec_dot_iq1_s_q8_1PKvPK10block_q8_1RKiEEEvS4_S4_PT_PS8_iiii
		.amdhsa_group_segment_fixed_size 0
		.amdhsa_private_segment_fixed_size 0
		.amdhsa_kernarg_size 304
		.amdhsa_user_sgpr_count 6
		.amdhsa_user_sgpr_private_segment_buffer 1
		.amdhsa_user_sgpr_dispatch_ptr 0
		.amdhsa_user_sgpr_queue_ptr 0
		.amdhsa_user_sgpr_kernarg_segment_ptr 1
		.amdhsa_user_sgpr_dispatch_id 0
		.amdhsa_user_sgpr_flat_scratch_init 0
		.amdhsa_user_sgpr_kernarg_preload_length 0
		.amdhsa_user_sgpr_kernarg_preload_offset 0
		.amdhsa_user_sgpr_private_segment_size 0
		.amdhsa_uses_dynamic_stack 0
		.amdhsa_system_sgpr_private_segment_wavefront_offset 0
		.amdhsa_system_sgpr_workgroup_id_x 1
		.amdhsa_system_sgpr_workgroup_id_y 0
		.amdhsa_system_sgpr_workgroup_id_z 1
		.amdhsa_system_sgpr_workgroup_info 0
		.amdhsa_system_vgpr_workitem_id 1
		.amdhsa_next_free_vgpr 32
		.amdhsa_next_free_sgpr 20
		.amdhsa_accum_offset 32
		.amdhsa_reserve_vcc 1
		.amdhsa_reserve_flat_scratch 0
		.amdhsa_float_round_mode_32 0
		.amdhsa_float_round_mode_16_64 0
		.amdhsa_float_denorm_mode_32 3
		.amdhsa_float_denorm_mode_16_64 3
		.amdhsa_dx10_clamp 1
		.amdhsa_ieee_mode 1
		.amdhsa_fp16_overflow 0
		.amdhsa_tg_split 0
		.amdhsa_exception_fp_ieee_invalid_op 0
		.amdhsa_exception_fp_denorm_src 0
		.amdhsa_exception_fp_ieee_div_zero 0
		.amdhsa_exception_fp_ieee_overflow 0
		.amdhsa_exception_fp_ieee_underflow 0
		.amdhsa_exception_fp_ieee_inexact 0
		.amdhsa_exception_int_div_zero 0
	.end_amdhsa_kernel
	.section	.text._ZL9moe_vec_qIN3c108BFloat16ELi256ELi8E11block_iq1_sLi1EXadL_ZL18vec_dot_iq1_s_q8_1PKvPK10block_q8_1RKiEEEvS4_S4_PT_PS8_iiii,"axG",@progbits,_ZL9moe_vec_qIN3c108BFloat16ELi256ELi8E11block_iq1_sLi1EXadL_ZL18vec_dot_iq1_s_q8_1PKvPK10block_q8_1RKiEEEvS4_S4_PT_PS8_iiii,comdat
.Lfunc_end288:
	.size	_ZL9moe_vec_qIN3c108BFloat16ELi256ELi8E11block_iq1_sLi1EXadL_ZL18vec_dot_iq1_s_q8_1PKvPK10block_q8_1RKiEEEvS4_S4_PT_PS8_iiii, .Lfunc_end288-_ZL9moe_vec_qIN3c108BFloat16ELi256ELi8E11block_iq1_sLi1EXadL_ZL18vec_dot_iq1_s_q8_1PKvPK10block_q8_1RKiEEEvS4_S4_PT_PS8_iiii
                                        ; -- End function
	.section	.AMDGPU.csdata,"",@progbits
; Kernel info:
; codeLenInByte = 1140
; NumSgprs: 24
; NumVgprs: 32
; NumAgprs: 0
; TotalNumVgprs: 32
; ScratchSize: 0
; MemoryBound: 0
; FloatMode: 240
; IeeeMode: 1
; LDSByteSize: 0 bytes/workgroup (compile time only)
; SGPRBlocks: 2
; VGPRBlocks: 3
; NumSGPRsForWavesPerEU: 24
; NumVGPRsForWavesPerEU: 32
; AccumOffset: 32
; Occupancy: 8
; WaveLimiterHint : 1
; COMPUTE_PGM_RSRC2:SCRATCH_EN: 0
; COMPUTE_PGM_RSRC2:USER_SGPR: 6
; COMPUTE_PGM_RSRC2:TRAP_HANDLER: 0
; COMPUTE_PGM_RSRC2:TGID_X_EN: 1
; COMPUTE_PGM_RSRC2:TGID_Y_EN: 0
; COMPUTE_PGM_RSRC2:TGID_Z_EN: 1
; COMPUTE_PGM_RSRC2:TIDIG_COMP_CNT: 1
; COMPUTE_PGM_RSRC3_GFX90A:ACCUM_OFFSET: 7
; COMPUTE_PGM_RSRC3_GFX90A:TG_SPLIT: 0
	.section	.text._ZL9moe_vec_qIN3c108BFloat16ELi32ELi4E12block_iq4_nlLi2EXadL_ZL19vec_dot_iq4_nl_q8_1PKvPK10block_q8_1RKiEEEvS4_S4_PT_PS8_iiii,"axG",@progbits,_ZL9moe_vec_qIN3c108BFloat16ELi32ELi4E12block_iq4_nlLi2EXadL_ZL19vec_dot_iq4_nl_q8_1PKvPK10block_q8_1RKiEEEvS4_S4_PT_PS8_iiii,comdat
	.globl	_ZL9moe_vec_qIN3c108BFloat16ELi32ELi4E12block_iq4_nlLi2EXadL_ZL19vec_dot_iq4_nl_q8_1PKvPK10block_q8_1RKiEEEvS4_S4_PT_PS8_iiii ; -- Begin function _ZL9moe_vec_qIN3c108BFloat16ELi32ELi4E12block_iq4_nlLi2EXadL_ZL19vec_dot_iq4_nl_q8_1PKvPK10block_q8_1RKiEEEvS4_S4_PT_PS8_iiii
	.p2align	8
	.type	_ZL9moe_vec_qIN3c108BFloat16ELi32ELi4E12block_iq4_nlLi2EXadL_ZL19vec_dot_iq4_nl_q8_1PKvPK10block_q8_1RKiEEEvS4_S4_PT_PS8_iiii,@function
_ZL9moe_vec_qIN3c108BFloat16ELi32ELi4E12block_iq4_nlLi2EXadL_ZL19vec_dot_iq4_nl_q8_1PKvPK10block_q8_1RKiEEEvS4_S4_PT_PS8_iiii: ; @_ZL9moe_vec_qIN3c108BFloat16ELi32ELi4E12block_iq4_nlLi2EXadL_ZL19vec_dot_iq4_nl_q8_1PKvPK10block_q8_1RKiEEEvS4_S4_PT_PS8_iiii
; %bb.0:
	s_mov_b32 s8, s7
	s_load_dword s7, s[4:5], 0x3c
	s_load_dwordx4 s[0:3], s[4:5], 0x20
	v_bfe_u32 v1, v0, 10, 10
	s_waitcnt lgkmcnt(0)
	s_lshr_b32 s7, s7, 16
	s_mul_i32 s6, s6, s7
	v_add_u32_e32 v1, s6, v1
	v_cmp_gt_u32_e32 vcc, s2, v1
	s_and_saveexec_b64 s[6:7], vcc
	s_cbranch_execz .LBB289_7
; %bb.1:
	v_cvt_f32_u32_e32 v2, s0
	s_load_dwordx2 s[6:7], s[4:5], 0x10
	s_ashr_i32 s9, s1, 31
	s_lshr_b32 s9, s9, 27
	v_rcp_iflag_f32_e32 v3, v2
	v_and_b32_e32 v0, 0x3ff, v0
	s_add_i32 s1, s1, s9
	v_lshrrev_b32_e32 v2, 1, v0
	v_mul_f32_e32 v3, 0x4f7ffffe, v3
	v_cvt_u32_f32_e32 v3, v3
	s_ashr_i32 s16, s1, 5
	v_cmp_gt_u32_e32 vcc, s16, v2
	v_readfirstlane_b32 s1, v3
	v_mov_b32_e32 v3, 0
	s_and_saveexec_b64 s[10:11], vcc
	s_cbranch_execz .LBB289_5
; %bb.2:
	s_sub_i32 s12, 0, s0
	s_mul_i32 s17, s12, s1
	s_load_dwordx4 s[12:15], s[4:5], 0x0
	s_load_dwordx2 s[18:19], s[4:5], 0x18
	s_mov_b32 s9, 0
	s_mul_hi_u32 s4, s1, s17
	s_add_i32 s1, s1, s4
	s_lshl_b64 s[4:5], s[8:9], 2
	s_waitcnt lgkmcnt(0)
	s_add_u32 s4, s18, s4
	s_mul_hi_u32 s1, s8, s1
	s_addc_u32 s5, s19, s5
	s_load_dword s4, s[4:5], 0x0
	s_mul_i32 s5, s1, s0
	s_sub_i32 s5, s8, s5
	s_add_i32 s17, s1, 1
	s_sub_i32 s18, s5, s0
	s_cmp_ge_u32 s5, s0
	s_cselect_b32 s1, s17, s1
	s_cselect_b32 s5, s18, s5
	s_add_i32 s17, s1, 1
	s_cmp_ge_u32 s5, s0
	s_mul_i32 s0, s16, s2
	s_waitcnt lgkmcnt(0)
	s_mul_i32 s0, s0, s4
	s_cselect_b32 s5, s17, s1
	s_mul_hi_i32 s1, s0, 18
	s_mul_i32 s0, s0, 18
	s_add_u32 s0, s12, s0
	s_mul_i32 s4, s5, s3
	s_mov_b32 s5, s9
	v_lshlrev_b32_e32 v3, 1, v0
	s_addc_u32 s1, s13, s1
	s_lshl_b64 s[4:5], s[4:5], 2
	v_and_b32_e32 v6, 2, v3
	s_add_u32 s4, s14, s4
	v_lshlrev_b32_e32 v8, 1, v6
	s_addc_u32 s5, s15, s5
	v_mul_lo_u32 v4, v1, s16
	v_mov_b32_e32 v3, 0
	s_mov_b64 s[12:13], 0
	v_lshlrev_b32_e32 v5, 1, v8
	v_lshlrev_b32_e32 v6, 2, v6
.LBB289_3:                              ; =>This Inner Loop Header: Depth=1
	v_add_u32_e32 v7, v4, v2
	v_mad_i64_i32 v[8:9], s[14:15], v7, 18, s[0:1]
	v_add_co_u32_e32 v10, vcc, v8, v5
	v_addc_co_u32_e32 v11, vcc, 0, v9, vcc
	global_load_dwordx2 v[10:11], v[10:11], off offset:2
	v_mad_i64_i32 v[12:13], s[14:15], v2, 36, s[4:5]
	v_add_co_u32_e32 v14, vcc, v12, v6
	v_addc_co_u32_e32 v15, vcc, 0, v13, vcc
	s_getpc_b64 s[14:15]
	s_add_u32 s14, s14, _ZL13kvalues_iq4nl@rel32@lo+4
	s_addc_u32 s15, s15, _ZL13kvalues_iq4nl@rel32@hi+12
	global_load_dword v7, v[12:13], off
	global_load_dwordx2 v[16:17], v[14:15], off offset:4
	global_load_dwordx2 v[18:19], v[14:15], off offset:20
	v_add_u32_e32 v2, 32, v2
	v_cmp_le_u32_e32 vcc, s16, v2
	s_or_b64 s[12:13], vcc, s[12:13]
	s_waitcnt vmcnt(3)
	v_bfe_u32 v12, v10, 24, 4
	v_and_b32_e32 v13, 15, v10
	v_bfe_u32 v14, v10, 8, 4
	v_bfe_u32 v15, v10, 16, 4
	;; [unrolled: 1-line block ×4, first 2 shown]
	v_lshrrev_b32_e32 v22, 28, v10
	v_bfe_u32 v10, v10, 4, 4
	v_bfe_u32 v23, v11, 24, 4
	v_and_b32_e32 v24, 15, v11
	v_bfe_u32 v25, v11, 8, 4
	v_bfe_u32 v26, v11, 16, 4
	;; [unrolled: 1-line block ×4, first 2 shown]
	v_lshrrev_b32_e32 v29, 28, v11
	v_bfe_u32 v11, v11, 4, 4
	global_load_ubyte v30, v14, s[14:15]
	global_load_ubyte v31, v15, s[14:15]
	;; [unrolled: 1-line block ×15, first 2 shown]
                                        ; kill: killed $vgpr28
                                        ; kill: killed $vgpr15
                                        ; kill: killed $vgpr12
                                        ; kill: killed $vgpr14
                                        ; kill: killed $vgpr20
                                        ; kill: killed $vgpr29
                                        ; kill: killed $vgpr22
                                        ; kill: killed $vgpr27
                                        ; kill: killed $vgpr26
                                        ; kill: killed $vgpr21
                                        ; kill: killed $vgpr25
                                        ; kill: killed $vgpr11
                                        ; kill: killed $vgpr13
                                        ; kill: killed $vgpr10
                                        ; kill: killed $vgpr24
	global_load_ubyte v10, v23, s[14:15]
	s_nop 0
	global_load_ushort v11, v[8:9], off
	v_mov_b32_e32 v8, 0
	v_mov_b32_e32 v9, 0
	s_waitcnt vmcnt(19)
	v_cvt_f32_f16_e32 v7, v7
	s_waitcnt vmcnt(15)
	v_lshlrev_b32_e32 v13, 16, v31
	s_waitcnt vmcnt(13)
	v_lshlrev_b32_e32 v20, 16, v33
	s_waitcnt vmcnt(12)
	v_lshl_or_b32 v21, v32, 8, v34
	s_waitcnt vmcnt(11)
	v_lshlrev_b32_e32 v15, 24, v35
	s_waitcnt vmcnt(10)
	v_lshl_or_b32 v14, v30, 8, v36
	s_waitcnt vmcnt(9)
	v_lshlrev_b32_e32 v12, 24, v37
	v_or3_b32 v12, v14, v13, v12
	s_waitcnt vmcnt(7)
	v_lshlrev_b32_e32 v22, 16, v39
	v_or3_b32 v13, v21, v20, v15
	s_waitcnt vmcnt(5)
	v_lshlrev_b32_e32 v25, 16, v41
	s_waitcnt vmcnt(4)
	v_lshl_or_b32 v26, v40, 8, v42
	s_waitcnt vmcnt(3)
	v_lshlrev_b32_e32 v24, 24, v43
	s_waitcnt vmcnt(2)
	v_lshl_or_b32 v23, v38, 8, v44
	v_or3_b32 v14, v26, v25, v24
	v_dot4c_i32_i8_e32 v8, v12, v16
	v_dot4c_i32_i8_e32 v9, v13, v18
	;; [unrolled: 1-line block ×3, first 2 shown]
	s_waitcnt vmcnt(1)
	v_lshlrev_b32_e32 v10, 24, v10
	v_or3_b32 v10, v23, v22, v10
	v_dot4c_i32_i8_e32 v8, v10, v17
	s_waitcnt vmcnt(0)
	v_cvt_f32_f16_e32 v11, v11
	v_mul_f32_e32 v7, v11, v7
	v_add_u32_e32 v8, v9, v8
	v_cvt_f32_i32_e32 v8, v8
	v_fmac_f32_e32 v3, v7, v8
	s_andn2_b64 exec, exec, s[12:13]
	s_cbranch_execnz .LBB289_3
; %bb.4:
	s_or_b64 exec, exec, s[12:13]
.LBB289_5:
	s_or_b64 exec, exec, s[10:11]
	v_mbcnt_lo_u32_b32 v2, -1, 0
	v_mbcnt_hi_u32_b32 v4, -1, v2
	v_and_b32_e32 v2, 64, v4
	v_add_u32_e32 v5, 64, v2
	v_xor_b32_e32 v2, 32, v4
	v_cmp_lt_i32_e32 vcc, v2, v5
	v_cndmask_b32_e32 v2, v4, v2, vcc
	v_lshlrev_b32_e32 v2, 2, v2
	ds_bpermute_b32 v2, v2, v3
	v_xor_b32_e32 v6, 16, v4
	v_cmp_lt_i32_e32 vcc, v6, v5
	s_waitcnt lgkmcnt(0)
	v_add_f32_e32 v2, v3, v2
	v_cndmask_b32_e32 v3, v4, v6, vcc
	v_lshlrev_b32_e32 v3, 2, v3
	ds_bpermute_b32 v3, v3, v2
	v_xor_b32_e32 v6, 8, v4
	v_cmp_lt_i32_e32 vcc, v6, v5
	s_waitcnt lgkmcnt(0)
	v_add_f32_e32 v2, v2, v3
	;; [unrolled: 7-line block ×5, first 2 shown]
	v_cndmask_b32_e32 v3, v4, v6, vcc
	v_lshlrev_b32_e32 v3, 2, v3
	ds_bpermute_b32 v3, v3, v2
	v_cmp_eq_u32_e32 vcc, 0, v0
	s_and_b64 exec, exec, vcc
	s_cbranch_execz .LBB289_7
; %bb.6:
	s_waitcnt lgkmcnt(0)
	v_add_f32_e32 v0, v2, v3
	v_bfe_u32 v2, v0, 16, 1
	s_movk_i32 s0, 0x7fff
	v_add3_u32 v2, v0, v2, s0
	s_mul_i32 s0, s8, s2
	v_cmp_o_f32_e32 vcc, v0, v0
	v_add_u32_e32 v0, s0, v1
	v_mov_b32_e32 v1, 0
	v_lshrrev_b32_e32 v2, 16, v2
	v_mov_b32_e32 v3, 0x7fc0
	v_lshlrev_b64 v[0:1], 1, v[0:1]
	v_cndmask_b32_e32 v2, v3, v2, vcc
	v_mov_b32_e32 v3, s7
	v_add_co_u32_e32 v0, vcc, s6, v0
	v_addc_co_u32_e32 v1, vcc, v3, v1, vcc
	global_store_short v[0:1], v2, off
.LBB289_7:
	s_endpgm
	.section	.rodata,"a",@progbits
	.p2align	6, 0x0
	.amdhsa_kernel _ZL9moe_vec_qIN3c108BFloat16ELi32ELi4E12block_iq4_nlLi2EXadL_ZL19vec_dot_iq4_nl_q8_1PKvPK10block_q8_1RKiEEEvS4_S4_PT_PS8_iiii
		.amdhsa_group_segment_fixed_size 0
		.amdhsa_private_segment_fixed_size 0
		.amdhsa_kernarg_size 304
		.amdhsa_user_sgpr_count 6
		.amdhsa_user_sgpr_private_segment_buffer 1
		.amdhsa_user_sgpr_dispatch_ptr 0
		.amdhsa_user_sgpr_queue_ptr 0
		.amdhsa_user_sgpr_kernarg_segment_ptr 1
		.amdhsa_user_sgpr_dispatch_id 0
		.amdhsa_user_sgpr_flat_scratch_init 0
		.amdhsa_user_sgpr_kernarg_preload_length 0
		.amdhsa_user_sgpr_kernarg_preload_offset 0
		.amdhsa_user_sgpr_private_segment_size 0
		.amdhsa_uses_dynamic_stack 0
		.amdhsa_system_sgpr_private_segment_wavefront_offset 0
		.amdhsa_system_sgpr_workgroup_id_x 1
		.amdhsa_system_sgpr_workgroup_id_y 0
		.amdhsa_system_sgpr_workgroup_id_z 1
		.amdhsa_system_sgpr_workgroup_info 0
		.amdhsa_system_vgpr_workitem_id 1
		.amdhsa_next_free_vgpr 45
		.amdhsa_next_free_sgpr 20
		.amdhsa_accum_offset 48
		.amdhsa_reserve_vcc 1
		.amdhsa_reserve_flat_scratch 0
		.amdhsa_float_round_mode_32 0
		.amdhsa_float_round_mode_16_64 0
		.amdhsa_float_denorm_mode_32 3
		.amdhsa_float_denorm_mode_16_64 3
		.amdhsa_dx10_clamp 1
		.amdhsa_ieee_mode 1
		.amdhsa_fp16_overflow 0
		.amdhsa_tg_split 0
		.amdhsa_exception_fp_ieee_invalid_op 0
		.amdhsa_exception_fp_denorm_src 0
		.amdhsa_exception_fp_ieee_div_zero 0
		.amdhsa_exception_fp_ieee_overflow 0
		.amdhsa_exception_fp_ieee_underflow 0
		.amdhsa_exception_fp_ieee_inexact 0
		.amdhsa_exception_int_div_zero 0
	.end_amdhsa_kernel
	.section	.text._ZL9moe_vec_qIN3c108BFloat16ELi32ELi4E12block_iq4_nlLi2EXadL_ZL19vec_dot_iq4_nl_q8_1PKvPK10block_q8_1RKiEEEvS4_S4_PT_PS8_iiii,"axG",@progbits,_ZL9moe_vec_qIN3c108BFloat16ELi32ELi4E12block_iq4_nlLi2EXadL_ZL19vec_dot_iq4_nl_q8_1PKvPK10block_q8_1RKiEEEvS4_S4_PT_PS8_iiii,comdat
.Lfunc_end289:
	.size	_ZL9moe_vec_qIN3c108BFloat16ELi32ELi4E12block_iq4_nlLi2EXadL_ZL19vec_dot_iq4_nl_q8_1PKvPK10block_q8_1RKiEEEvS4_S4_PT_PS8_iiii, .Lfunc_end289-_ZL9moe_vec_qIN3c108BFloat16ELi32ELi4E12block_iq4_nlLi2EXadL_ZL19vec_dot_iq4_nl_q8_1PKvPK10block_q8_1RKiEEEvS4_S4_PT_PS8_iiii
                                        ; -- End function
	.section	.AMDGPU.csdata,"",@progbits
; Kernel info:
; codeLenInByte = 1204
; NumSgprs: 24
; NumVgprs: 45
; NumAgprs: 0
; TotalNumVgprs: 45
; ScratchSize: 0
; MemoryBound: 0
; FloatMode: 240
; IeeeMode: 1
; LDSByteSize: 0 bytes/workgroup (compile time only)
; SGPRBlocks: 2
; VGPRBlocks: 5
; NumSGPRsForWavesPerEU: 24
; NumVGPRsForWavesPerEU: 45
; AccumOffset: 48
; Occupancy: 8
; WaveLimiterHint : 1
; COMPUTE_PGM_RSRC2:SCRATCH_EN: 0
; COMPUTE_PGM_RSRC2:USER_SGPR: 6
; COMPUTE_PGM_RSRC2:TRAP_HANDLER: 0
; COMPUTE_PGM_RSRC2:TGID_X_EN: 1
; COMPUTE_PGM_RSRC2:TGID_Y_EN: 0
; COMPUTE_PGM_RSRC2:TGID_Z_EN: 1
; COMPUTE_PGM_RSRC2:TIDIG_COMP_CNT: 1
; COMPUTE_PGM_RSRC3_GFX90A:ACCUM_OFFSET: 11
; COMPUTE_PGM_RSRC3_GFX90A:TG_SPLIT: 0
	.section	.text._ZL9moe_vec_qIN3c108BFloat16ELi256ELi8E11block_iq3_sLi1EXadL_ZL18vec_dot_iq3_s_q8_1PKvPK10block_q8_1RKiEEEvS4_S4_PT_PS8_iiii,"axG",@progbits,_ZL9moe_vec_qIN3c108BFloat16ELi256ELi8E11block_iq3_sLi1EXadL_ZL18vec_dot_iq3_s_q8_1PKvPK10block_q8_1RKiEEEvS4_S4_PT_PS8_iiii,comdat
	.globl	_ZL9moe_vec_qIN3c108BFloat16ELi256ELi8E11block_iq3_sLi1EXadL_ZL18vec_dot_iq3_s_q8_1PKvPK10block_q8_1RKiEEEvS4_S4_PT_PS8_iiii ; -- Begin function _ZL9moe_vec_qIN3c108BFloat16ELi256ELi8E11block_iq3_sLi1EXadL_ZL18vec_dot_iq3_s_q8_1PKvPK10block_q8_1RKiEEEvS4_S4_PT_PS8_iiii
	.p2align	8
	.type	_ZL9moe_vec_qIN3c108BFloat16ELi256ELi8E11block_iq3_sLi1EXadL_ZL18vec_dot_iq3_s_q8_1PKvPK10block_q8_1RKiEEEvS4_S4_PT_PS8_iiii,@function
_ZL9moe_vec_qIN3c108BFloat16ELi256ELi8E11block_iq3_sLi1EXadL_ZL18vec_dot_iq3_s_q8_1PKvPK10block_q8_1RKiEEEvS4_S4_PT_PS8_iiii: ; @_ZL9moe_vec_qIN3c108BFloat16ELi256ELi8E11block_iq3_sLi1EXadL_ZL18vec_dot_iq3_s_q8_1PKvPK10block_q8_1RKiEEEvS4_S4_PT_PS8_iiii
; %bb.0:
	s_mov_b32 s8, s7
	s_load_dword s7, s[4:5], 0x3c
	s_load_dwordx4 s[0:3], s[4:5], 0x20
	v_bfe_u32 v1, v0, 10, 10
	s_waitcnt lgkmcnt(0)
	s_lshr_b32 s7, s7, 16
	s_mul_i32 s6, s6, s7
	v_add_u32_e32 v1, s6, v1
	v_cmp_gt_u32_e32 vcc, s2, v1
	s_and_saveexec_b64 s[6:7], vcc
	s_cbranch_execz .LBB290_9
; %bb.1:
	s_load_dwordx2 s[6:7], s[4:5], 0x10
	s_ashr_i32 s9, s1, 31
	s_lshr_b32 s9, s9, 24
	s_add_i32 s1, s1, s9
	v_and_b32_e32 v5, 0x3ff, v0
	s_ashr_i32 s12, s1, 8
	v_lshrrev_b32_e32 v22, 3, v5
	v_cmp_gt_u32_e32 vcc, s12, v22
	v_mov_b32_e32 v23, 0
	s_and_saveexec_b64 s[10:11], vcc
	s_cbranch_execz .LBB290_7
; %bb.2:
	s_load_dwordx2 s[14:15], s[4:5], 0x18
	v_cvt_f32_u32_e32 v0, s0
	s_mov_b32 s9, 0
	s_lshl_b64 s[16:17], s[8:9], 2
	v_lshlrev_b32_e32 v6, 2, v5
	s_waitcnt lgkmcnt(0)
	s_add_u32 s14, s14, s16
	v_rcp_iflag_f32_e32 v0, v0
	s_addc_u32 s15, s15, s17
	s_load_dword s1, s[14:15], 0x0
	s_load_dwordx4 s[16:19], s[4:5], 0x0
	s_mul_i32 s5, s12, s2
	v_mul_f32_e32 v0, 0x4f7ffffe, v0
	v_cvt_u32_f32_e32 v0, v0
	s_waitcnt lgkmcnt(0)
	s_mul_i32 s1, s5, s1
	s_mul_hi_i32 s5, s1, 0x6e
	s_mulk_i32 s1, 0x6e
	s_add_u32 s14, s16, s1
	s_addc_u32 s15, s17, s5
	s_sub_i32 s1, 0, s0
	v_readfirstlane_b32 s5, v0
	s_mul_i32 s1, s1, s5
	s_mul_hi_u32 s1, s5, s1
	s_add_i32 s5, s5, s1
	s_mul_hi_u32 s1, s8, s5
	s_mul_i32 s5, s1, s0
	s_sub_i32 s5, s8, s5
	s_add_i32 s13, s1, 1
	s_sub_i32 s16, s5, s0
	s_cmp_ge_u32 s5, s0
	s_cselect_b32 s1, s13, s1
	s_cselect_b32 s5, s16, s5
	s_add_i32 s13, s1, 1
	s_cmp_ge_u32 s5, s0
	s_cselect_b32 s0, s13, s1
	s_mul_i32 s0, s0, s3
	s_mov_b32 s1, s9
	s_lshl_b64 s[0:1], s[0:1], 2
	s_add_u32 s0, s18, s0
	v_and_b32_e32 v0, 7, v5
	s_addc_u32 s1, s19, s1
	v_and_b32_e32 v25, 4, v6
	v_lshlrev_b32_e32 v6, 2, v0
	v_mad_u64_u32 v[2:3], s[0:1], v0, 36, s[0:1]
	v_mov_b32_e32 v7, s15
	v_add_co_u32_e32 v6, vcc, s14, v6
	v_addc_co_u32_e32 v7, vcc, 0, v7, vcc
	s_movk_i32 s0, 0x4a
	v_add_co_u32_e32 v6, vcc, s0, v6
	v_lshlrev_b32_e32 v8, 3, v0
	v_addc_co_u32_e32 v7, vcc, 0, v7, vcc
	v_mov_b32_e32 v9, s15
	v_add_co_u32_e32 v8, vcc, s14, v8
	v_addc_co_u32_e32 v9, vcc, 0, v9, vcc
	v_mul_lo_u32 v24, v1, s12
	v_add_co_u32_e32 v8, vcc, 2, v8
	s_movk_i32 s4, 0x6e
	v_mov_b32_e32 v23, 0
	v_bfe_u32 v4, v5, 1, 2
	v_add_u32_e32 v26, v22, v24
	v_addc_co_u32_e32 v9, vcc, 0, v9, vcc
	s_mov_b64 s[0:1], 0
	v_pk_mov_b32 v[10:11], s[14:15], s[14:15] op_sel:[0,1]
	s_movk_i32 s3, 0x100
	s_mov_b32 s5, 0x1010101
	s_mov_b32 s9, 0x1000000
	v_mov_b32_e32 v27, 0xff0000
	v_mov_b32_e32 v28, 0xff00
	v_mov_b32_e32 v29, 0xff
	s_mov_b32 s13, 0xc060c00
	s_getpc_b64 s[16:17]
	s_add_u32 s16, s16, _ZL10iq3xs_grid@rel32@lo+4
	s_addc_u32 s17, s17, _ZL10iq3xs_grid@rel32@hi+12
.LBB290_3:                              ; =>This Loop Header: Depth=1
                                        ;     Child Loop BB290_4 Depth 2
	v_add_u32_e32 v12, v22, v24
	v_mad_i64_i32 v[12:13], s[14:15], v12, s4, v[10:11]
	v_add_co_u32_e32 v14, vcc, v12, v0
	v_addc_co_u32_e32 v15, vcc, 0, v13, vcc
	global_load_ubyte v31, v[14:15], off offset:66
	v_lshlrev_b32_e32 v14, 3, v22
	v_mad_i64_i32 v[14:15], s[14:15], v14, 36, v[2:3]
	v_mad_i64_i32 v[16:17], s[14:15], v26, s4, v[6:7]
	;; [unrolled: 1-line block ×3, first 2 shown]
	v_add_co_u32_e32 v20, vcc, 4, v14
	v_addc_co_u32_e32 v21, vcc, 0, v15, vcc
	s_mov_b32 s14, 7
	v_mov_b32_e32 v30, 0
.LBB290_4:                              ;   Parent Loop BB290_3 Depth=1
                                        ; =>  This Inner Loop Header: Depth=2
	global_load_ushort v32, v[18:19], off
	global_load_ubyte v34, v[16:17], off
	s_add_i32 s15, s14, 1
	s_waitcnt vmcnt(2)
	v_lshlrev_b32_e32 v35, s15, v31
	v_lshlrev_b32_e32 v33, s14, v31
	s_add_i32 s14, s14, -2
	s_cmp_lg_u32 s14, -1
	s_waitcnt vmcnt(1)
	v_and_b32_e32 v36, 0xff, v32
	v_lshrrev_b16_e32 v32, 8, v32
	v_and_or_b32 v35, v35, s3, v36
	v_and_or_b32 v32, v33, s3, v32
	v_lshlrev_b32_e32 v35, 2, v35
	v_lshlrev_b32_e32 v36, 2, v32
	global_load_dword v37, v35, s[16:17]
	global_load_dword v38, v36, s[16:17]
	global_load_dwordx2 v[32:33], v[20:21], off
	v_add_co_u32_e32 v20, vcc, 8, v20
	v_addc_co_u32_e32 v21, vcc, 0, v21, vcc
	v_add_co_u32_e32 v16, vcc, 1, v16
	s_waitcnt vmcnt(3)
	v_and_b32_e32 v35, 15, v34
	v_lshrrev_b16_e32 v34, 4, v34
	v_addc_co_u32_e32 v17, vcc, 0, v17, vcc
	v_mul_lo_u32 v34, v34, s5
	v_add_co_u32_e32 v18, vcc, 2, v18
	v_not_b32_e32 v34, v34
	v_addc_co_u32_e32 v19, vcc, 0, v19, vcc
	v_and_b32_e32 v36, 0x8040201, v34
	v_and_b32_e32 v35, 0xffff, v35
	;; [unrolled: 1-line block ×3, first 2 shown]
	v_cmp_gt_u32_e32 vcc, s9, v36
	v_mul_lo_u32 v35, v35, s5
	v_and_b32_e32 v40, 0x200, v34
	v_cndmask_b32_e64 v36, 0, -1, vcc
	v_cmp_eq_u32_e32 vcc, 0, v39
	v_not_b32_e32 v35, v35
	v_and_b32_e32 v34, 1, v34
	v_cndmask_b32_e32 v39, 0, v27, vcc
	v_cmp_eq_u32_e32 vcc, 0, v40
	v_and_b32_e32 v41, 0x8040201, v35
	v_cndmask_b32_e32 v40, 0, v28, vcc
	v_cmp_eq_u32_e32 vcc, 0, v34
	v_and_b32_e32 v42, 0x40000, v35
	v_cndmask_b32_e32 v34, 0, v29, vcc
	v_cmp_gt_u32_e32 vcc, s9, v41
	v_and_b32_e32 v43, 0x200, v35
	v_cndmask_b32_e64 v41, 0, -1, vcc
	v_cmp_eq_u32_e32 vcc, 0, v42
	v_and_b32_e32 v35, 1, v35
	v_cndmask_b32_e32 v42, 0, v27, vcc
	v_cmp_eq_u32_e32 vcc, 0, v43
	v_cndmask_b32_e32 v43, 0, v28, vcc
	v_cmp_eq_u32_e32 vcc, 0, v35
	v_cndmask_b32_e32 v35, 0, v29, vcc
	v_lshlrev_b32_e32 v41, 24, v41
	v_or_b32_e32 v45, v43, v35
	v_lshlrev_b32_e32 v36, 24, v36
	v_or_b32_e32 v44, v40, v34
	v_or3_b32 v45, v45, v42, v41
	v_or3_b32 v44, v44, v39, v36
	s_waitcnt vmcnt(2)
	v_xor_b32_e32 v37, v45, v37
	s_waitcnt vmcnt(1)
	v_xor_b32_e32 v38, v44, v38
	v_sub_u32_e32 v41, v37, v41
	v_sub_u32_e32 v42, v37, v42
	;; [unrolled: 1-line block ×8, first 2 shown]
	v_and_b32_e32 v38, 0xff000000, v41
	v_and_b32_e32 v40, 0xff00, v43
	v_perm_b32 v35, v42, v35, s13
	v_and_b32_e32 v36, 0xff000000, v36
	v_and_b32_e32 v39, 0xff00, v39
	v_perm_b32 v34, v37, v34, s13
	v_or3_b32 v35, v35, v38, v40
	v_or3_b32 v34, v34, v36, v39
	s_waitcnt vmcnt(0)
	v_dot4c_i32_i8_e32 v30, v35, v32
	v_dot4c_i32_i8_e32 v30, v34, v33
	s_cbranch_scc1 .LBB290_4
; %bb.5:                                ;   in Loop: Header=BB290_3 Depth=1
	global_load_ushort v16, v[12:13], off
	v_add_co_u32_e32 v12, vcc, v12, v4
	v_addc_co_u32_e32 v13, vcc, 0, v13, vcc
	global_load_dword v17, v[14:15], off
	global_load_ubyte v18, v[12:13], off offset:106
	v_cvt_f32_i32_e32 v12, v30
	v_add_u32_e32 v22, 8, v22
	v_cmp_le_u32_e32 vcc, s12, v22
	s_or_b64 s[0:1], vcc, s[0:1]
	v_add_u32_e32 v26, 8, v26
	s_waitcnt vmcnt(2)
	v_cvt_f32_f16_e32 v13, v16
	s_waitcnt vmcnt(1)
	v_cvt_f32_f16_e32 v14, v17
	s_waitcnt vmcnt(0)
	v_bfe_u32 v15, v18, v25, 4
	v_cvt_f32_ubyte0_e32 v15, v15
	v_add_f32_e32 v15, 0.5, v15
	v_mul_f32_e32 v13, v15, v13
	v_mul_f32_e32 v13, v13, v14
	v_mul_f32_e32 v13, 0.5, v13
	v_fmac_f32_e32 v23, v13, v12
	s_andn2_b64 exec, exec, s[0:1]
	s_cbranch_execnz .LBB290_3
; %bb.6:
	s_or_b64 exec, exec, s[0:1]
.LBB290_7:
	s_or_b64 exec, exec, s[10:11]
	v_mbcnt_lo_u32_b32 v0, -1, 0
	v_mbcnt_hi_u32_b32 v2, -1, v0
	v_and_b32_e32 v0, 64, v2
	v_add_u32_e32 v3, 64, v0
	v_xor_b32_e32 v0, 32, v2
	v_cmp_lt_i32_e32 vcc, v0, v3
	v_cndmask_b32_e32 v0, v2, v0, vcc
	v_lshlrev_b32_e32 v0, 2, v0
	ds_bpermute_b32 v0, v0, v23
	v_xor_b32_e32 v4, 16, v2
	v_cmp_lt_i32_e32 vcc, v4, v3
	v_cndmask_b32_e32 v4, v2, v4, vcc
	v_lshlrev_b32_e32 v4, 2, v4
	s_waitcnt lgkmcnt(0)
	v_add_f32_e32 v0, v23, v0
	ds_bpermute_b32 v4, v4, v0
	v_xor_b32_e32 v6, 8, v2
	v_cmp_lt_i32_e32 vcc, v6, v3
	s_waitcnt lgkmcnt(0)
	v_add_f32_e32 v0, v0, v4
	v_cndmask_b32_e32 v4, v2, v6, vcc
	v_lshlrev_b32_e32 v4, 2, v4
	ds_bpermute_b32 v4, v4, v0
	v_xor_b32_e32 v6, 4, v2
	v_cmp_lt_i32_e32 vcc, v6, v3
	s_waitcnt lgkmcnt(0)
	v_add_f32_e32 v0, v0, v4
	v_cndmask_b32_e32 v4, v2, v6, vcc
	v_lshlrev_b32_e32 v4, 2, v4
	;; [unrolled: 7-line block ×3, first 2 shown]
	ds_bpermute_b32 v4, v4, v0
	v_xor_b32_e32 v6, 1, v2
	v_cmp_lt_i32_e32 vcc, v6, v3
	v_cndmask_b32_e32 v2, v2, v6, vcc
	v_lshlrev_b32_e32 v2, 2, v2
	s_waitcnt lgkmcnt(0)
	v_add_f32_e32 v0, v0, v4
	ds_bpermute_b32 v2, v2, v0
	v_cmp_eq_u32_e32 vcc, 0, v5
	s_and_b64 exec, exec, vcc
	s_cbranch_execz .LBB290_9
; %bb.8:
	s_waitcnt lgkmcnt(0)
	v_add_f32_e32 v0, v0, v2
	v_bfe_u32 v2, v0, 16, 1
	s_movk_i32 s0, 0x7fff
	v_add3_u32 v2, v0, v2, s0
	s_mul_i32 s0, s8, s2
	v_cmp_o_f32_e32 vcc, v0, v0
	v_add_u32_e32 v0, s0, v1
	v_mov_b32_e32 v1, 0
	v_lshrrev_b32_e32 v2, 16, v2
	v_mov_b32_e32 v3, 0x7fc0
	v_lshlrev_b64 v[0:1], 1, v[0:1]
	v_cndmask_b32_e32 v2, v3, v2, vcc
	v_mov_b32_e32 v3, s7
	v_add_co_u32_e32 v0, vcc, s6, v0
	v_addc_co_u32_e32 v1, vcc, v3, v1, vcc
	global_store_short v[0:1], v2, off
.LBB290_9:
	s_endpgm
	.section	.rodata,"a",@progbits
	.p2align	6, 0x0
	.amdhsa_kernel _ZL9moe_vec_qIN3c108BFloat16ELi256ELi8E11block_iq3_sLi1EXadL_ZL18vec_dot_iq3_s_q8_1PKvPK10block_q8_1RKiEEEvS4_S4_PT_PS8_iiii
		.amdhsa_group_segment_fixed_size 0
		.amdhsa_private_segment_fixed_size 0
		.amdhsa_kernarg_size 304
		.amdhsa_user_sgpr_count 6
		.amdhsa_user_sgpr_private_segment_buffer 1
		.amdhsa_user_sgpr_dispatch_ptr 0
		.amdhsa_user_sgpr_queue_ptr 0
		.amdhsa_user_sgpr_kernarg_segment_ptr 1
		.amdhsa_user_sgpr_dispatch_id 0
		.amdhsa_user_sgpr_flat_scratch_init 0
		.amdhsa_user_sgpr_kernarg_preload_length 0
		.amdhsa_user_sgpr_kernarg_preload_offset 0
		.amdhsa_user_sgpr_private_segment_size 0
		.amdhsa_uses_dynamic_stack 0
		.amdhsa_system_sgpr_private_segment_wavefront_offset 0
		.amdhsa_system_sgpr_workgroup_id_x 1
		.amdhsa_system_sgpr_workgroup_id_y 0
		.amdhsa_system_sgpr_workgroup_id_z 1
		.amdhsa_system_sgpr_workgroup_info 0
		.amdhsa_system_vgpr_workitem_id 1
		.amdhsa_next_free_vgpr 46
		.amdhsa_next_free_sgpr 20
		.amdhsa_accum_offset 48
		.amdhsa_reserve_vcc 1
		.amdhsa_reserve_flat_scratch 0
		.amdhsa_float_round_mode_32 0
		.amdhsa_float_round_mode_16_64 0
		.amdhsa_float_denorm_mode_32 3
		.amdhsa_float_denorm_mode_16_64 3
		.amdhsa_dx10_clamp 1
		.amdhsa_ieee_mode 1
		.amdhsa_fp16_overflow 0
		.amdhsa_tg_split 0
		.amdhsa_exception_fp_ieee_invalid_op 0
		.amdhsa_exception_fp_denorm_src 0
		.amdhsa_exception_fp_ieee_div_zero 0
		.amdhsa_exception_fp_ieee_overflow 0
		.amdhsa_exception_fp_ieee_underflow 0
		.amdhsa_exception_fp_ieee_inexact 0
		.amdhsa_exception_int_div_zero 0
	.end_amdhsa_kernel
	.section	.text._ZL9moe_vec_qIN3c108BFloat16ELi256ELi8E11block_iq3_sLi1EXadL_ZL18vec_dot_iq3_s_q8_1PKvPK10block_q8_1RKiEEEvS4_S4_PT_PS8_iiii,"axG",@progbits,_ZL9moe_vec_qIN3c108BFloat16ELi256ELi8E11block_iq3_sLi1EXadL_ZL18vec_dot_iq3_s_q8_1PKvPK10block_q8_1RKiEEEvS4_S4_PT_PS8_iiii,comdat
.Lfunc_end290:
	.size	_ZL9moe_vec_qIN3c108BFloat16ELi256ELi8E11block_iq3_sLi1EXadL_ZL18vec_dot_iq3_s_q8_1PKvPK10block_q8_1RKiEEEvS4_S4_PT_PS8_iiii, .Lfunc_end290-_ZL9moe_vec_qIN3c108BFloat16ELi256ELi8E11block_iq3_sLi1EXadL_ZL18vec_dot_iq3_s_q8_1PKvPK10block_q8_1RKiEEEvS4_S4_PT_PS8_iiii
                                        ; -- End function
	.section	.AMDGPU.csdata,"",@progbits
; Kernel info:
; codeLenInByte = 1436
; NumSgprs: 24
; NumVgprs: 46
; NumAgprs: 0
; TotalNumVgprs: 46
; ScratchSize: 0
; MemoryBound: 0
; FloatMode: 240
; IeeeMode: 1
; LDSByteSize: 0 bytes/workgroup (compile time only)
; SGPRBlocks: 2
; VGPRBlocks: 5
; NumSGPRsForWavesPerEU: 24
; NumVGPRsForWavesPerEU: 46
; AccumOffset: 48
; Occupancy: 8
; WaveLimiterHint : 1
; COMPUTE_PGM_RSRC2:SCRATCH_EN: 0
; COMPUTE_PGM_RSRC2:USER_SGPR: 6
; COMPUTE_PGM_RSRC2:TRAP_HANDLER: 0
; COMPUTE_PGM_RSRC2:TGID_X_EN: 1
; COMPUTE_PGM_RSRC2:TGID_Y_EN: 0
; COMPUTE_PGM_RSRC2:TGID_Z_EN: 1
; COMPUTE_PGM_RSRC2:TIDIG_COMP_CNT: 1
; COMPUTE_PGM_RSRC3_GFX90A:ACCUM_OFFSET: 11
; COMPUTE_PGM_RSRC3_GFX90A:TG_SPLIT: 0
	.section	.text._ZL9moe_vec_qIN3c108BFloat16ELi256ELi8E11block_iq2_sLi1EXadL_ZL18vec_dot_iq2_s_q8_1PKvPK10block_q8_1RKiEEEvS4_S4_PT_PS8_iiii,"axG",@progbits,_ZL9moe_vec_qIN3c108BFloat16ELi256ELi8E11block_iq2_sLi1EXadL_ZL18vec_dot_iq2_s_q8_1PKvPK10block_q8_1RKiEEEvS4_S4_PT_PS8_iiii,comdat
	.globl	_ZL9moe_vec_qIN3c108BFloat16ELi256ELi8E11block_iq2_sLi1EXadL_ZL18vec_dot_iq2_s_q8_1PKvPK10block_q8_1RKiEEEvS4_S4_PT_PS8_iiii ; -- Begin function _ZL9moe_vec_qIN3c108BFloat16ELi256ELi8E11block_iq2_sLi1EXadL_ZL18vec_dot_iq2_s_q8_1PKvPK10block_q8_1RKiEEEvS4_S4_PT_PS8_iiii
	.p2align	8
	.type	_ZL9moe_vec_qIN3c108BFloat16ELi256ELi8E11block_iq2_sLi1EXadL_ZL18vec_dot_iq2_s_q8_1PKvPK10block_q8_1RKiEEEvS4_S4_PT_PS8_iiii,@function
_ZL9moe_vec_qIN3c108BFloat16ELi256ELi8E11block_iq2_sLi1EXadL_ZL18vec_dot_iq2_s_q8_1PKvPK10block_q8_1RKiEEEvS4_S4_PT_PS8_iiii: ; @_ZL9moe_vec_qIN3c108BFloat16ELi256ELi8E11block_iq2_sLi1EXadL_ZL18vec_dot_iq2_s_q8_1PKvPK10block_q8_1RKiEEEvS4_S4_PT_PS8_iiii
; %bb.0:
	s_mov_b32 s8, s7
	s_load_dword s7, s[4:5], 0x3c
	s_load_dwordx4 s[0:3], s[4:5], 0x20
	v_bfe_u32 v1, v0, 10, 10
	s_waitcnt lgkmcnt(0)
	s_lshr_b32 s7, s7, 16
	s_mul_i32 s6, s6, s7
	v_add_u32_e32 v1, s6, v1
	v_cmp_gt_u32_e32 vcc, s2, v1
	s_and_saveexec_b64 s[6:7], vcc
	s_cbranch_execz .LBB291_7
; %bb.1:
	s_load_dwordx2 s[6:7], s[4:5], 0x10
	s_ashr_i32 s9, s1, 31
	s_lshr_b32 s9, s9, 24
	s_add_i32 s1, s1, s9
	v_and_b32_e32 v5, 0x3ff, v0
	s_ashr_i32 s12, s1, 8
	v_lshrrev_b32_e32 v14, 3, v5
	v_cmp_gt_u32_e32 vcc, s12, v14
	v_mov_b32_e32 v15, 0
	s_and_saveexec_b64 s[10:11], vcc
	s_cbranch_execz .LBB291_5
; %bb.2:
	s_load_dwordx2 s[14:15], s[4:5], 0x18
	v_cvt_f32_u32_e32 v0, s0
	s_mov_b32 s9, 0
	s_lshl_b64 s[16:17], s[8:9], 2
	s_movk_i32 s13, 0x52
	s_waitcnt lgkmcnt(0)
	s_add_u32 s14, s14, s16
	v_rcp_iflag_f32_e32 v0, v0
	s_addc_u32 s15, s15, s17
	s_load_dword s1, s[14:15], 0x0
	s_load_dwordx4 s[16:19], s[4:5], 0x0
	s_mul_i32 s4, s12, s2
	v_mul_f32_e32 v0, 0x4f7ffffe, v0
	v_cvt_u32_f32_e32 v0, v0
	s_waitcnt lgkmcnt(0)
	s_mul_i32 s1, s4, s1
	s_mul_hi_i32 s4, s1, 0x52
	s_mulk_i32 s1, 0x52
	s_add_u32 s14, s16, s1
	s_addc_u32 s15, s17, s4
	s_sub_i32 s1, 0, s0
	v_readfirstlane_b32 s4, v0
	s_mul_i32 s1, s1, s4
	s_mul_hi_u32 s1, s4, s1
	s_add_i32 s4, s4, s1
	s_mul_hi_u32 s1, s8, s4
	s_mul_i32 s4, s1, s0
	s_sub_i32 s4, s8, s4
	s_add_i32 s5, s1, 1
	s_sub_i32 s16, s4, s0
	s_cmp_ge_u32 s4, s0
	s_cselect_b32 s1, s5, s1
	s_cselect_b32 s4, s16, s4
	s_add_i32 s5, s1, 1
	s_cmp_ge_u32 s4, s0
	s_cselect_b32 s0, s5, s1
	s_mul_i32 s0, s0, s3
	s_mov_b32 s1, s9
	s_lshl_b64 s[0:1], s[0:1], 2
	s_add_u32 s0, s18, s0
	s_addc_u32 s1, s19, s1
	v_and_b32_e32 v0, 7, v5
	v_mul_lo_u32 v16, v1, s12
	v_mov_b32_e32 v15, 0
	v_mad_u64_u32 v[2:3], s[0:1], v0, 36, s[0:1]
	v_lshlrev_b32_e32 v4, 2, v0
	v_lshlrev_b32_e32 v17, 3, v14
	s_mov_b64 s[4:5], 0
	v_pk_mov_b32 v[6:7], s[14:15], s[14:15] op_sel:[0,1]
	s_movk_i32 s3, 0x300
	s_mov_b32 s9, 0x1010101
	s_mov_b32 s14, 0x1000000
	v_mov_b32_e32 v18, 0xff0000
	v_mov_b32_e32 v19, 0xff00
	;; [unrolled: 1-line block ×3, first 2 shown]
	s_mov_b32 s15, 0xc060c00
	v_mov_b32_e32 v21, 4
.LBB291_3:                              ; =>This Inner Loop Header: Depth=1
	v_add_u32_e32 v8, v16, v14
	v_mad_i64_i32 v[8:9], s[16:17], v8, s13, v[6:7]
	v_add_co_u32_e32 v10, vcc, v8, v4
	v_addc_co_u32_e32 v11, vcc, 0, v9, vcc
	v_add_co_u32_e32 v12, vcc, v8, v0
	v_addc_co_u32_e32 v13, vcc, 0, v9, vcc
	global_load_ushort v26, v[8:9], off
	global_load_dword v22, v[10:11], off offset:2
	global_load_ubyte v23, v[12:13], off offset:66
	global_load_dword v24, v[10:11], off offset:34
	global_load_ubyte v27, v[12:13], off offset:74
	s_getpc_b64 s[0:1]
	s_add_u32 s0, s0, _ZL9iq2s_grid@rel32@lo+4
	s_addc_u32 s1, s1, _ZL9iq2s_grid@rel32@hi+12
	v_add_u32_e32 v14, 8, v14
	s_waitcnt vmcnt(4)
	v_cvt_f32_f16_e32 v26, v26
	s_waitcnt vmcnt(3)
	v_lshrrev_b32_e32 v8, 24, v22
	v_and_b32_e32 v9, 0xff, v22
	s_waitcnt vmcnt(2)
	v_lshlrev_b32_e32 v10, 8, v23
	s_waitcnt vmcnt(1)
	v_lshrrev_b32_e32 v11, 8, v24
	v_and_b32_e32 v12, 15, v24
	v_lshrrev_b16_e32 v13, 4, v24
	v_bfe_u32 v25, v22, 8, 8
	v_lshlrev_b32_e32 v28, 6, v23
	v_bfe_u32 v29, v24, 8, 4
	v_bfe_u32 v22, v22, 16, 8
	v_lshlrev_b32_e32 v30, 4, v23
	v_bfe_u32 v31, v24, 16, 4
	v_bfe_u32 v32, v24, 20, 4
	v_lshlrev_b32_e32 v23, 2, v23
	v_bfe_u32 v33, v24, 24, 4
	v_lshrrev_b16_sdwa v24, v21, v24 dst_sel:DWORD dst_unused:UNUSED_PAD src0_sel:DWORD src1_sel:BYTE_3
	v_and_or_b32 v9, v10, s3, v9
	v_mul_lo_u32 v10, v12, s9
	v_and_b32_e32 v12, 15, v13
	v_and_or_b32 v13, v28, s3, v25
	v_mul_lo_u32 v25, v29, s9
	v_lshrrev_b16_e32 v11, 4, v11
	v_and_or_b32 v22, v30, s3, v22
	v_mul_lo_u32 v28, v31, s9
	v_mul_lo_u32 v29, v32, s9
	v_and_or_b32 v8, v23, s3, v8
	v_mul_lo_u32 v23, v33, s9
	v_mul_lo_u32 v24, v24, s9
	v_lshlrev_b32_e32 v30, 3, v9
	v_not_b32_e32 v9, v10
	v_and_b32_e32 v10, 0xffff, v12
	v_lshlrev_b32_e32 v31, 3, v13
	v_not_b32_e32 v12, v25
	v_and_b32_e32 v11, 15, v11
	v_lshlrev_b32_e32 v25, 3, v22
	v_not_b32_e32 v13, v28
	v_not_b32_e32 v22, v29
	v_lshlrev_b32_e32 v28, 3, v8
	v_not_b32_e32 v8, v23
	v_not_b32_e32 v23, v24
	v_and_b32_e32 v24, 0x8040201, v9
	v_and_b32_e32 v29, 0x40000, v9
	;; [unrolled: 1-line block ×4, first 2 shown]
	v_mul_lo_u32 v34, v10, s9
	v_and_b32_e32 v35, 0x8040201, v12
	v_and_b32_e32 v36, 0x40000, v12
	;; [unrolled: 1-line block ×21, first 2 shown]
	global_load_dwordx2 v[8:9], v30, s[0:1]
	global_load_dwordx2 v[10:11], v31, s[0:1]
	;; [unrolled: 1-line block ×4, first 2 shown]
	v_cmp_gt_u32_e32 vcc, s14, v24
	v_cndmask_b32_e64 v24, 0, -1, vcc
	v_cmp_eq_u32_e32 vcc, 0, v29
	v_cndmask_b32_e32 v25, 0, v18, vcc
	v_cmp_eq_u32_e32 vcc, 0, v32
	v_cndmask_b32_e32 v28, 0, v19, vcc
	;; [unrolled: 2-line block ×3, first 2 shown]
	v_cmp_gt_u32_e32 vcc, s14, v35
	v_cndmask_b32_e64 v31, 0, -1, vcc
	v_cmp_eq_u32_e32 vcc, 0, v36
	v_cndmask_b32_e32 v32, 0, v18, vcc
	v_cmp_eq_u32_e32 vcc, 0, v37
	v_cndmask_b32_e32 v33, 0, v19, vcc
	v_cmp_eq_u32_e32 vcc, 0, v38
	v_not_b32_e32 v30, v34
	v_cndmask_b32_e32 v34, 0, v20, vcc
	v_cmp_gt_u32_e32 vcc, s14, v40
	v_cndmask_b32_e64 v36, 0, -1, vcc
	v_cmp_eq_u32_e32 vcc, 0, v41
	v_cndmask_b32_e32 v37, 0, v18, vcc
	v_cmp_eq_u32_e32 vcc, 0, v42
	v_cndmask_b32_e32 v38, 0, v19, vcc
	v_cmp_eq_u32_e32 vcc, 0, v43
	v_mul_lo_u32 v35, v39, s9
	v_cndmask_b32_e32 v39, 0, v20, vcc
	v_cmp_gt_u32_e32 vcc, s14, v44
	v_cndmask_b32_e64 v40, 0, -1, vcc
	v_cmp_eq_u32_e32 vcc, 0, v45
	v_cndmask_b32_e32 v41, 0, v18, vcc
	v_cmp_eq_u32_e32 vcc, 0, v46
	v_cndmask_b32_e32 v42, 0, v19, vcc
	v_cmp_eq_u32_e32 vcc, 0, v47
	v_cndmask_b32_e32 v43, 0, v20, vcc
	v_cmp_gt_u32_e32 vcc, s14, v48
	v_cndmask_b32_e64 v44, 0, -1, vcc
	v_cmp_eq_u32_e32 vcc, 0, v49
	v_cndmask_b32_e32 v45, 0, v18, vcc
	v_cmp_eq_u32_e32 vcc, 0, v50
	v_cndmask_b32_e32 v46, 0, v19, vcc
	v_cmp_eq_u32_e32 vcc, 0, v51
	v_cndmask_b32_e32 v47, 0, v20, vcc
	v_cmp_gt_u32_e32 vcc, s14, v52
	v_cndmask_b32_e64 v48, 0, -1, vcc
	v_cmp_eq_u32_e32 vcc, 0, v53
	v_cndmask_b32_e32 v49, 0, v18, vcc
	v_cmp_eq_u32_e32 vcc, 0, v54
	v_cndmask_b32_e32 v50, 0, v19, vcc
	v_cmp_eq_u32_e32 vcc, 0, v55
	v_and_b32_e32 v53, 0x8040201, v30
	v_cndmask_b32_e32 v51, 0, v20, vcc
	v_and_b32_e32 v54, 0x40000, v30
	v_cmp_gt_u32_e32 vcc, s14, v53
	v_and_b32_e32 v55, 0x200, v30
	v_cndmask_b32_e64 v53, 0, -1, vcc
	v_cmp_eq_u32_e32 vcc, 0, v54
	v_and_b32_e32 v30, 1, v30
	v_not_b32_e32 v35, v35
	v_cndmask_b32_e32 v54, 0, v18, vcc
	v_cmp_eq_u32_e32 vcc, 0, v55
	v_cndmask_b32_e32 v55, 0, v19, vcc
	v_cmp_eq_u32_e32 vcc, 0, v30
	v_and_b32_e32 v57, 0x8040201, v35
	v_cndmask_b32_e32 v30, 0, v20, vcc
	v_and_b32_e32 v58, 0x40000, v35
	v_and_b32_e32 v59, 0x200, v35
	;; [unrolled: 1-line block ×3, first 2 shown]
	v_cmp_gt_u32_e64 s[0:1], s14, v57
	v_lshlrev_b32_e32 v53, 24, v53
	v_cmp_eq_u32_e32 vcc, 0, v35
	v_or_b32_e32 v35, v55, v30
	v_cndmask_b32_e64 v57, 0, -1, s[0:1]
	v_cmp_eq_u32_e64 s[0:1], 0, v58
	v_lshlrev_b32_e32 v24, 24, v24
	v_or_b32_e32 v52, v28, v29
	v_cndmask_b32_e64 v58, 0, v18, s[0:1]
	v_cmp_eq_u32_e64 s[0:1], 0, v59
	v_or3_b32 v35, v35, v54, v53
	v_or3_b32 v52, v52, v25, v24
	v_cndmask_b32_e64 v59, 0, v19, s[0:1]
	s_waitcnt vmcnt(3)
	v_xor_b32_e32 v9, v35, v9
	v_cndmask_b32_e32 v35, 0, v20, vcc
	v_lshlrev_b32_e32 v31, 24, v31
	v_or_b32_e32 v56, v33, v34
	v_xor_b32_e32 v8, v52, v8
	v_lshlrev_b32_e32 v52, 24, v57
	v_or_b32_e32 v57, v59, v35
	v_or3_b32 v56, v56, v32, v31
	v_or3_b32 v57, v57, v58, v52
	v_lshlrev_b32_e32 v36, 24, v36
	s_waitcnt vmcnt(2)
	v_xor_b32_e32 v10, v56, v10
	v_xor_b32_e32 v11, v57, v11
	v_or_b32_e32 v56, v38, v39
	v_lshlrev_b32_e32 v40, 24, v40
	v_or_b32_e32 v57, v42, v43
	v_or3_b32 v56, v56, v37, v36
	v_or3_b32 v57, v57, v41, v40
	v_lshlrev_b32_e32 v44, 24, v44
	s_waitcnt vmcnt(1)
	v_xor_b32_e32 v56, v56, v12
	v_xor_b32_e32 v57, v57, v13
	v_or_b32_e32 v12, v46, v47
	v_lshlrev_b32_e32 v48, 24, v48
	v_or_b32_e32 v13, v50, v51
	v_or3_b32 v12, v12, v45, v44
	v_or3_b32 v13, v13, v49, v48
	s_waitcnt vmcnt(0)
	v_xor_b32_e32 v22, v12, v22
	v_xor_b32_e32 v60, v13, v23
	v_mad_i64_i32 v[12:13], s[0:1], v17, 36, v[2:3]
	v_sub_u32_e32 v61, v8, v24
	v_sub_u32_e32 v62, v8, v25
	v_sub_u32_e32 v28, v8, v28
	v_sub_u32_e32 v29, v8, v29
	v_sub_u32_e32 v53, v9, v53
	v_sub_u32_e32 v54, v9, v54
	v_sub_u32_e32 v55, v9, v55
	v_sub_u32_e32 v30, v9, v30
	v_sub_u32_e32 v31, v10, v31
	v_sub_u32_e32 v32, v10, v32
	v_sub_u32_e32 v33, v10, v33
	v_sub_u32_e32 v34, v10, v34
	v_sub_u32_e32 v52, v11, v52
	v_sub_u32_e32 v58, v11, v58
	v_sub_u32_e32 v59, v11, v59
	v_sub_u32_e32 v35, v11, v35
	global_load_dwordx4 v[8:11], v[12:13], off
	v_sub_u32_e32 v44, v22, v44
	v_sub_u32_e32 v45, v22, v45
	;; [unrolled: 1-line block ×4, first 2 shown]
	global_load_dwordx4 v[22:25], v[12:13], off offset:16
	v_sub_u32_e32 v36, v56, v36
	v_sub_u32_e32 v37, v56, v37
	;; [unrolled: 1-line block ×4, first 2 shown]
	global_load_dword v56, v[12:13], off offset:32
	v_sub_u32_e32 v40, v57, v40
	v_sub_u32_e32 v41, v57, v41
	;; [unrolled: 1-line block ×8, first 2 shown]
	v_and_b32_e32 v36, 0xff000000, v36
	v_and_b32_e32 v38, 0xff00, v38
	v_perm_b32 v37, v37, v39, s15
	v_mov_b32_e32 v50, 0
	v_perm_b32 v29, v62, v29, s15
	v_perm_b32 v30, v54, v30, s15
	v_and_b32_e32 v54, 0xff000000, v61
	v_and_b32_e32 v39, 0xff000000, v40
	;; [unrolled: 1-line block ×3, first 2 shown]
	v_perm_b32 v41, v41, v43, s15
	v_and_b32_e32 v42, 0xff000000, v44
	v_perm_b32 v44, v45, v47, s15
	v_and_b32_e32 v12, 0xff000000, v12
	v_and_b32_e32 v45, 0xff00, v48
	v_perm_b32 v13, v13, v49, s15
	v_and_b32_e32 v28, 0xff00, v28
	v_or3_b32 v36, v37, v36, v38
	v_mov_b32_e32 v51, 0
	v_and_b32_e32 v53, 0xff000000, v53
	v_and_b32_e32 v43, 0xff00, v46
	;; [unrolled: 1-line block ×3, first 2 shown]
	v_or3_b32 v37, v41, v39, v40
	v_or3_b32 v12, v13, v12, v45
	;; [unrolled: 1-line block ×3, first 2 shown]
	v_perm_b32 v32, v32, v34, s15
	v_and_b32_e32 v31, 0xff000000, v31
	v_and_b32_e32 v33, 0xff00, v33
	v_or3_b32 v38, v44, v42, v43
	v_or3_b32 v28, v30, v53, v46
	v_and_b32_e32 v52, 0xff000000, v52
	v_perm_b32 v35, v58, v35, s15
	v_and_b32_e32 v47, 0xff00, v59
	v_or3_b32 v29, v32, v31, v33
	v_or3_b32 v30, v35, v52, v47
	v_lshrrev_b16_e32 v34, 4, v27
	v_and_b32_e32 v27, 15, v27
	v_cvt_f32_ubyte0_e32 v34, v34
	v_cvt_f32_ubyte0_e32 v27, v27
	v_add_f32_e32 v34, 0.5, v34
	v_add_f32_e32 v27, 0.5, v27
	v_cmp_le_u32_e32 vcc, s12, v14
	v_add_u32_e32 v17, 64, v17
	s_or_b64 s[4:5], vcc, s[4:5]
	s_waitcnt vmcnt(2)
	v_dot4c_i32_i8_e32 v51, v13, v9
	v_dot4c_i32_i8_e32 v51, v28, v10
	v_dot4c_i32_i8_e32 v51, v29, v11
	v_cvt_f32_f16_e32 v8, v8
	s_waitcnt vmcnt(1)
	v_dot4c_i32_i8_e32 v50, v36, v23
	v_dot4c_i32_i8_e32 v50, v37, v24
	;; [unrolled: 1-line block ×4, first 2 shown]
	v_mul_f32_e32 v8, v26, v8
	s_waitcnt vmcnt(0)
	v_dot4c_i32_i8_e32 v50, v12, v56
	v_mul_f32_e32 v8, 0x3e800000, v8
	v_cvt_f32_i32_e32 v10, v51
	s_nop 0
	v_cvt_f32_i32_e32 v9, v50
	v_mul_f32_e32 v9, v34, v9
	v_fmac_f32_e32 v9, v27, v10
	v_fmac_f32_e32 v15, v8, v9
	s_andn2_b64 exec, exec, s[4:5]
	s_cbranch_execnz .LBB291_3
; %bb.4:
	s_or_b64 exec, exec, s[4:5]
.LBB291_5:
	s_or_b64 exec, exec, s[10:11]
	v_mbcnt_lo_u32_b32 v0, -1, 0
	v_mbcnt_hi_u32_b32 v2, -1, v0
	v_and_b32_e32 v0, 64, v2
	v_add_u32_e32 v3, 64, v0
	v_xor_b32_e32 v0, 32, v2
	v_cmp_lt_i32_e32 vcc, v0, v3
	v_cndmask_b32_e32 v0, v2, v0, vcc
	v_lshlrev_b32_e32 v0, 2, v0
	ds_bpermute_b32 v0, v0, v15
	v_xor_b32_e32 v4, 16, v2
	v_cmp_lt_i32_e32 vcc, v4, v3
	v_cndmask_b32_e32 v4, v2, v4, vcc
	v_lshlrev_b32_e32 v4, 2, v4
	s_waitcnt lgkmcnt(0)
	v_add_f32_e32 v0, v15, v0
	ds_bpermute_b32 v4, v4, v0
	v_xor_b32_e32 v6, 8, v2
	v_cmp_lt_i32_e32 vcc, v6, v3
	s_waitcnt lgkmcnt(0)
	v_add_f32_e32 v0, v0, v4
	v_cndmask_b32_e32 v4, v2, v6, vcc
	v_lshlrev_b32_e32 v4, 2, v4
	ds_bpermute_b32 v4, v4, v0
	v_xor_b32_e32 v6, 4, v2
	v_cmp_lt_i32_e32 vcc, v6, v3
	s_waitcnt lgkmcnt(0)
	v_add_f32_e32 v0, v0, v4
	v_cndmask_b32_e32 v4, v2, v6, vcc
	v_lshlrev_b32_e32 v4, 2, v4
	;; [unrolled: 7-line block ×3, first 2 shown]
	ds_bpermute_b32 v4, v4, v0
	v_xor_b32_e32 v6, 1, v2
	v_cmp_lt_i32_e32 vcc, v6, v3
	v_cndmask_b32_e32 v2, v2, v6, vcc
	v_lshlrev_b32_e32 v2, 2, v2
	s_waitcnt lgkmcnt(0)
	v_add_f32_e32 v0, v0, v4
	ds_bpermute_b32 v2, v2, v0
	v_cmp_eq_u32_e32 vcc, 0, v5
	s_and_b64 exec, exec, vcc
	s_cbranch_execz .LBB291_7
; %bb.6:
	s_waitcnt lgkmcnt(0)
	v_add_f32_e32 v0, v0, v2
	v_bfe_u32 v2, v0, 16, 1
	s_movk_i32 s0, 0x7fff
	v_add3_u32 v2, v0, v2, s0
	s_mul_i32 s0, s8, s2
	v_cmp_o_f32_e32 vcc, v0, v0
	v_add_u32_e32 v0, s0, v1
	v_mov_b32_e32 v1, 0
	v_lshrrev_b32_e32 v2, 16, v2
	v_mov_b32_e32 v3, 0x7fc0
	v_lshlrev_b64 v[0:1], 1, v[0:1]
	v_cndmask_b32_e32 v2, v3, v2, vcc
	v_mov_b32_e32 v3, s7
	v_add_co_u32_e32 v0, vcc, s6, v0
	v_addc_co_u32_e32 v1, vcc, v3, v1, vcc
	global_store_short v[0:1], v2, off
.LBB291_7:
	s_endpgm
	.section	.rodata,"a",@progbits
	.p2align	6, 0x0
	.amdhsa_kernel _ZL9moe_vec_qIN3c108BFloat16ELi256ELi8E11block_iq2_sLi1EXadL_ZL18vec_dot_iq2_s_q8_1PKvPK10block_q8_1RKiEEEvS4_S4_PT_PS8_iiii
		.amdhsa_group_segment_fixed_size 0
		.amdhsa_private_segment_fixed_size 0
		.amdhsa_kernarg_size 304
		.amdhsa_user_sgpr_count 6
		.amdhsa_user_sgpr_private_segment_buffer 1
		.amdhsa_user_sgpr_dispatch_ptr 0
		.amdhsa_user_sgpr_queue_ptr 0
		.amdhsa_user_sgpr_kernarg_segment_ptr 1
		.amdhsa_user_sgpr_dispatch_id 0
		.amdhsa_user_sgpr_flat_scratch_init 0
		.amdhsa_user_sgpr_kernarg_preload_length 0
		.amdhsa_user_sgpr_kernarg_preload_offset 0
		.amdhsa_user_sgpr_private_segment_size 0
		.amdhsa_uses_dynamic_stack 0
		.amdhsa_system_sgpr_private_segment_wavefront_offset 0
		.amdhsa_system_sgpr_workgroup_id_x 1
		.amdhsa_system_sgpr_workgroup_id_y 0
		.amdhsa_system_sgpr_workgroup_id_z 1
		.amdhsa_system_sgpr_workgroup_info 0
		.amdhsa_system_vgpr_workitem_id 1
		.amdhsa_next_free_vgpr 63
		.amdhsa_next_free_sgpr 20
		.amdhsa_accum_offset 64
		.amdhsa_reserve_vcc 1
		.amdhsa_reserve_flat_scratch 0
		.amdhsa_float_round_mode_32 0
		.amdhsa_float_round_mode_16_64 0
		.amdhsa_float_denorm_mode_32 3
		.amdhsa_float_denorm_mode_16_64 3
		.amdhsa_dx10_clamp 1
		.amdhsa_ieee_mode 1
		.amdhsa_fp16_overflow 0
		.amdhsa_tg_split 0
		.amdhsa_exception_fp_ieee_invalid_op 0
		.amdhsa_exception_fp_denorm_src 0
		.amdhsa_exception_fp_ieee_div_zero 0
		.amdhsa_exception_fp_ieee_overflow 0
		.amdhsa_exception_fp_ieee_underflow 0
		.amdhsa_exception_fp_ieee_inexact 0
		.amdhsa_exception_int_div_zero 0
	.end_amdhsa_kernel
	.section	.text._ZL9moe_vec_qIN3c108BFloat16ELi256ELi8E11block_iq2_sLi1EXadL_ZL18vec_dot_iq2_s_q8_1PKvPK10block_q8_1RKiEEEvS4_S4_PT_PS8_iiii,"axG",@progbits,_ZL9moe_vec_qIN3c108BFloat16ELi256ELi8E11block_iq2_sLi1EXadL_ZL18vec_dot_iq2_s_q8_1PKvPK10block_q8_1RKiEEEvS4_S4_PT_PS8_iiii,comdat
.Lfunc_end291:
	.size	_ZL9moe_vec_qIN3c108BFloat16ELi256ELi8E11block_iq2_sLi1EXadL_ZL18vec_dot_iq2_s_q8_1PKvPK10block_q8_1RKiEEEvS4_S4_PT_PS8_iiii, .Lfunc_end291-_ZL9moe_vec_qIN3c108BFloat16ELi256ELi8E11block_iq2_sLi1EXadL_ZL18vec_dot_iq2_s_q8_1PKvPK10block_q8_1RKiEEEvS4_S4_PT_PS8_iiii
                                        ; -- End function
	.section	.AMDGPU.csdata,"",@progbits
; Kernel info:
; codeLenInByte = 2384
; NumSgprs: 24
; NumVgprs: 63
; NumAgprs: 0
; TotalNumVgprs: 63
; ScratchSize: 0
; MemoryBound: 0
; FloatMode: 240
; IeeeMode: 1
; LDSByteSize: 0 bytes/workgroup (compile time only)
; SGPRBlocks: 2
; VGPRBlocks: 7
; NumSGPRsForWavesPerEU: 24
; NumVGPRsForWavesPerEU: 63
; AccumOffset: 64
; Occupancy: 8
; WaveLimiterHint : 1
; COMPUTE_PGM_RSRC2:SCRATCH_EN: 0
; COMPUTE_PGM_RSRC2:USER_SGPR: 6
; COMPUTE_PGM_RSRC2:TRAP_HANDLER: 0
; COMPUTE_PGM_RSRC2:TGID_X_EN: 1
; COMPUTE_PGM_RSRC2:TGID_Y_EN: 0
; COMPUTE_PGM_RSRC2:TGID_Z_EN: 1
; COMPUTE_PGM_RSRC2:TIDIG_COMP_CNT: 1
; COMPUTE_PGM_RSRC3_GFX90A:ACCUM_OFFSET: 15
; COMPUTE_PGM_RSRC3_GFX90A:TG_SPLIT: 0
	.section	.text._ZL9moe_vec_qIN3c108BFloat16ELi256ELi8E12block_iq4_xsLi1EXadL_ZL19vec_dot_iq4_xs_q8_1PKvPK10block_q8_1RKiEEEvS4_S4_PT_PS8_iiii,"axG",@progbits,_ZL9moe_vec_qIN3c108BFloat16ELi256ELi8E12block_iq4_xsLi1EXadL_ZL19vec_dot_iq4_xs_q8_1PKvPK10block_q8_1RKiEEEvS4_S4_PT_PS8_iiii,comdat
	.globl	_ZL9moe_vec_qIN3c108BFloat16ELi256ELi8E12block_iq4_xsLi1EXadL_ZL19vec_dot_iq4_xs_q8_1PKvPK10block_q8_1RKiEEEvS4_S4_PT_PS8_iiii ; -- Begin function _ZL9moe_vec_qIN3c108BFloat16ELi256ELi8E12block_iq4_xsLi1EXadL_ZL19vec_dot_iq4_xs_q8_1PKvPK10block_q8_1RKiEEEvS4_S4_PT_PS8_iiii
	.p2align	8
	.type	_ZL9moe_vec_qIN3c108BFloat16ELi256ELi8E12block_iq4_xsLi1EXadL_ZL19vec_dot_iq4_xs_q8_1PKvPK10block_q8_1RKiEEEvS4_S4_PT_PS8_iiii,@function
_ZL9moe_vec_qIN3c108BFloat16ELi256ELi8E12block_iq4_xsLi1EXadL_ZL19vec_dot_iq4_xs_q8_1PKvPK10block_q8_1RKiEEEvS4_S4_PT_PS8_iiii: ; @_ZL9moe_vec_qIN3c108BFloat16ELi256ELi8E12block_iq4_xsLi1EXadL_ZL19vec_dot_iq4_xs_q8_1PKvPK10block_q8_1RKiEEEvS4_S4_PT_PS8_iiii
; %bb.0:
	s_mov_b32 s8, s7
	s_load_dword s7, s[4:5], 0x3c
	s_load_dwordx4 s[0:3], s[4:5], 0x20
	v_bfe_u32 v1, v0, 10, 10
	s_waitcnt lgkmcnt(0)
	s_lshr_b32 s7, s7, 16
	s_mul_i32 s6, s6, s7
	v_add_u32_e32 v11, s6, v1
	v_cmp_gt_u32_e32 vcc, s2, v11
	s_and_saveexec_b64 s[6:7], vcc
	s_cbranch_execz .LBB292_7
; %bb.1:
	s_load_dwordx2 s[6:7], s[4:5], 0x10
	s_ashr_i32 s9, s1, 31
	s_lshr_b32 s9, s9, 24
	s_add_i32 s1, s1, s9
	v_and_b32_e32 v16, 0x3ff, v0
	s_ashr_i32 s12, s1, 8
	v_lshrrev_b32_e32 v17, 3, v16
	v_cmp_gt_u32_e32 vcc, s12, v17
	v_mov_b32_e32 v18, 0
	s_and_saveexec_b64 s[10:11], vcc
	s_cbranch_execz .LBB292_5
; %bb.2:
	s_load_dwordx2 s[14:15], s[4:5], 0x18
	v_cvt_f32_u32_e32 v0, s0
	s_mov_b32 s9, 0
	s_lshl_b64 s[16:17], s[8:9], 2
	v_and_b32_e32 v1, 7, v16
	s_waitcnt lgkmcnt(0)
	s_add_u32 s14, s14, s16
	v_rcp_iflag_f32_e32 v0, v0
	s_addc_u32 s15, s15, s17
	s_load_dword s1, s[14:15], 0x0
	s_load_dwordx4 s[16:19], s[4:5], 0x0
	s_mul_i32 s4, s12, s2
	v_mul_f32_e32 v0, 0x4f7ffffe, v0
	v_cvt_u32_f32_e32 v0, v0
	s_waitcnt lgkmcnt(0)
	s_mul_i32 s1, s4, s1
	s_mul_hi_i32 s5, s1, 0x88
	s_mulk_i32 s1, 0x88
	s_add_u32 s4, s16, s1
	s_addc_u32 s5, s17, s5
	s_sub_i32 s1, 0, s0
	v_readfirstlane_b32 s14, v0
	s_mul_i32 s1, s1, s14
	s_mul_hi_u32 s1, s14, s1
	s_add_i32 s14, s14, s1
	s_mul_hi_u32 s1, s8, s14
	s_mul_i32 s14, s1, s0
	s_sub_i32 s14, s8, s14
	s_add_i32 s15, s1, 1
	s_sub_i32 s16, s14, s0
	s_cmp_ge_u32 s14, s0
	s_cselect_b32 s1, s15, s1
	s_cselect_b32 s14, s16, s14
	s_add_i32 s15, s1, 1
	s_cmp_ge_u32 s14, s0
	s_cselect_b32 s0, s15, s1
	s_mul_i32 s0, s0, s3
	s_mov_b32 s1, s9
	s_lshl_b64 s[0:1], s[0:1], 2
	s_add_u32 s0, s18, s0
	s_addc_u32 s1, s19, s1
	v_mad_u64_u32 v[8:9], s[0:1], v1, 36, s[0:1]
	v_lshlrev_b32_e32 v0, 2, v1
	v_lshlrev_b32_e32 v2, 2, v16
	s_movk_i32 s13, 0x88
	v_mul_lo_u32 v19, v11, s12
	v_mov_b32_e32 v18, 0
	v_bfe_u32 v10, v16, 1, 2
	v_and_b32_e32 v20, 4, v2
	v_lshlrev_b32_e32 v21, 1, v1
	v_lshlrev_b32_e32 v22, 3, v17
	s_mov_b64 s[0:1], 0
	v_pk_mov_b32 v[12:13], s[4:5], s[4:5] op_sel:[0,1]
	v_lshlrev_b32_e32 v23, 2, v0
.LBB292_3:                              ; =>This Inner Loop Header: Depth=1
	v_add_u32_e32 v0, v19, v17
	v_mad_i64_i32 v[28:29], s[14:15], v0, s13, v[12:13]
	v_add_co_u32_e32 v30, vcc, v28, v23
	v_addc_co_u32_e32 v31, vcc, 0, v29, vcc
	v_add_co_u32_e32 v32, vcc, v28, v10
	v_mad_i64_i32 v[14:15], s[4:5], v22, 36, v[8:9]
	v_addc_co_u32_e32 v33, vcc, 0, v29, vcc
	global_load_dwordx4 v[24:27], v[30:31], off offset:8
	global_load_ubyte v34, v[32:33], off offset:4
	global_load_dwordx4 v[4:7], v[14:15], off
	global_load_dwordx4 v[0:3], v[14:15], off offset:16
	global_load_dword v35, v[28:29], off
	s_getpc_b64 s[4:5]
	s_add_u32 s4, s4, _ZL13kvalues_iq4nl@rel32@lo+4
	s_addc_u32 s5, s5, _ZL13kvalues_iq4nl@rel32@hi+12
	v_add_u32_e32 v17, 8, v17
	v_cmp_le_u32_e32 vcc, s12, v17
	v_add_u32_e32 v22, 64, v22
	s_or_b64 s[0:1], vcc, s[0:1]
	s_waitcnt vmcnt(4)
	v_bfe_u32 v28, v24, 24, 4
	v_and_b32_e32 v29, 15, v24
	v_bfe_u32 v30, v24, 8, 4
	v_bfe_u32 v31, v24, 16, 4
	v_bfe_u32 v32, v24, 20, 4
	v_lshrrev_b32_e32 v33, 28, v24
	v_bfe_u32 v36, v24, 4, 4
	v_bfe_u32 v24, v24, 12, 4
	v_bfe_u32 v37, v25, 24, 4
	v_and_b32_e32 v38, 15, v25
	v_bfe_u32 v39, v25, 8, 4
	v_bfe_u32 v40, v25, 16, 4
	v_bfe_u32 v41, v25, 20, 4
	v_lshrrev_b32_e32 v42, 28, v25
	v_bfe_u32 v43, v25, 4, 4
	v_bfe_u32 v25, v25, 12, 4
	;; [unrolled: 8-line block ×4, first 2 shown]
	global_load_ubyte v58, v24, s[4:5]
	global_load_ubyte v59, v30, s[4:5]
	global_load_ubyte v60, v31, s[4:5]
	global_load_ubyte v61, v32, s[4:5]
	global_load_ubyte v62, v36, s[4:5]
	global_load_ubyte v63, v33, s[4:5]
                                        ; kill: killed $vgpr33
                                        ; kill: killed $vgpr32
                                        ; kill: killed $vgpr24
                                        ; kill: killed $vgpr31
                                        ; kill: killed $vgpr36
                                        ; kill: killed $vgpr30
	global_load_ubyte v24, v29, s[4:5]
	global_load_ubyte v30, v28, s[4:5]
	;; [unrolled: 1-line block ×4, first 2 shown]
	s_nop 0
	global_load_ubyte v33, v40, s[4:5]
	global_load_ubyte v36, v41, s[4:5]
                                        ; kill: killed $vgpr41
                                        ; kill: killed $vgpr40
                                        ; kill: killed $vgpr39
                                        ; kill: killed $vgpr29
                                        ; kill: killed $vgpr28
                                        ; kill: killed $vgpr25
	global_load_ubyte v25, v43, s[4:5]
	global_load_ubyte v28, v42, s[4:5]
	;; [unrolled: 1-line block ×6, first 2 shown]
                                        ; kill: killed $vgpr37
                                        ; kill: killed $vgpr46
                                        ; kill: killed $vgpr38
                                        ; kill: killed $vgpr42
                                        ; kill: killed $vgpr26
                                        ; kill: killed $vgpr43
	s_nop 0
	global_load_ubyte v26, v47, s[4:5]
	global_load_ubyte v37, v48, s[4:5]
	global_load_ubyte v38, v50, s[4:5]
	global_load_ubyte v42, v49, s[4:5]
	global_load_ubyte v43, v45, s[4:5]
	global_load_ubyte v46, v44, s[4:5]
                                        ; kill: killed $vgpr44
                                        ; kill: killed $vgpr48
                                        ; kill: killed $vgpr47
                                        ; kill: killed $vgpr45
                                        ; kill: killed $vgpr49
                                        ; kill: killed $vgpr50
	s_nop 0
	global_load_ubyte v44, v27, s[4:5]
	global_load_ubyte v45, v53, s[4:5]
	;; [unrolled: 1-line block ×6, first 2 shown]
                                        ; kill: killed $vgpr55
                                        ; kill: killed $vgpr54
                                        ; kill: killed $vgpr53
                                        ; kill: killed $vgpr56
                                        ; kill: killed $vgpr27
                                        ; kill: killed $vgpr51
	global_load_ubyte v27, v52, s[4:5]
	s_nop 0
	global_load_ubyte v51, v57, s[4:5]
	global_load_dword v53, v[14:15], off offset:32
	s_waitcnt vmcnt(33)
	v_cvt_f32_f16_e32 v52, v35
	v_lshrrev_b32_sdwa v35, v21, v35 dst_sel:DWORD dst_unused:UNUSED_PAD src0_sel:DWORD src1_sel:WORD_1
	v_bfe_u32 v34, v34, v20, 4
	v_lshlrev_b32_e32 v35, 4, v35
	v_and_or_b32 v34, v35, 48, v34
	v_mov_b32_e32 v14, 0
	v_mov_b32_e32 v15, 0
	v_subrev_u32_e32 v34, 32, v34
	v_cvt_f32_i32_e32 v34, v34
	v_cvt_f32_f16_e32 v4, v4
	s_waitcnt vmcnt(30)
	v_lshlrev_b32_e32 v35, 16, v60
	s_waitcnt vmcnt(29)
	v_lshlrev_b32_e32 v55, 16, v61
	s_waitcnt vmcnt(28)
	v_lshl_or_b32 v56, v58, 8, v62
	s_waitcnt vmcnt(27)
	v_lshlrev_b32_e32 v54, 24, v63
	s_waitcnt vmcnt(26)
	v_lshl_or_b32 v24, v59, 8, v24
	s_waitcnt vmcnt(25)
	v_lshlrev_b32_e32 v30, 24, v30
	v_or3_b32 v24, v24, v35, v30
	v_or3_b32 v30, v56, v55, v54
	s_waitcnt vmcnt(22)
	v_lshlrev_b32_e32 v33, 16, v33
	v_dot4c_i32_i8_e32 v14, v24, v5
	v_dot4c_i32_i8_e32 v15, v30, v1
	v_mul_f32_e32 v1, v52, v34
	v_mul_f32_e32 v1, v1, v4
	s_waitcnt vmcnt(20)
	v_lshl_or_b32 v25, v31, 8, v25
	s_waitcnt vmcnt(19)
	v_lshlrev_b32_e32 v28, 24, v28
	s_waitcnt vmcnt(18)
	v_lshl_or_b32 v29, v32, 8, v29
	s_waitcnt vmcnt(17)
	v_lshlrev_b32_e32 v39, 24, v39
	v_lshlrev_b32_e32 v32, 16, v36
	v_or3_b32 v29, v29, v33, v39
	v_or3_b32 v25, v25, v32, v28
	v_dot4c_i32_i8_e32 v14, v29, v6
	v_dot4c_i32_i8_e32 v15, v25, v2
	s_waitcnt vmcnt(14)
	v_lshlrev_b32_e32 v26, 16, v26
	s_waitcnt vmcnt(13)
	v_lshlrev_b32_e32 v37, 16, v37
	s_waitcnt vmcnt(12)
	v_lshl_or_b32 v38, v40, 8, v38
	s_waitcnt vmcnt(10)
	v_lshl_or_b32 v36, v41, 8, v43
	s_waitcnt vmcnt(9)
	v_lshlrev_b32_e32 v31, 24, v46
	v_lshlrev_b32_e32 v41, 24, v42
	v_or3_b32 v26, v36, v26, v31
	v_or3_b32 v28, v38, v37, v41
	v_dot4c_i32_i8_e32 v14, v26, v7
	v_dot4c_i32_i8_e32 v15, v28, v3
	s_waitcnt vmcnt(6)
	v_lshlrev_b32_e32 v42, 16, v47
	s_waitcnt vmcnt(4)
	v_lshlrev_b32_e32 v43, 24, v49
	;; [unrolled: 2-line block ×3, first 2 shown]
	s_waitcnt vmcnt(2)
	v_lshl_or_b32 v27, v45, 8, v27
	v_lshlrev_b32_e32 v45, 16, v48
	s_waitcnt vmcnt(1)
	v_lshl_or_b32 v44, v44, 8, v51
	v_or3_b32 v27, v27, v42, v40
	v_or3_b32 v31, v44, v45, v43
	v_dot4c_i32_i8_e32 v14, v27, v0
	s_waitcnt vmcnt(0)
	v_dot4c_i32_i8_e32 v15, v31, v53
	s_nop 2
	v_add_u32_e32 v0, v15, v14
	v_cvt_f32_i32_e32 v0, v0
	v_fmac_f32_e32 v18, v1, v0
	s_andn2_b64 exec, exec, s[0:1]
	s_cbranch_execnz .LBB292_3
; %bb.4:
	s_or_b64 exec, exec, s[0:1]
.LBB292_5:
	s_or_b64 exec, exec, s[10:11]
	v_mbcnt_lo_u32_b32 v0, -1, 0
	v_mbcnt_hi_u32_b32 v1, -1, v0
	v_and_b32_e32 v0, 64, v1
	v_add_u32_e32 v2, 64, v0
	v_xor_b32_e32 v0, 32, v1
	v_cmp_lt_i32_e32 vcc, v0, v2
	v_cndmask_b32_e32 v0, v1, v0, vcc
	v_lshlrev_b32_e32 v0, 2, v0
	ds_bpermute_b32 v0, v0, v18
	v_xor_b32_e32 v3, 16, v1
	v_cmp_lt_i32_e32 vcc, v3, v2
	v_cndmask_b32_e32 v3, v1, v3, vcc
	v_lshlrev_b32_e32 v3, 2, v3
	s_waitcnt lgkmcnt(0)
	v_add_f32_e32 v0, v18, v0
	ds_bpermute_b32 v3, v3, v0
	v_xor_b32_e32 v4, 8, v1
	v_cmp_lt_i32_e32 vcc, v4, v2
	s_waitcnt lgkmcnt(0)
	v_add_f32_e32 v0, v0, v3
	v_cndmask_b32_e32 v3, v1, v4, vcc
	v_lshlrev_b32_e32 v3, 2, v3
	ds_bpermute_b32 v3, v3, v0
	v_xor_b32_e32 v4, 4, v1
	v_cmp_lt_i32_e32 vcc, v4, v2
	s_waitcnt lgkmcnt(0)
	v_add_f32_e32 v0, v0, v3
	v_cndmask_b32_e32 v3, v1, v4, vcc
	v_lshlrev_b32_e32 v3, 2, v3
	ds_bpermute_b32 v3, v3, v0
	v_xor_b32_e32 v4, 2, v1
	v_cmp_lt_i32_e32 vcc, v4, v2
	s_waitcnt lgkmcnt(0)
	v_add_f32_e32 v0, v0, v3
	v_cndmask_b32_e32 v3, v1, v4, vcc
	v_lshlrev_b32_e32 v3, 2, v3
	ds_bpermute_b32 v3, v3, v0
	v_xor_b32_e32 v4, 1, v1
	v_cmp_lt_i32_e32 vcc, v4, v2
	v_cndmask_b32_e32 v1, v1, v4, vcc
	v_lshlrev_b32_e32 v1, 2, v1
	s_waitcnt lgkmcnt(0)
	v_add_f32_e32 v0, v0, v3
	ds_bpermute_b32 v1, v1, v0
	v_cmp_eq_u32_e32 vcc, 0, v16
	s_and_b64 exec, exec, vcc
	s_cbranch_execz .LBB292_7
; %bb.6:
	s_waitcnt lgkmcnt(0)
	v_add_f32_e32 v0, v0, v1
	v_bfe_u32 v1, v0, 16, 1
	s_movk_i32 s0, 0x7fff
	v_add3_u32 v1, v0, v1, s0
	v_lshrrev_b32_e32 v1, 16, v1
	v_mov_b32_e32 v2, 0x7fc0
	v_cmp_o_f32_e32 vcc, v0, v0
	s_mul_i32 s0, s8, s2
	v_cndmask_b32_e32 v2, v2, v1, vcc
	v_add_u32_e32 v0, s0, v11
	v_mov_b32_e32 v1, 0
	v_lshlrev_b64 v[0:1], 1, v[0:1]
	v_mov_b32_e32 v3, s7
	v_add_co_u32_e32 v0, vcc, s6, v0
	v_addc_co_u32_e32 v1, vcc, v3, v1, vcc
	global_store_short v[0:1], v2, off
.LBB292_7:
	s_endpgm
	.section	.rodata,"a",@progbits
	.p2align	6, 0x0
	.amdhsa_kernel _ZL9moe_vec_qIN3c108BFloat16ELi256ELi8E12block_iq4_xsLi1EXadL_ZL19vec_dot_iq4_xs_q8_1PKvPK10block_q8_1RKiEEEvS4_S4_PT_PS8_iiii
		.amdhsa_group_segment_fixed_size 0
		.amdhsa_private_segment_fixed_size 0
		.amdhsa_kernarg_size 304
		.amdhsa_user_sgpr_count 6
		.amdhsa_user_sgpr_private_segment_buffer 1
		.amdhsa_user_sgpr_dispatch_ptr 0
		.amdhsa_user_sgpr_queue_ptr 0
		.amdhsa_user_sgpr_kernarg_segment_ptr 1
		.amdhsa_user_sgpr_dispatch_id 0
		.amdhsa_user_sgpr_flat_scratch_init 0
		.amdhsa_user_sgpr_kernarg_preload_length 0
		.amdhsa_user_sgpr_kernarg_preload_offset 0
		.amdhsa_user_sgpr_private_segment_size 0
		.amdhsa_uses_dynamic_stack 0
		.amdhsa_system_sgpr_private_segment_wavefront_offset 0
		.amdhsa_system_sgpr_workgroup_id_x 1
		.amdhsa_system_sgpr_workgroup_id_y 0
		.amdhsa_system_sgpr_workgroup_id_z 1
		.amdhsa_system_sgpr_workgroup_info 0
		.amdhsa_system_vgpr_workitem_id 1
		.amdhsa_next_free_vgpr 64
		.amdhsa_next_free_sgpr 20
		.amdhsa_accum_offset 64
		.amdhsa_reserve_vcc 1
		.amdhsa_reserve_flat_scratch 0
		.amdhsa_float_round_mode_32 0
		.amdhsa_float_round_mode_16_64 0
		.amdhsa_float_denorm_mode_32 3
		.amdhsa_float_denorm_mode_16_64 3
		.amdhsa_dx10_clamp 1
		.amdhsa_ieee_mode 1
		.amdhsa_fp16_overflow 0
		.amdhsa_tg_split 0
		.amdhsa_exception_fp_ieee_invalid_op 0
		.amdhsa_exception_fp_denorm_src 0
		.amdhsa_exception_fp_ieee_div_zero 0
		.amdhsa_exception_fp_ieee_overflow 0
		.amdhsa_exception_fp_ieee_underflow 0
		.amdhsa_exception_fp_ieee_inexact 0
		.amdhsa_exception_int_div_zero 0
	.end_amdhsa_kernel
	.section	.text._ZL9moe_vec_qIN3c108BFloat16ELi256ELi8E12block_iq4_xsLi1EXadL_ZL19vec_dot_iq4_xs_q8_1PKvPK10block_q8_1RKiEEEvS4_S4_PT_PS8_iiii,"axG",@progbits,_ZL9moe_vec_qIN3c108BFloat16ELi256ELi8E12block_iq4_xsLi1EXadL_ZL19vec_dot_iq4_xs_q8_1PKvPK10block_q8_1RKiEEEvS4_S4_PT_PS8_iiii,comdat
.Lfunc_end292:
	.size	_ZL9moe_vec_qIN3c108BFloat16ELi256ELi8E12block_iq4_xsLi1EXadL_ZL19vec_dot_iq4_xs_q8_1PKvPK10block_q8_1RKiEEEvS4_S4_PT_PS8_iiii, .Lfunc_end292-_ZL9moe_vec_qIN3c108BFloat16ELi256ELi8E12block_iq4_xsLi1EXadL_ZL19vec_dot_iq4_xs_q8_1PKvPK10block_q8_1RKiEEEvS4_S4_PT_PS8_iiii
                                        ; -- End function
	.section	.AMDGPU.csdata,"",@progbits
; Kernel info:
; codeLenInByte = 1700
; NumSgprs: 24
; NumVgprs: 64
; NumAgprs: 0
; TotalNumVgprs: 64
; ScratchSize: 0
; MemoryBound: 0
; FloatMode: 240
; IeeeMode: 1
; LDSByteSize: 0 bytes/workgroup (compile time only)
; SGPRBlocks: 2
; VGPRBlocks: 7
; NumSGPRsForWavesPerEU: 24
; NumVGPRsForWavesPerEU: 64
; AccumOffset: 64
; Occupancy: 8
; WaveLimiterHint : 1
; COMPUTE_PGM_RSRC2:SCRATCH_EN: 0
; COMPUTE_PGM_RSRC2:USER_SGPR: 6
; COMPUTE_PGM_RSRC2:TRAP_HANDLER: 0
; COMPUTE_PGM_RSRC2:TGID_X_EN: 1
; COMPUTE_PGM_RSRC2:TGID_Y_EN: 0
; COMPUTE_PGM_RSRC2:TGID_Z_EN: 1
; COMPUTE_PGM_RSRC2:TIDIG_COMP_CNT: 1
; COMPUTE_PGM_RSRC3_GFX90A:ACCUM_OFFSET: 15
; COMPUTE_PGM_RSRC3_GFX90A:TG_SPLIT: 0
	.section	.text._ZL9moe_vec_qIN3c108BFloat16ELi256ELi8E11block_iq1_mLi1EXadL_ZL18vec_dot_iq1_m_q8_1PKvPK10block_q8_1RKiEEEvS4_S4_PT_PS8_iiii,"axG",@progbits,_ZL9moe_vec_qIN3c108BFloat16ELi256ELi8E11block_iq1_mLi1EXadL_ZL18vec_dot_iq1_m_q8_1PKvPK10block_q8_1RKiEEEvS4_S4_PT_PS8_iiii,comdat
	.globl	_ZL9moe_vec_qIN3c108BFloat16ELi256ELi8E11block_iq1_mLi1EXadL_ZL18vec_dot_iq1_m_q8_1PKvPK10block_q8_1RKiEEEvS4_S4_PT_PS8_iiii ; -- Begin function _ZL9moe_vec_qIN3c108BFloat16ELi256ELi8E11block_iq1_mLi1EXadL_ZL18vec_dot_iq1_m_q8_1PKvPK10block_q8_1RKiEEEvS4_S4_PT_PS8_iiii
	.p2align	8
	.type	_ZL9moe_vec_qIN3c108BFloat16ELi256ELi8E11block_iq1_mLi1EXadL_ZL18vec_dot_iq1_m_q8_1PKvPK10block_q8_1RKiEEEvS4_S4_PT_PS8_iiii,@function
_ZL9moe_vec_qIN3c108BFloat16ELi256ELi8E11block_iq1_mLi1EXadL_ZL18vec_dot_iq1_m_q8_1PKvPK10block_q8_1RKiEEEvS4_S4_PT_PS8_iiii: ; @_ZL9moe_vec_qIN3c108BFloat16ELi256ELi8E11block_iq1_mLi1EXadL_ZL18vec_dot_iq1_m_q8_1PKvPK10block_q8_1RKiEEEvS4_S4_PT_PS8_iiii
; %bb.0:
	s_mov_b32 s8, s7
	s_load_dword s7, s[4:5], 0x3c
	s_load_dwordx4 s[0:3], s[4:5], 0x20
	v_bfe_u32 v1, v0, 10, 10
	s_waitcnt lgkmcnt(0)
	s_lshr_b32 s7, s7, 16
	s_mul_i32 s6, s6, s7
	v_add_u32_e32 v9, s6, v1
	v_cmp_gt_u32_e32 vcc, s2, v9
	s_and_saveexec_b64 s[6:7], vcc
	s_cbranch_execz .LBB293_7
; %bb.1:
	v_cvt_f32_u32_e32 v1, s0
	v_and_b32_e32 v11, 0x3ff, v0
	s_load_dwordx2 s[6:7], s[4:5], 0x10
	s_ashr_i32 s9, s1, 31
	v_rcp_iflag_f32_e32 v1, v1
	s_lshr_b32 s9, s9, 24
	s_add_i32 s1, s1, s9
	v_lshrrev_b32_e32 v14, 3, v11
	v_mul_f32_e32 v0, 0x4f7ffffe, v1
	v_cvt_u32_f32_e32 v0, v0
	s_ashr_i32 s15, s1, 8
	v_cmp_gt_u32_e32 vcc, s15, v14
	v_mov_b32_e32 v15, 0
	v_readfirstlane_b32 s1, v0
	s_and_saveexec_b64 s[10:11], vcc
	s_cbranch_execz .LBB293_5
; %bb.2:
	s_sub_i32 s12, 0, s0
	s_mul_i32 s14, s12, s1
	s_load_dwordx4 s[16:19], s[4:5], 0x0
	s_load_dwordx2 s[12:13], s[4:5], 0x18
	s_mov_b32 s9, 0
	s_mul_hi_u32 s4, s1, s14
	s_add_i32 s1, s1, s4
	s_lshl_b64 s[4:5], s[8:9], 2
	s_waitcnt lgkmcnt(0)
	s_add_u32 s4, s12, s4
	s_mul_hi_u32 s1, s8, s1
	s_addc_u32 s5, s13, s5
	s_load_dword s4, s[4:5], 0x0
	s_mul_i32 s5, s1, s0
	s_sub_i32 s5, s8, s5
	s_add_i32 s12, s1, 1
	s_sub_i32 s13, s5, s0
	s_cmp_ge_u32 s5, s0
	s_cselect_b32 s1, s12, s1
	s_cselect_b32 s5, s13, s5
	s_add_i32 s12, s1, 1
	s_cmp_ge_u32 s5, s0
	s_mul_i32 s0, s15, s2
	s_waitcnt lgkmcnt(0)
	s_mul_i32 s0, s0, s4
	s_cselect_b32 s5, s12, s1
	s_mul_hi_i32 s1, s0, 56
	s_mul_i32 s0, s0, 56
	s_add_u32 s0, s16, s0
	s_mul_i32 s4, s5, s3
	s_mov_b32 s5, s9
	s_addc_u32 s1, s17, s1
	s_lshl_b64 s[4:5], s[4:5], 2
	v_and_b32_e32 v1, 1, v11
	s_add_u32 s4, s18, s4
	v_and_b32_e32 v8, 7, v11
	v_bfe_u32 v0, v11, 1, 2
	v_cmp_eq_u32_e32 vcc, 1, v1
	s_mov_b32 s18, 0xbf600000
	s_addc_u32 s5, s19, s5
	v_mul_lo_u32 v16, v9, s15
	v_mov_b32_e32 v15, 0
	v_lshlrev_b32_e32 v10, 1, v8
	v_cndmask_b32_e64 v17, 0, 6, vcc
	v_lshlrev_b32_e32 v18, 3, v14
	s_mov_b64 s[12:13], 0
	v_lshlrev_b32_e32 v19, 2, v8
	s_mov_b32 s3, 0x40008
	s_movk_i32 s9, 0xf000
	v_lshlrev_b32_e32 v20, 1, v0
	s_movk_i32 s16, 0x700
	s_mov_b32 s14, 0x3d000000
	v_pk_mov_b32 v[12:13], s[18:19], s[18:19] op_sel:[0,1]
	v_mov_b32_e32 v21, 8
.LBB293_3:                              ; =>This Inner Loop Header: Depth=1
	v_add_u32_e32 v0, v16, v14
	v_mad_i64_i32 v[22:23], s[18:19], v0, 56, s[0:1]
	v_add_co_u32_e32 v0, vcc, v22, v19
	v_addc_co_u32_e32 v1, vcc, 0, v23, vcc
	v_add_co_u32_e32 v2, vcc, v22, v10
	v_addc_co_u32_e32 v3, vcc, 0, v23, vcc
	global_load_dword v26, v[0:1], off
	global_load_ushort v27, v[2:3], off offset:32
	v_mad_i64_i32 v[0:1], s[18:19], v18, 36, s[4:5]
	v_mad_u64_u32 v[24:25], s[20:21], v8, 36, v[0:1]
	global_load_dword v32, v[24:25], off offset:32
	global_load_dwordx4 v[4:7], v[24:25], off
	global_load_dwordx4 v[0:3], v[24:25], off offset:16
	s_getpc_b64 s[18:19]
	s_add_u32 s18, s18, _ZL13iq1s_grid_gpu@rel32@lo+4
	s_addc_u32 s19, s19, _ZL13iq1s_grid_gpu@rel32@hi+12
	v_add_co_u32_e32 v24, vcc, v22, v20
	v_addc_co_u32_e32 v25, vcc, 0, v23, vcc
	global_load_dwordx2 v[22:23], v[22:23], off offset:48
	v_mov_b32_e32 v39, 0
	v_mov_b32_e32 v40, 0
	v_add_u32_e32 v14, 8, v14
	v_cmp_le_u32_e32 vcc, s15, v14
	v_add_u32_e32 v18, 64, v18
	s_or_b64 s[12:13], vcc, s[12:13]
	s_waitcnt vmcnt(5)
	v_and_b32_e32 v28, 0xff, v26
	s_waitcnt vmcnt(4)
	v_lshlrev_b32_e32 v31, 8, v27
	v_lshrrev_b16_e32 v34, 4, v27
	v_and_or_b32 v28, v31, s16, v28
	v_and_b32_e32 v31, 15, v34
	v_bfe_u32 v29, v26, 8, 8
	v_lshrrev_b16_e32 v33, 12, v27
	v_lshlrev_b32_e32 v31, 8, v31
	v_bfe_u32 v30, v26, 16, 8
	v_lshlrev_b32_sdwa v35, v21, v27 dst_sel:DWORD dst_unused:UNUSED_PAD src0_sel:DWORD src1_sel:BYTE_1
	v_alignbit_b32 v26, v33, v26, 24
	v_lshlrev_b32_e32 v28, 3, v28
	v_and_or_b32 v29, v31, s16, v29
	v_and_or_b32 v30, v35, s16, v30
	v_and_b32_e32 v26, 0x7ff, v26
	global_load_dword v35, v28, s[18:19]
	v_lshlrev_b32_e32 v28, 3, v29
	v_lshlrev_b32_e32 v30, 3, v30
	;; [unrolled: 1-line block ×3, first 2 shown]
	global_load_dword v36, v28, s[18:19]
	global_load_dword v37, v30, s[18:19]
	;; [unrolled: 1-line block ×3, first 2 shown]
	global_load_ushort v29, v[24:25], off offset:48
	v_mov_b32_e32 v24, 0
	v_mov_b32_e32 v25, 0
	s_waitcnt vmcnt(7)
	v_dot4c_i32_i8_e32 v24, 0x1010101, v5
	s_waitcnt vmcnt(6)
	v_dot4c_i32_i8_e32 v25, 0x1010101, v1
	v_dot4c_i32_i8_e32 v24, 0x1010101, v6
	;; [unrolled: 1-line block ×3, first 2 shown]
	s_waitcnt vmcnt(5)
	v_alignbit_b32 v30, v23, v22, 16
	v_lshrrev_b16_e32 v31, 12, v22
	v_cvt_f32_i32_e32 v24, v24
	v_cvt_f32_i32_e32 v25, v25
	v_and_b32_sdwa v41, v23, s9 dst_sel:DWORD dst_unused:UNUSED_PAD src0_sel:WORD_1 src1_sel:DWORD
	v_and_b32_sdwa v23, v27, v21 dst_sel:DWORD dst_unused:UNUSED_PAD src0_sel:BYTE_1 src1_sel:DWORD
	v_and_b32_e32 v27, 8, v27
	v_cvt_f32_ubyte0_e32 v23, v23
	v_mov_b32_e32 v28, 0
	v_dot4c_i32_i8_e32 v28, 0x1010101, v3
	v_dot4c_i32_i8_e32 v28, 0x1010101, v32
	v_and_b32_e32 v34, 8, v34
	v_and_b32_e32 v33, 8, v33
	v_mov_b32_e32 v26, 0
	v_dot4c_i32_i8_e32 v26, 0x1010101, v7
	v_dot4c_i32_i8_e32 v26, 0x1010101, v0
	v_cvt_f32_f16_e32 v4, v4
	s_waitcnt vmcnt(0)
	v_lshrrev_b32_e32 v22, v17, v29
	v_pk_lshrrev_b16 v29, s3, v30
	v_lshlrev_b32_e32 v30, 1, v22
	v_lshrrev_b32_e32 v42, 2, v22
	v_cvt_f32_ubyte0_e32 v22, v27
	v_pk_fma_f32 v[22:23], v[22:23], s[14:15], v[12:13] op_sel_hi:[1,0,0] neg_lo:[1,0,0] neg_hi:[1,0,0]
	v_pk_fma_f32 v[22:23], v[22:23], v[24:25], 0 op_sel_hi:[1,1,0]
	v_and_b32_e32 v24, 0xf0f0f0f, v35
	v_lshrrev_b32_e32 v25, 4, v35
	v_and_b32_e32 v25, 0xf0f0f0f, v25
	v_dot4c_i32_i8_e32 v39, v24, v5
	v_and_b32_e32 v43, 0xf0000f0, v29
	v_dot4c_i32_i8_e32 v39, v25, v6
	v_and_b32_e32 v5, 0xf0f0f0f, v36
	v_and_b32_e32 v24, 0xf0f0f0f, v37
	v_lshrrev_b32_e32 v25, 4, v37
	v_cvt_f32_i32_e32 v27, v28
	v_cvt_f32_ubyte0_e32 v29, v33
	v_cvt_f32_ubyte0_e32 v28, v34
	v_and_or_b32 v33, v42, 14, 1
	v_or_b32_e32 v34, v43, v31
	v_dot4c_i32_i8_e32 v39, v5, v7
	v_and_b32_e32 v5, 0xf0f0f0f, v25
	v_dot4c_i32_i8_e32 v40, v24, v1
	v_cvt_f32_ubyte0_e32 v31, v33
	v_or_b32_sdwa v33, v34, v43 dst_sel:DWORD dst_unused:UNUSED_PAD src0_sel:DWORD src1_sel:WORD_1
	v_lshrrev_b32_e32 v6, 4, v36
	v_and_b32_e32 v34, 0xf0f0f0f, v38
	v_lshrrev_b32_e32 v35, 4, v38
	v_dot4c_i32_i8_e32 v40, v5, v2
	v_and_b32_e32 v6, 0xf0f0f0f, v6
	v_and_b32_e32 v1, 0xf0f0f0f, v35
	v_dot4c_i32_i8_e32 v40, v34, v3
	v_cvt_f32_i32_e32 v26, v26
	v_dot4c_i32_i8_e32 v39, v6, v0
	v_dot4c_i32_i8_e32 v40, v1, v32
	v_or_b32_e32 v33, v33, v41
	v_pk_fma_f32 v[28:29], v[28:29], s[14:15], v[12:13] op_sel_hi:[1,0,0] neg_lo:[1,0,0] neg_hi:[1,0,0]
	v_cvt_f32_i32_e32 v0, v39
	v_cvt_f32_i32_e32 v1, v40
	v_cvt_f32_f16_e32 v5, v33
	v_and_or_b32 v30, v30, 14, 1
	v_pk_fma_f32 v[2:3], v[28:29], v[26:27], v[22:23]
	v_cvt_f32_ubyte0_e32 v30, v30
	v_pk_add_f32 v[0:1], v[2:3], v[0:1]
	v_pk_mul_f32 v[0:1], v[0:1], v[30:31]
	v_mul_f32_e32 v4, v5, v4
	v_add_f32_e32 v0, v0, v1
	v_fmac_f32_e32 v15, v4, v0
	s_andn2_b64 exec, exec, s[12:13]
	s_cbranch_execnz .LBB293_3
; %bb.4:
	s_or_b64 exec, exec, s[12:13]
.LBB293_5:
	s_or_b64 exec, exec, s[10:11]
	v_mbcnt_lo_u32_b32 v0, -1, 0
	v_mbcnt_hi_u32_b32 v1, -1, v0
	v_and_b32_e32 v0, 64, v1
	v_add_u32_e32 v2, 64, v0
	v_xor_b32_e32 v0, 32, v1
	v_cmp_lt_i32_e32 vcc, v0, v2
	v_cndmask_b32_e32 v0, v1, v0, vcc
	v_lshlrev_b32_e32 v0, 2, v0
	ds_bpermute_b32 v0, v0, v15
	v_xor_b32_e32 v3, 16, v1
	v_cmp_lt_i32_e32 vcc, v3, v2
	v_cndmask_b32_e32 v3, v1, v3, vcc
	v_lshlrev_b32_e32 v3, 2, v3
	s_waitcnt lgkmcnt(0)
	v_add_f32_e32 v0, v15, v0
	ds_bpermute_b32 v3, v3, v0
	v_xor_b32_e32 v4, 8, v1
	v_cmp_lt_i32_e32 vcc, v4, v2
	s_waitcnt lgkmcnt(0)
	v_add_f32_e32 v0, v0, v3
	v_cndmask_b32_e32 v3, v1, v4, vcc
	v_lshlrev_b32_e32 v3, 2, v3
	ds_bpermute_b32 v3, v3, v0
	v_xor_b32_e32 v4, 4, v1
	v_cmp_lt_i32_e32 vcc, v4, v2
	s_waitcnt lgkmcnt(0)
	v_add_f32_e32 v0, v0, v3
	v_cndmask_b32_e32 v3, v1, v4, vcc
	v_lshlrev_b32_e32 v3, 2, v3
	ds_bpermute_b32 v3, v3, v0
	v_xor_b32_e32 v4, 2, v1
	v_cmp_lt_i32_e32 vcc, v4, v2
	s_waitcnt lgkmcnt(0)
	v_add_f32_e32 v0, v0, v3
	v_cndmask_b32_e32 v3, v1, v4, vcc
	v_lshlrev_b32_e32 v3, 2, v3
	ds_bpermute_b32 v3, v3, v0
	v_xor_b32_e32 v4, 1, v1
	v_cmp_lt_i32_e32 vcc, v4, v2
	v_cndmask_b32_e32 v1, v1, v4, vcc
	v_lshlrev_b32_e32 v1, 2, v1
	s_waitcnt lgkmcnt(0)
	v_add_f32_e32 v0, v0, v3
	ds_bpermute_b32 v1, v1, v0
	v_cmp_eq_u32_e32 vcc, 0, v11
	s_and_b64 exec, exec, vcc
	s_cbranch_execz .LBB293_7
; %bb.6:
	s_waitcnt lgkmcnt(0)
	v_add_f32_e32 v0, v0, v1
	v_bfe_u32 v1, v0, 16, 1
	s_movk_i32 s0, 0x7fff
	v_add3_u32 v1, v0, v1, s0
	v_lshrrev_b32_e32 v1, 16, v1
	v_mov_b32_e32 v2, 0x7fc0
	v_cmp_o_f32_e32 vcc, v0, v0
	s_mul_i32 s0, s8, s2
	v_cndmask_b32_e32 v2, v2, v1, vcc
	v_add_u32_e32 v0, s0, v9
	v_mov_b32_e32 v1, 0
	v_lshlrev_b64 v[0:1], 1, v[0:1]
	v_mov_b32_e32 v3, s7
	v_add_co_u32_e32 v0, vcc, s6, v0
	v_addc_co_u32_e32 v1, vcc, v3, v1, vcc
	global_store_short v[0:1], v2, off
.LBB293_7:
	s_endpgm
	.section	.rodata,"a",@progbits
	.p2align	6, 0x0
	.amdhsa_kernel _ZL9moe_vec_qIN3c108BFloat16ELi256ELi8E11block_iq1_mLi1EXadL_ZL18vec_dot_iq1_m_q8_1PKvPK10block_q8_1RKiEEEvS4_S4_PT_PS8_iiii
		.amdhsa_group_segment_fixed_size 0
		.amdhsa_private_segment_fixed_size 0
		.amdhsa_kernarg_size 304
		.amdhsa_user_sgpr_count 6
		.amdhsa_user_sgpr_private_segment_buffer 1
		.amdhsa_user_sgpr_dispatch_ptr 0
		.amdhsa_user_sgpr_queue_ptr 0
		.amdhsa_user_sgpr_kernarg_segment_ptr 1
		.amdhsa_user_sgpr_dispatch_id 0
		.amdhsa_user_sgpr_flat_scratch_init 0
		.amdhsa_user_sgpr_kernarg_preload_length 0
		.amdhsa_user_sgpr_kernarg_preload_offset 0
		.amdhsa_user_sgpr_private_segment_size 0
		.amdhsa_uses_dynamic_stack 0
		.amdhsa_system_sgpr_private_segment_wavefront_offset 0
		.amdhsa_system_sgpr_workgroup_id_x 1
		.amdhsa_system_sgpr_workgroup_id_y 0
		.amdhsa_system_sgpr_workgroup_id_z 1
		.amdhsa_system_sgpr_workgroup_info 0
		.amdhsa_system_vgpr_workitem_id 1
		.amdhsa_next_free_vgpr 44
		.amdhsa_next_free_sgpr 22
		.amdhsa_accum_offset 44
		.amdhsa_reserve_vcc 1
		.amdhsa_reserve_flat_scratch 0
		.amdhsa_float_round_mode_32 0
		.amdhsa_float_round_mode_16_64 0
		.amdhsa_float_denorm_mode_32 3
		.amdhsa_float_denorm_mode_16_64 3
		.amdhsa_dx10_clamp 1
		.amdhsa_ieee_mode 1
		.amdhsa_fp16_overflow 0
		.amdhsa_tg_split 0
		.amdhsa_exception_fp_ieee_invalid_op 0
		.amdhsa_exception_fp_denorm_src 0
		.amdhsa_exception_fp_ieee_div_zero 0
		.amdhsa_exception_fp_ieee_overflow 0
		.amdhsa_exception_fp_ieee_underflow 0
		.amdhsa_exception_fp_ieee_inexact 0
		.amdhsa_exception_int_div_zero 0
	.end_amdhsa_kernel
	.section	.text._ZL9moe_vec_qIN3c108BFloat16ELi256ELi8E11block_iq1_mLi1EXadL_ZL18vec_dot_iq1_m_q8_1PKvPK10block_q8_1RKiEEEvS4_S4_PT_PS8_iiii,"axG",@progbits,_ZL9moe_vec_qIN3c108BFloat16ELi256ELi8E11block_iq1_mLi1EXadL_ZL18vec_dot_iq1_m_q8_1PKvPK10block_q8_1RKiEEEvS4_S4_PT_PS8_iiii,comdat
.Lfunc_end293:
	.size	_ZL9moe_vec_qIN3c108BFloat16ELi256ELi8E11block_iq1_mLi1EXadL_ZL18vec_dot_iq1_m_q8_1PKvPK10block_q8_1RKiEEEvS4_S4_PT_PS8_iiii, .Lfunc_end293-_ZL9moe_vec_qIN3c108BFloat16ELi256ELi8E11block_iq1_mLi1EXadL_ZL18vec_dot_iq1_m_q8_1PKvPK10block_q8_1RKiEEEvS4_S4_PT_PS8_iiii
                                        ; -- End function
	.section	.AMDGPU.csdata,"",@progbits
; Kernel info:
; codeLenInByte = 1440
; NumSgprs: 26
; NumVgprs: 44
; NumAgprs: 0
; TotalNumVgprs: 44
; ScratchSize: 0
; MemoryBound: 0
; FloatMode: 240
; IeeeMode: 1
; LDSByteSize: 0 bytes/workgroup (compile time only)
; SGPRBlocks: 3
; VGPRBlocks: 5
; NumSGPRsForWavesPerEU: 26
; NumVGPRsForWavesPerEU: 44
; AccumOffset: 44
; Occupancy: 8
; WaveLimiterHint : 1
; COMPUTE_PGM_RSRC2:SCRATCH_EN: 0
; COMPUTE_PGM_RSRC2:USER_SGPR: 6
; COMPUTE_PGM_RSRC2:TRAP_HANDLER: 0
; COMPUTE_PGM_RSRC2:TGID_X_EN: 1
; COMPUTE_PGM_RSRC2:TGID_Y_EN: 0
; COMPUTE_PGM_RSRC2:TGID_Z_EN: 1
; COMPUTE_PGM_RSRC2:TIDIG_COMP_CNT: 1
; COMPUTE_PGM_RSRC3_GFX90A:ACCUM_OFFSET: 10
; COMPUTE_PGM_RSRC3_GFX90A:TG_SPLIT: 0
	.text
	.p2alignl 6, 3212836864
	.fill 256, 4, 3212836864
	.type	_ZL11iq2xxs_grid,@object        ; @_ZL11iq2xxs_grid
	.section	.rodata,"a",@progbits
	.p2align	4, 0x0
_ZL11iq2xxs_grid:
	.quad	578721382704613384              ; 0x808080808080808
	.quad	578721382704613419              ; 0x80808080808082b
	;; [unrolled: 1-line block ×132, first 2 shown]
	.quad	1803700481349388313             ; 0x1908080808080819
	.quad	1803700481349392648             ; 0x1908080808081908
	;; [unrolled: 1-line block ×124, first 2 shown]
	.size	_ZL11iq2xxs_grid, 2048

	.type	_ZL12ksigns_iq2xs,@object       ; @_ZL12ksigns_iq2xs
	.p2align	4, 0x0
_ZL12ksigns_iq2xs:
	.ascii	"\000\201\202\003\204\005\006\207\210\t\n\213\f\215\216\017\220\021\022\223\024\225\226\027\030\231\232\033\234\035\036\237\240!\"\243$\245\246'(\251\252+\254-.\2570\261\2623\26456\267\2709:\273<\275\276?\300AB\303D\305\306GH\311\312K\314MN\317P\321\322S\324UV\327\330YZ\333\\\335\336_`\341\342c\344ef\347\350ij\353l\355\356o\360qr\363t\365\366wx\371\372{\374}~\377"
	.size	_ZL12ksigns_iq2xs, 128

	.type	_ZL10iq2xs_grid,@object         ; @_ZL10iq2xs_grid
	.p2align	4, 0x0
_ZL10iq2xs_grid:
	.quad	578721382704613384              ; 0x808080808080808
	.quad	578721382704613419              ; 0x80808080808082b
	;; [unrolled: 1-line block ×254, first 2 shown]
	.quad	1803700481349388313             ; 0x1908080808080819
	.quad	1803700481349392648             ; 0x1908080808081908
	;; [unrolled: 1-line block ×258, first 2 shown]
	.size	_ZL10iq2xs_grid, 4096

	.type	_ZL11iq3xxs_grid,@object        ; @_ZL11iq3xxs_grid
	.p2align	4, 0x0
_ZL11iq3xxs_grid:
	.long	67372036                        ; 0x4040404
	.long	67372052                        ; 0x4040414
	;; [unrolled: 1-line block ×58, first 2 shown]
	.long	201589772                       ; 0xc04040c
	.long	201589788                       ; 0xc04041c
	;; [unrolled: 1-line block ×177, first 2 shown]
	.long	1040450588                      ; 0x3e04041c
	.long	1040450604                      ; 0x3e04042c
	;; [unrolled: 1-line block ×21, first 2 shown]
	.size	_ZL11iq3xxs_grid, 1024

	.type	_ZL13iq1s_grid_gpu,@object      ; @_ZL13iq1s_grid_gpu
	.p2align	4, 0x0
_ZL13iq1s_grid_gpu:
	.quad	0                               ; 0x0
	.quad	2                               ; 0x2
	.quad	257                             ; 0x101
	.quad	512                             ; 0x200
	;; [unrolled: 1-line block ×3, first 2 shown]
	.quad	65537                           ; 0x10001
	.quad	65793                           ; 0x10101
	.quad	131072                          ; 0x20000
	.quad	131074                          ; 0x20002
	;; [unrolled: 1-line block ×4, first 2 shown]
	.quad	16777473                        ; 0x1000101
	.quad	16842753                        ; 0x1010001
	;; [unrolled: 1-line block ×14, first 2 shown]
	.quad	272                             ; 0x110
	.quad	273                             ; 0x111
	.quad	65553                           ; 0x10011
	.quad	65808                           ; 0x10110
	;; [unrolled: 1-line block ×5, first 2 shown]
	.quad	131345                          ; 0x20111
	.quad	16777233                        ; 0x1000011
	.quad	16777490                        ; 0x1000112
	;; [unrolled: 1-line block ×15, first 2 shown]
	.quad	32                              ; 0x20
	.quad	34                              ; 0x22
	.quad	544                             ; 0x220
	.quad	546                             ; 0x222
	.quad	65825                           ; 0x10121
	.quad	131104                          ; 0x20020
	.quad	131106                          ; 0x20022
	;; [unrolled: 1-line block ×4, first 2 shown]
	.quad	16777505                        ; 0x1000121
	.quad	16842785                        ; 0x1010021
	;; [unrolled: 1-line block ×16, first 2 shown]
	.quad	69633                           ; 0x11001
	.quad	69888                           ; 0x11100
	;; [unrolled: 1-line block ×3, first 2 shown]
	.quad	135425                          ; 0x21101
	.quad	16781313                        ; 0x1001001
	.quad	16781825                        ; 0x1001201
	;; [unrolled: 1-line block ×9, first 2 shown]
	.quad	4113                            ; 0x1011
	.quad	4368                            ; 0x1110
	;; [unrolled: 1-line block ×4, first 2 shown]
	.quad	69905                           ; 0x11111
	.quad	70160                           ; 0x11210
	;; [unrolled: 1-line block ×3, first 2 shown]
	.quad	135697                          ; 0x21211
	.quad	16781328                        ; 0x1001010
	.quad	16781585                        ; 0x1001111
	;; [unrolled: 1-line block ×24, first 2 shown]
	.quad	69920                           ; 0x11120
	.quad	70177                           ; 0x11221
	.quad	16781345                        ; 0x1001021
	.quad	16781600                        ; 0x1001120
	;; [unrolled: 1-line block ×14, first 2 shown]
	.quad	8192                            ; 0x2000
	.quad	8194                            ; 0x2002
	;; [unrolled: 1-line block ×4, first 2 shown]
	.quad	73985                           ; 0x12101
	.quad	139264                          ; 0x22000
	.quad	139266                          ; 0x22002
	;; [unrolled: 1-line block ×4, first 2 shown]
	.quad	16785665                        ; 0x1002101
	.quad	16850945                        ; 0x1012001
	.quad	16851202                        ; 0x1012102
	.quad	16916737                        ; 0x1022101
	.quad	33562624                        ; 0x2002000
	.quad	33562626                        ; 0x2002002
	.quad	33563136                        ; 0x2002200
	.quad	33563138                        ; 0x2002202
	.quad	33628417                        ; 0x2012101
	.quad	33693696                        ; 0x2022000
	.quad	33693698                        ; 0x2022002
	.quad	33694208                        ; 0x2022200
	.quad	33694210                        ; 0x2022202
	.quad	8465                            ; 0x2111
	.quad	73745                           ; 0x12011
	.quad	74000                           ; 0x12110
	;; [unrolled: 1-line block ×3, first 2 shown]
	.quad	139536                          ; 0x22110
	.quad	139537                          ; 0x22111
	.quad	16785425                        ; 0x1002011
	.quad	16850960                        ; 0x1012010
	;; [unrolled: 1-line block ×12, first 2 shown]
	.quad	8224                            ; 0x2020
	.quad	8226                            ; 0x2022
	;; [unrolled: 1-line block ×4, first 2 shown]
	.quad	74017                           ; 0x12121
	.quad	139296                          ; 0x22020
	.quad	139298                          ; 0x22022
	;; [unrolled: 1-line block ×4, first 2 shown]
	.quad	16785697                        ; 0x1002121
	.quad	16850977                        ; 0x1012021
	.quad	16851489                        ; 0x1012221
	.quad	16916513                        ; 0x1022021
	.quad	16916769                        ; 0x1022121
	.quad	33562656                        ; 0x2002020
	.quad	33562658                        ; 0x2002022
	.quad	33562913                        ; 0x2002121
	.quad	33563168                        ; 0x2002220
	.quad	33563170                        ; 0x2002222
	.quad	33628449                        ; 0x2012121
	.quad	33693728                        ; 0x2022020
	.quad	33693730                        ; 0x2022022
	.quad	33694240                        ; 0x2022220
	.quad	33694242                        ; 0x2022222
	.quad	1114112                         ; 0x110000
	.quad	1114113                         ; 0x110001
	;; [unrolled: 1-line block ×6, first 2 shown]
	.quad	17825793                        ; 0x1100001
	.quad	17826048                        ; 0x1100100
	;; [unrolled: 1-line block ×14, first 2 shown]
	.quad	1048593                         ; 0x100011
	.quad	1048848                         ; 0x100110
	;; [unrolled: 1-line block ×11, first 2 shown]
	.quad	17826065                        ; 0x1100111
	.quad	17826322                        ; 0x1100212
	;; [unrolled: 1-line block ×16, first 2 shown]
	.quad	1114145                         ; 0x110021
	.quad	1114400                         ; 0x110120
	.quad	1114402                         ; 0x110122
	.quad	1179937                         ; 0x120121
	.quad	17825824                        ; 0x1100020
	.quad	17826082                        ; 0x1100122
	;; [unrolled: 1-line block ×14, first 2 shown]
	.quad	1052673                         ; 0x101001
	.quad	1052930                         ; 0x101102
	;; [unrolled: 1-line block ×9, first 2 shown]
	.quad	17829889                        ; 0x1101001
	.quad	17830145                        ; 0x1101101
	;; [unrolled: 1-line block ×25, first 2 shown]
	.quad	1052690                         ; 0x101012
	.quad	1052945                         ; 0x101111
	.quad	1053202                         ; 0x101212
	.quad	1118225                         ; 0x111011
	.quad	1118480                         ; 0x111110
	.quad	1118481                         ; 0x111111
	.quad	1118482                         ; 0x111112
	.quad	1118737                         ; 0x111211
	.quad	1183760                         ; 0x121010
	.quad	1183762                         ; 0x121012
	.quad	1184017                         ; 0x121111
	.quad	1184272                         ; 0x121210
	.quad	1184274                         ; 0x121212
	.quad	17829905                        ; 0x1101011
	.quad	17830160                        ; 0x1101110
	;; [unrolled: 1-line block ×32, first 2 shown]
	.quad	1052705                         ; 0x101021
	.quad	1052960                         ; 0x101120
	;; [unrolled: 1-line block ×10, first 2 shown]
	.quad	17829920                        ; 0x1101020
	.quad	17829922                        ; 0x1101022
	;; [unrolled: 1-line block ×23, first 2 shown]
	.quad	1122305                         ; 0x112001
	.quad	1122562                         ; 0x112102
	;; [unrolled: 1-line block ×3, first 2 shown]
	.quad	17833985                        ; 0x1102001
	.quad	17834240                        ; 0x1102100
	;; [unrolled: 1-line block ×17, first 2 shown]
	.quad	1122320                         ; 0x112010
	.quad	1122322                         ; 0x112012
	;; [unrolled: 1-line block ×6, first 2 shown]
	.quad	17834002                        ; 0x1102012
	.quad	17834256                        ; 0x1102110
	;; [unrolled: 1-line block ×21, first 2 shown]
	.quad	1057313                         ; 0x102221
	.quad	1122594                         ; 0x112122
	.quad	1188128                         ; 0x122120
	.quad	1188130                         ; 0x122122
	.quad	17834272                        ; 0x1102120
	.quad	17834274                        ; 0x1102122
	;; [unrolled: 1-line block ×14, first 2 shown]
	.quad	2097152                         ; 0x200000
	.quad	2097154                         ; 0x200002
	;; [unrolled: 1-line block ×10, first 2 shown]
	.quad	18874625                        ; 0x1200101
	.quad	18939905                        ; 0x1210001
	;; [unrolled: 1-line block ×15, first 2 shown]
	.quad	2097425                         ; 0x200111
	.quad	2162705                         ; 0x210011
	;; [unrolled: 1-line block ×5, first 2 shown]
	.quad	18874386                        ; 0x1200012
	.quad	18874640                        ; 0x1200110
	;; [unrolled: 1-line block ×15, first 2 shown]
	.quad	2097185                         ; 0x200021
	.quad	2097696                         ; 0x200220
	;; [unrolled: 1-line block ×9, first 2 shown]
	.quad	18874657                        ; 0x1200121
	.quad	18939937                        ; 0x1210021
	;; [unrolled: 1-line block ×14, first 2 shown]
	.quad	2101505                         ; 0x201101
	.quad	2167040                         ; 0x211100
	;; [unrolled: 1-line block ×5, first 2 shown]
	.quad	18878720                        ; 0x1201100
	.quad	18878721                        ; 0x1201101
	;; [unrolled: 1-line block ×15, first 2 shown]
	.quad	2101777                         ; 0x201211
	.quad	2167057                         ; 0x211111
	;; [unrolled: 1-line block ×4, first 2 shown]
	.quad	18878480                        ; 0x1201010
	.quad	18878737                        ; 0x1201111
	;; [unrolled: 1-line block ×20, first 2 shown]
	.quad	2101537                         ; 0x201121
	.quad	2166816                         ; 0x211020
	;; [unrolled: 1-line block ×5, first 2 shown]
	.quad	18878497                        ; 0x1201021
	.quad	18879009                        ; 0x1201221
	.quad	18944289                        ; 0x1211121
	.quad	19009568                        ; 0x1221020
	.quad	19009569                        ; 0x1221021
	.quad	19010081                        ; 0x1221221
	.quad	35655968                        ; 0x2201120
	.quad	35655970                        ; 0x2201122
	.quad	35721248                        ; 0x2211020
	.quad	35721762                        ; 0x2211222
	.quad	2105344                         ; 0x202000
	.quad	2105346                         ; 0x202002
	;; [unrolled: 1-line block ×9, first 2 shown]
	.quad	18882817                        ; 0x1202101
	.quad	18948097                        ; 0x1212001
	;; [unrolled: 1-line block ×12, first 2 shown]
	.quad	2105873                         ; 0x202211
	.quad	2170897                         ; 0x212011
	;; [unrolled: 1-line block ×5, first 2 shown]
	.quad	18882834                        ; 0x1202112
	.quad	18883089                        ; 0x1202211
	;; [unrolled: 1-line block ×14, first 2 shown]
	.quad	2105376                         ; 0x202020
	.quad	2105378                         ; 0x202022
	;; [unrolled: 1-line block ×8, first 2 shown]
	.quad	18882849                        ; 0x1202121
	.quad	18948129                        ; 0x1212021
	;; [unrolled: 1-line block ×14, first 2 shown]
	.quad	268435713                       ; 0x10000101
	.quad	268500993                       ; 0x10010001
	;; [unrolled: 1-line block ×1419, first 2 shown]
	.size	_ZL13iq1s_grid_gpu, 16384

	.type	_ZL13kvalues_iq4nl,@object      ; @_ZL13kvalues_iq4nl
	.section	.rodata.cst16,"aM",@progbits,16
	.p2align	4, 0x0
_ZL13kvalues_iq4nl:
	.ascii	"\201\230\255\277\317\335\352\366\001\r\031&5EYq"
	.size	_ZL13kvalues_iq4nl, 16

	.type	_ZL10iq3xs_grid,@object         ; @_ZL10iq3xs_grid
	.section	.rodata,"a",@progbits
	.p2align	4, 0x0
_ZL10iq3xs_grid:
	.long	67372036                        ; 0x4040404
	.long	67372044                        ; 0x404040c
	;; [unrolled: 1-line block ×109, first 2 shown]
	.long	201589764                       ; 0xc040404
	.long	201589772                       ; 0xc04040c
	;; [unrolled: 1-line block ×368, first 2 shown]
	.long	1040450564                      ; 0x3e040404
	.long	1040450596                      ; 0x3e040424
	;; [unrolled: 1-line block ×35, first 2 shown]
	.size	_ZL10iq3xs_grid, 2048

	.type	_ZL9iq2s_grid,@object           ; @_ZL9iq2s_grid
	.p2align	4, 0x0
_ZL9iq2s_grid:
	.quad	578721382704613384              ; 0x808080808080808
	.quad	578721382704613419              ; 0x80808080808082b
	;; [unrolled: 1-line block ×471, first 2 shown]
	.quad	1803700481349388313             ; 0x1908080808080819
	.quad	1803700481349392648             ; 0x1908080808081908
	;; [unrolled: 1-line block ×553, first 2 shown]
	.size	_ZL9iq2s_grid, 8192

	.type	_ZL8ksigns64,@object            ; @_ZL8ksigns64
	.p2align	4, 0x0
_ZL8ksigns64:
	.quad	0                               ; 0x0
	.quad	-72057594037927681              ; 0xff000000000000ff
	.quad	-72057594037862656              ; 0xff0000000000ff00
	.quad	65535                           ; 0xffff
	.quad	-72057594021216256              ; 0xff00000000ff0000
	.quad	16711935                        ; 0xff00ff
	.quad	16776960                        ; 0xffff00
	.quad	-72057594021150721              ; 0xff00000000ffffff
	.quad	-72057589759737856              ; 0xff000000ff000000
	.quad	4278190335                      ; 0xff0000ff
	.quad	4278255360                      ; 0xff00ff00
	.quad	-72057589759672321              ; 0xff000000ff00ffff
	.quad	4294901760                      ; 0xffff0000
	.quad	-72057589743025921              ; 0xff000000ffff00ff
	.quad	-72057589742960896              ; 0xff000000ffffff00
	.quad	4294967295                      ; 0xffffffff
	.quad	-72056498821267456              ; 0xff0000ff00000000
	.quad	1095216660735                   ; 0xff000000ff
	.quad	1095216725760                   ; 0xff0000ff00
	.quad	-72056498821201921              ; 0xff0000ff0000ffff
	.quad	1095233372160                   ; 0xff00ff0000
	.quad	-72056498804555521              ; 0xff0000ff00ff00ff
	.quad	-72056498804490496              ; 0xff0000ff00ffff00
	.quad	1095233437695                   ; 0xff00ffffff
	.quad	1099494850560                   ; 0xffff000000
	.quad	-72056494543077121              ; 0xff0000ffff0000ff
	.quad	-72056494543012096              ; 0xff0000ffff00ff00
	.quad	1099494916095                   ; 0xffff00ffff
	.quad	-72056494526365696              ; 0xff0000ffffff0000
	.quad	1099511562495                   ; 0xffffff00ff
	.quad	1099511627520                   ; 0xffffffff00
	.quad	-72056494526300161              ; 0xff0000ffffffffff
	.quad	-71777218572845056              ; 0xff00ff0000000000
	.quad	280375465083135                 ; 0xff00000000ff
	.quad	280375465148160                 ; 0xff000000ff00
	.quad	-71777218572779521              ; 0xff00ff000000ffff
	.quad	280375481794560                 ; 0xff0000ff0000
	.quad	-71777218556133121              ; 0xff00ff0000ff00ff
	.quad	-71777218556068096              ; 0xff00ff0000ffff00
	.quad	280375481860095                 ; 0xff0000ffffff
	.quad	280379743272960                 ; 0xff00ff000000
	.quad	-71777214294654721              ; 0xff00ff00ff0000ff
	.quad	-71777214294589696              ; 0xff00ff00ff00ff00
	.quad	280379743338495                 ; 0xff00ff00ffff
	.quad	-71777214277943296              ; 0xff00ff00ffff0000
	.quad	280379759984895                 ; 0xff00ffff00ff
	.quad	280379760049920                 ; 0xff00ffffff00
	.quad	-71777214277877761              ; 0xff00ff00ffffffff
	.quad	281470681743360                 ; 0xffff00000000
	.quad	-71776123356184321              ; 0xff00ffff000000ff
	.quad	-71776123356119296              ; 0xff00ffff0000ff00
	.quad	281470681808895                 ; 0xffff0000ffff
	.quad	-71776123339472896              ; 0xff00ffff00ff0000
	.quad	281470698455295                 ; 0xffff00ff00ff
	.quad	281470698520320                 ; 0xffff00ffff00
	.quad	-71776123339407361              ; 0xff00ffff00ffffff
	.quad	-71776119077994496              ; 0xff00ffffff000000
	.quad	281474959933695                 ; 0xffffff0000ff
	.quad	281474959998720                 ; 0xffffff00ff00
	.quad	-71776119077928961              ; 0xff00ffffff00ffff
	.quad	281474976645120                 ; 0xffffffff0000
	.quad	-71776119061282561              ; 0xff00ffffffff00ff
	.quad	-71776119061217536              ; 0xff00ffffffffff00
	.quad	281474976710655                 ; 0xffffffffffff
	.quad	-281474976710656                ; 0xffff000000000000
	.quad	71776119061217535               ; 0xff0000000000ff
	.quad	71776119061282560               ; 0xff00000000ff00
	.quad	-281474976645121                ; 0xffff00000000ffff
	.quad	71776119077928960               ; 0xff000000ff0000
	.quad	-281474959998721                ; 0xffff000000ff00ff
	.quad	-281474959933696                ; 0xffff000000ffff00
	.quad	71776119077994495               ; 0xff000000ffffff
	.quad	71776123339407360               ; 0xff0000ff000000
	.quad	-281470698520321                ; 0xffff0000ff0000ff
	.quad	-281470698455296                ; 0xffff0000ff00ff00
	.quad	71776123339472895               ; 0xff0000ff00ffff
	.quad	-281470681808896                ; 0xffff0000ffff0000
	.quad	71776123356119295               ; 0xff0000ffff00ff
	.quad	71776123356184320               ; 0xff0000ffffff00
	.quad	-281470681743361                ; 0xffff0000ffffffff
	.quad	71777214277877760               ; 0xff00ff00000000
	.quad	-280379760049921                ; 0xffff00ff000000ff
	.quad	-280379759984896                ; 0xffff00ff0000ff00
	.quad	71777214277943295               ; 0xff00ff0000ffff
	.quad	-280379743338496                ; 0xffff00ff00ff0000
	.quad	71777214294589695               ; 0xff00ff00ff00ff
	.quad	71777214294654720               ; 0xff00ff00ffff00
	.quad	-280379743272961                ; 0xffff00ff00ffffff
	.quad	-280375481860096                ; 0xffff00ffff000000
	.quad	71777218556068095               ; 0xff00ffff0000ff
	.quad	71777218556133120               ; 0xff00ffff00ff00
	.quad	-280375481794561                ; 0xffff00ffff00ffff
	.quad	71777218572779520               ; 0xff00ffffff0000
	.quad	-280375465148161                ; 0xffff00ffffff00ff
	.quad	-280375465083136                ; 0xffff00ffffffff00
	.quad	71777218572845055               ; 0xff00ffffffffff
	.quad	72056494526300160               ; 0xffff0000000000
	.quad	-1099511627521                  ; 0xffffff00000000ff
	.quad	-1099511562496                  ; 0xffffff000000ff00
	.quad	72056494526365695               ; 0xffff000000ffff
	.quad	-1099494916096                  ; 0xffffff0000ff0000
	.quad	72056494543012095               ; 0xffff0000ff00ff
	.quad	72056494543077120               ; 0xffff0000ffff00
	.quad	-1099494850561                  ; 0xffffff0000ffffff
	.quad	-1095233437696                  ; 0xffffff00ff000000
	.quad	72056498804490495               ; 0xffff00ff0000ff
	.quad	72056498804555520               ; 0xffff00ff00ff00
	.quad	-1095233372161                  ; 0xffffff00ff00ffff
	.quad	72056498821201920               ; 0xffff00ffff0000
	.quad	-1095216725761                  ; 0xffffff00ffff00ff
	.quad	-1095216660736                  ; 0xffffff00ffffff00
	.quad	72056498821267455               ; 0xffff00ffffffff
	.quad	-4294967296                     ; 0xffffffff00000000
	.quad	72057589742960895               ; 0xffffff000000ff
	.quad	72057589743025920               ; 0xffffff0000ff00
	.quad	-4294901761                     ; 0xffffffff0000ffff
	.quad	72057589759672320               ; 0xffffff00ff0000
	.quad	-4278255361                     ; 0xffffffff00ff00ff
	.quad	-4278190336                     ; 0xffffffff00ffff00
	.quad	72057589759737855               ; 0xffffff00ffffff
	.quad	72057594021150720               ; 0xffffffff000000
	.quad	-16776961                       ; 0xffffffffff0000ff
	.quad	-16711936                       ; 0xffffffffff00ff00
	.quad	72057594021216255               ; 0xffffffff00ffff
	.quad	-65536                          ; 0xffffffffffff0000
	.quad	72057594037862655               ; 0xffffffffff00ff
	.quad	72057594037927680               ; 0xffffffffffff00
	.quad	-1                              ; 0xffffffffffffffff
	.size	_ZL8ksigns64, 1024

	.type	__hip_cuid_893680f0f20bdba8,@object ; @__hip_cuid_893680f0f20bdba8
	.section	.bss,"aw",@nobits
	.globl	__hip_cuid_893680f0f20bdba8
__hip_cuid_893680f0f20bdba8:
	.byte	0                               ; 0x0
	.size	__hip_cuid_893680f0f20bdba8, 1

	.ident	"AMD clang version 19.0.0git (https://github.com/RadeonOpenCompute/llvm-project roc-6.4.0 25133 c7fe45cf4b819c5991fe208aaa96edf142730f1d)"
	.section	".note.GNU-stack","",@progbits
	.addrsig
	.addrsig_sym __hip_cuid_893680f0f20bdba8
	.amdgpu_metadata
---
amdhsa.kernels:
  - .agpr_count:     0
    .args:
      - .actual_access:  read_only
        .address_space:  global
        .offset:         0
        .size:           8
        .value_kind:     global_buffer
      - .actual_access:  write_only
        .address_space:  global
        .offset:         8
        .size:           8
        .value_kind:     global_buffer
      - .offset:         16
        .size:           8
        .value_kind:     by_value
      - .offset:         24
        .size:           4
        .value_kind:     hidden_block_count_x
      - .offset:         28
        .size:           4
        .value_kind:     hidden_block_count_y
      - .offset:         32
        .size:           4
        .value_kind:     hidden_block_count_z
      - .offset:         36
        .size:           2
        .value_kind:     hidden_group_size_x
      - .offset:         38
        .size:           2
        .value_kind:     hidden_group_size_y
      - .offset:         40
        .size:           2
        .value_kind:     hidden_group_size_z
      - .offset:         42
        .size:           2
        .value_kind:     hidden_remainder_x
      - .offset:         44
        .size:           2
        .value_kind:     hidden_remainder_y
      - .offset:         46
        .size:           2
        .value_kind:     hidden_remainder_z
      - .offset:         64
        .size:           8
        .value_kind:     hidden_global_offset_x
      - .offset:         72
        .size:           8
        .value_kind:     hidden_global_offset_y
      - .offset:         80
        .size:           8
        .value_kind:     hidden_global_offset_z
      - .offset:         88
        .size:           2
        .value_kind:     hidden_grid_dims
    .group_segment_fixed_size: 0
    .kernarg_segment_align: 8
    .kernarg_segment_size: 280
    .language:       OpenCL C
    .language_version:
      - 2
      - 0
    .max_flat_workgroup_size: 1024
    .name:           _ZL16dequantize_blockILi32ELi2EXadL_ZL15dequantize_q4_0PKviiR7__half2EEfEvS1_PT2_l
    .private_segment_fixed_size: 0
    .sgpr_count:     11
    .sgpr_spill_count: 0
    .symbol:         _ZL16dequantize_blockILi32ELi2EXadL_ZL15dequantize_q4_0PKviiR7__half2EEfEvS1_PT2_l.kd
    .uniform_work_group_size: 1
    .uses_dynamic_stack: false
    .vgpr_count:     8
    .vgpr_spill_count: 0
    .wavefront_size: 64
  - .agpr_count:     0
    .args:
      - .actual_access:  read_only
        .address_space:  global
        .offset:         0
        .size:           8
        .value_kind:     global_buffer
      - .actual_access:  write_only
        .address_space:  global
        .offset:         8
        .size:           8
        .value_kind:     global_buffer
      - .offset:         16
        .size:           8
        .value_kind:     by_value
      - .offset:         24
        .size:           4
        .value_kind:     hidden_block_count_x
      - .offset:         28
        .size:           4
        .value_kind:     hidden_block_count_y
      - .offset:         32
        .size:           4
        .value_kind:     hidden_block_count_z
      - .offset:         36
        .size:           2
        .value_kind:     hidden_group_size_x
      - .offset:         38
        .size:           2
        .value_kind:     hidden_group_size_y
      - .offset:         40
        .size:           2
        .value_kind:     hidden_group_size_z
      - .offset:         42
        .size:           2
        .value_kind:     hidden_remainder_x
      - .offset:         44
        .size:           2
        .value_kind:     hidden_remainder_y
      - .offset:         46
        .size:           2
        .value_kind:     hidden_remainder_z
      - .offset:         64
        .size:           8
        .value_kind:     hidden_global_offset_x
      - .offset:         72
        .size:           8
        .value_kind:     hidden_global_offset_y
      - .offset:         80
        .size:           8
        .value_kind:     hidden_global_offset_z
      - .offset:         88
        .size:           2
        .value_kind:     hidden_grid_dims
    .group_segment_fixed_size: 0
    .kernarg_segment_align: 8
    .kernarg_segment_size: 280
    .language:       OpenCL C
    .language_version:
      - 2
      - 0
    .max_flat_workgroup_size: 1024
    .name:           _ZL16dequantize_blockILi32ELi2EXadL_ZL15dequantize_q4_1PKviiR7__half2EEfEvS1_PT2_l
    .private_segment_fixed_size: 0
    .sgpr_count:     11
    .sgpr_spill_count: 0
    .symbol:         _ZL16dequantize_blockILi32ELi2EXadL_ZL15dequantize_q4_1PKviiR7__half2EEfEvS1_PT2_l.kd
    .uniform_work_group_size: 1
    .uses_dynamic_stack: false
    .vgpr_count:     8
    .vgpr_spill_count: 0
    .wavefront_size: 64
  - .agpr_count:     0
    .args:
      - .actual_access:  read_only
        .address_space:  global
        .offset:         0
        .size:           8
        .value_kind:     global_buffer
      - .actual_access:  write_only
        .address_space:  global
        .offset:         8
        .size:           8
        .value_kind:     global_buffer
      - .offset:         16
        .size:           8
        .value_kind:     by_value
      - .offset:         24
        .size:           4
        .value_kind:     hidden_block_count_x
      - .offset:         28
        .size:           4
        .value_kind:     hidden_block_count_y
      - .offset:         32
        .size:           4
        .value_kind:     hidden_block_count_z
      - .offset:         36
        .size:           2
        .value_kind:     hidden_group_size_x
      - .offset:         38
        .size:           2
        .value_kind:     hidden_group_size_y
      - .offset:         40
        .size:           2
        .value_kind:     hidden_group_size_z
      - .offset:         42
        .size:           2
        .value_kind:     hidden_remainder_x
      - .offset:         44
        .size:           2
        .value_kind:     hidden_remainder_y
      - .offset:         46
        .size:           2
        .value_kind:     hidden_remainder_z
      - .offset:         64
        .size:           8
        .value_kind:     hidden_global_offset_x
      - .offset:         72
        .size:           8
        .value_kind:     hidden_global_offset_y
      - .offset:         80
        .size:           8
        .value_kind:     hidden_global_offset_z
      - .offset:         88
        .size:           2
        .value_kind:     hidden_grid_dims
    .group_segment_fixed_size: 0
    .kernarg_segment_align: 8
    .kernarg_segment_size: 280
    .language:       OpenCL C
    .language_version:
      - 2
      - 0
    .max_flat_workgroup_size: 1024
    .name:           _ZL16dequantize_blockILi32ELi2EXadL_ZL15dequantize_q5_0PKviiR7__half2EEfEvS1_PT2_l
    .private_segment_fixed_size: 0
    .sgpr_count:     11
    .sgpr_spill_count: 0
    .symbol:         _ZL16dequantize_blockILi32ELi2EXadL_ZL15dequantize_q5_0PKviiR7__half2EEfEvS1_PT2_l.kd
    .uniform_work_group_size: 1
    .uses_dynamic_stack: false
    .vgpr_count:     6
    .vgpr_spill_count: 0
    .wavefront_size: 64
  - .agpr_count:     0
    .args:
      - .actual_access:  read_only
        .address_space:  global
        .offset:         0
        .size:           8
        .value_kind:     global_buffer
      - .actual_access:  write_only
        .address_space:  global
        .offset:         8
        .size:           8
        .value_kind:     global_buffer
      - .offset:         16
        .size:           8
        .value_kind:     by_value
      - .offset:         24
        .size:           4
        .value_kind:     hidden_block_count_x
      - .offset:         28
        .size:           4
        .value_kind:     hidden_block_count_y
      - .offset:         32
        .size:           4
        .value_kind:     hidden_block_count_z
      - .offset:         36
        .size:           2
        .value_kind:     hidden_group_size_x
      - .offset:         38
        .size:           2
        .value_kind:     hidden_group_size_y
      - .offset:         40
        .size:           2
        .value_kind:     hidden_group_size_z
      - .offset:         42
        .size:           2
        .value_kind:     hidden_remainder_x
      - .offset:         44
        .size:           2
        .value_kind:     hidden_remainder_y
      - .offset:         46
        .size:           2
        .value_kind:     hidden_remainder_z
      - .offset:         64
        .size:           8
        .value_kind:     hidden_global_offset_x
      - .offset:         72
        .size:           8
        .value_kind:     hidden_global_offset_y
      - .offset:         80
        .size:           8
        .value_kind:     hidden_global_offset_z
      - .offset:         88
        .size:           2
        .value_kind:     hidden_grid_dims
    .group_segment_fixed_size: 0
    .kernarg_segment_align: 8
    .kernarg_segment_size: 280
    .language:       OpenCL C
    .language_version:
      - 2
      - 0
    .max_flat_workgroup_size: 1024
    .name:           _ZL16dequantize_blockILi32ELi2EXadL_ZL15dequantize_q5_1PKviiR7__half2EEfEvS1_PT2_l
    .private_segment_fixed_size: 0
    .sgpr_count:     11
    .sgpr_spill_count: 0
    .symbol:         _ZL16dequantize_blockILi32ELi2EXadL_ZL15dequantize_q5_1PKviiR7__half2EEfEvS1_PT2_l.kd
    .uniform_work_group_size: 1
    .uses_dynamic_stack: false
    .vgpr_count:     10
    .vgpr_spill_count: 0
    .wavefront_size: 64
  - .agpr_count:     0
    .args:
      - .actual_access:  read_only
        .address_space:  global
        .offset:         0
        .size:           8
        .value_kind:     global_buffer
      - .actual_access:  write_only
        .address_space:  global
        .offset:         8
        .size:           8
        .value_kind:     global_buffer
      - .offset:         16
        .size:           8
        .value_kind:     by_value
      - .offset:         24
        .size:           4
        .value_kind:     hidden_block_count_x
      - .offset:         28
        .size:           4
        .value_kind:     hidden_block_count_y
      - .offset:         32
        .size:           4
        .value_kind:     hidden_block_count_z
      - .offset:         36
        .size:           2
        .value_kind:     hidden_group_size_x
      - .offset:         38
        .size:           2
        .value_kind:     hidden_group_size_y
      - .offset:         40
        .size:           2
        .value_kind:     hidden_group_size_z
      - .offset:         42
        .size:           2
        .value_kind:     hidden_remainder_x
      - .offset:         44
        .size:           2
        .value_kind:     hidden_remainder_y
      - .offset:         46
        .size:           2
        .value_kind:     hidden_remainder_z
      - .offset:         64
        .size:           8
        .value_kind:     hidden_global_offset_x
      - .offset:         72
        .size:           8
        .value_kind:     hidden_global_offset_y
      - .offset:         80
        .size:           8
        .value_kind:     hidden_global_offset_z
      - .offset:         88
        .size:           2
        .value_kind:     hidden_grid_dims
    .group_segment_fixed_size: 0
    .kernarg_segment_align: 8
    .kernarg_segment_size: 280
    .language:       OpenCL C
    .language_version:
      - 2
      - 0
    .max_flat_workgroup_size: 1024
    .name:           _ZL16dequantize_blockILi32ELi1EXadL_ZL15dequantize_q8_0PKviiR7__half2EEfEvS1_PT2_l
    .private_segment_fixed_size: 0
    .sgpr_count:     11
    .sgpr_spill_count: 0
    .symbol:         _ZL16dequantize_blockILi32ELi1EXadL_ZL15dequantize_q8_0PKviiR7__half2EEfEvS1_PT2_l.kd
    .uniform_work_group_size: 1
    .uses_dynamic_stack: false
    .vgpr_count:     10
    .vgpr_spill_count: 0
    .wavefront_size: 64
  - .agpr_count:     0
    .args:
      - .actual_access:  read_only
        .address_space:  global
        .offset:         0
        .size:           8
        .value_kind:     global_buffer
      - .actual_access:  write_only
        .address_space:  global
        .offset:         8
        .size:           8
        .value_kind:     global_buffer
    .group_segment_fixed_size: 0
    .kernarg_segment_align: 8
    .kernarg_segment_size: 16
    .language:       OpenCL C
    .language_version:
      - 2
      - 0
    .max_flat_workgroup_size: 1024
    .name:           _ZL21dequantize_block_q2_KIfEvPKvPT_
    .private_segment_fixed_size: 0
    .sgpr_count:     11
    .sgpr_spill_count: 0
    .symbol:         _ZL21dequantize_block_q2_KIfEvPKvPT_.kd
    .uniform_work_group_size: 1
    .uses_dynamic_stack: false
    .vgpr_count:     14
    .vgpr_spill_count: 0
    .wavefront_size: 64
  - .agpr_count:     0
    .args:
      - .actual_access:  read_only
        .address_space:  global
        .offset:         0
        .size:           8
        .value_kind:     global_buffer
      - .actual_access:  write_only
        .address_space:  global
        .offset:         8
        .size:           8
        .value_kind:     global_buffer
    .group_segment_fixed_size: 0
    .kernarg_segment_align: 8
    .kernarg_segment_size: 16
    .language:       OpenCL C
    .language_version:
      - 2
      - 0
    .max_flat_workgroup_size: 1024
    .name:           _ZL21dequantize_block_q3_KIfEvPKvPT_
    .private_segment_fixed_size: 0
    .sgpr_count:     20
    .sgpr_spill_count: 0
    .symbol:         _ZL21dequantize_block_q3_KIfEvPKvPT_.kd
    .uniform_work_group_size: 1
    .uses_dynamic_stack: false
    .vgpr_count:     17
    .vgpr_spill_count: 0
    .wavefront_size: 64
  - .agpr_count:     0
    .args:
      - .actual_access:  read_only
        .address_space:  global
        .offset:         0
        .size:           8
        .value_kind:     global_buffer
      - .actual_access:  write_only
        .address_space:  global
        .offset:         8
        .size:           8
        .value_kind:     global_buffer
    .group_segment_fixed_size: 0
    .kernarg_segment_align: 8
    .kernarg_segment_size: 16
    .language:       OpenCL C
    .language_version:
      - 2
      - 0
    .max_flat_workgroup_size: 1024
    .name:           _ZL21dequantize_block_q4_KIfEvPKvPT_
    .private_segment_fixed_size: 0
    .sgpr_count:     14
    .sgpr_spill_count: 0
    .symbol:         _ZL21dequantize_block_q4_KIfEvPKvPT_.kd
    .uniform_work_group_size: 1
    .uses_dynamic_stack: false
    .vgpr_count:     17
    .vgpr_spill_count: 0
    .wavefront_size: 64
  - .agpr_count:     0
    .args:
      - .actual_access:  read_only
        .address_space:  global
        .offset:         0
        .size:           8
        .value_kind:     global_buffer
      - .actual_access:  write_only
        .address_space:  global
        .offset:         8
        .size:           8
        .value_kind:     global_buffer
    .group_segment_fixed_size: 0
    .kernarg_segment_align: 8
    .kernarg_segment_size: 16
    .language:       OpenCL C
    .language_version:
      - 2
      - 0
    .max_flat_workgroup_size: 1024
    .name:           _ZL21dequantize_block_q5_KIfEvPKvPT_
    .private_segment_fixed_size: 0
    .sgpr_count:     14
    .sgpr_spill_count: 0
    .symbol:         _ZL21dequantize_block_q5_KIfEvPKvPT_.kd
    .uniform_work_group_size: 1
    .uses_dynamic_stack: false
    .vgpr_count:     16
    .vgpr_spill_count: 0
    .wavefront_size: 64
  - .agpr_count:     0
    .args:
      - .actual_access:  read_only
        .address_space:  global
        .offset:         0
        .size:           8
        .value_kind:     global_buffer
      - .actual_access:  write_only
        .address_space:  global
        .offset:         8
        .size:           8
        .value_kind:     global_buffer
    .group_segment_fixed_size: 0
    .kernarg_segment_align: 8
    .kernarg_segment_size: 16
    .language:       OpenCL C
    .language_version:
      - 2
      - 0
    .max_flat_workgroup_size: 1024
    .name:           _ZL21dequantize_block_q6_KIfEvPKvPT_
    .private_segment_fixed_size: 0
    .sgpr_count:     11
    .sgpr_spill_count: 0
    .symbol:         _ZL21dequantize_block_q6_KIfEvPKvPT_.kd
    .uniform_work_group_size: 1
    .uses_dynamic_stack: false
    .vgpr_count:     16
    .vgpr_spill_count: 0
    .wavefront_size: 64
  - .agpr_count:     0
    .args:
      - .actual_access:  read_only
        .address_space:  global
        .offset:         0
        .size:           8
        .value_kind:     global_buffer
      - .actual_access:  write_only
        .address_space:  global
        .offset:         8
        .size:           8
        .value_kind:     global_buffer
    .group_segment_fixed_size: 0
    .kernarg_segment_align: 8
    .kernarg_segment_size: 16
    .language:       OpenCL C
    .language_version:
      - 2
      - 0
    .max_flat_workgroup_size: 1024
    .name:           _ZL24dequantize_block_iq2_xxsIfEvPKvPT_
    .private_segment_fixed_size: 0
    .sgpr_count:     11
    .sgpr_spill_count: 0
    .symbol:         _ZL24dequantize_block_iq2_xxsIfEvPKvPT_.kd
    .uniform_work_group_size: 1
    .uses_dynamic_stack: false
    .vgpr_count:     21
    .vgpr_spill_count: 0
    .wavefront_size: 64
  - .agpr_count:     0
    .args:
      - .actual_access:  read_only
        .address_space:  global
        .offset:         0
        .size:           8
        .value_kind:     global_buffer
      - .actual_access:  write_only
        .address_space:  global
        .offset:         8
        .size:           8
        .value_kind:     global_buffer
    .group_segment_fixed_size: 0
    .kernarg_segment_align: 8
    .kernarg_segment_size: 16
    .language:       OpenCL C
    .language_version:
      - 2
      - 0
    .max_flat_workgroup_size: 1024
    .name:           _ZL23dequantize_block_iq2_xsIfEvPKvPT_
    .private_segment_fixed_size: 0
    .sgpr_count:     13
    .sgpr_spill_count: 0
    .symbol:         _ZL23dequantize_block_iq2_xsIfEvPKvPT_.kd
    .uniform_work_group_size: 1
    .uses_dynamic_stack: false
    .vgpr_count:     20
    .vgpr_spill_count: 0
    .wavefront_size: 64
  - .agpr_count:     0
    .args:
      - .actual_access:  read_only
        .address_space:  global
        .offset:         0
        .size:           8
        .value_kind:     global_buffer
      - .actual_access:  write_only
        .address_space:  global
        .offset:         8
        .size:           8
        .value_kind:     global_buffer
    .group_segment_fixed_size: 0
    .kernarg_segment_align: 8
    .kernarg_segment_size: 16
    .language:       OpenCL C
    .language_version:
      - 2
      - 0
    .max_flat_workgroup_size: 1024
    .name:           _ZL24dequantize_block_iq3_xxsIfEvPKvPT_
    .private_segment_fixed_size: 0
    .sgpr_count:     11
    .sgpr_spill_count: 0
    .symbol:         _ZL24dequantize_block_iq3_xxsIfEvPKvPT_.kd
    .uniform_work_group_size: 1
    .uses_dynamic_stack: false
    .vgpr_count:     20
    .vgpr_spill_count: 0
    .wavefront_size: 64
  - .agpr_count:     0
    .args:
      - .actual_access:  read_only
        .address_space:  global
        .offset:         0
        .size:           8
        .value_kind:     global_buffer
      - .actual_access:  write_only
        .address_space:  global
        .offset:         8
        .size:           8
        .value_kind:     global_buffer
    .group_segment_fixed_size: 0
    .kernarg_segment_align: 8
    .kernarg_segment_size: 16
    .language:       OpenCL C
    .language_version:
      - 2
      - 0
    .max_flat_workgroup_size: 1024
    .name:           _ZL22dequantize_block_iq1_sIfEvPKvPT_
    .private_segment_fixed_size: 0
    .sgpr_count:     12
    .sgpr_spill_count: 0
    .symbol:         _ZL22dequantize_block_iq1_sIfEvPKvPT_.kd
    .uniform_work_group_size: 1
    .uses_dynamic_stack: false
    .vgpr_count:     14
    .vgpr_spill_count: 0
    .wavefront_size: 64
  - .agpr_count:     0
    .args:
      - .actual_access:  read_only
        .address_space:  global
        .offset:         0
        .size:           8
        .value_kind:     global_buffer
      - .actual_access:  write_only
        .address_space:  global
        .offset:         8
        .size:           8
        .value_kind:     global_buffer
    .group_segment_fixed_size: 0
    .kernarg_segment_align: 8
    .kernarg_segment_size: 16
    .language:       OpenCL C
    .language_version:
      - 2
      - 0
    .max_flat_workgroup_size: 1024
    .name:           _ZL23dequantize_block_iq4_nlIfEvPKvPT_
    .private_segment_fixed_size: 0
    .sgpr_count:     11
    .sgpr_spill_count: 0
    .symbol:         _ZL23dequantize_block_iq4_nlIfEvPKvPT_.kd
    .uniform_work_group_size: 1
    .uses_dynamic_stack: false
    .vgpr_count:     20
    .vgpr_spill_count: 0
    .wavefront_size: 64
  - .agpr_count:     0
    .args:
      - .actual_access:  read_only
        .address_space:  global
        .offset:         0
        .size:           8
        .value_kind:     global_buffer
      - .actual_access:  write_only
        .address_space:  global
        .offset:         8
        .size:           8
        .value_kind:     global_buffer
    .group_segment_fixed_size: 0
    .kernarg_segment_align: 8
    .kernarg_segment_size: 16
    .language:       OpenCL C
    .language_version:
      - 2
      - 0
    .max_flat_workgroup_size: 1024
    .name:           _ZL22dequantize_block_iq3_sIfEvPKvPT_
    .private_segment_fixed_size: 0
    .sgpr_count:     11
    .sgpr_spill_count: 0
    .symbol:         _ZL22dequantize_block_iq3_sIfEvPKvPT_.kd
    .uniform_work_group_size: 1
    .uses_dynamic_stack: false
    .vgpr_count:     20
    .vgpr_spill_count: 0
    .wavefront_size: 64
  - .agpr_count:     0
    .args:
      - .actual_access:  read_only
        .address_space:  global
        .offset:         0
        .size:           8
        .value_kind:     global_buffer
      - .actual_access:  write_only
        .address_space:  global
        .offset:         8
        .size:           8
        .value_kind:     global_buffer
    .group_segment_fixed_size: 0
    .kernarg_segment_align: 8
    .kernarg_segment_size: 16
    .language:       OpenCL C
    .language_version:
      - 2
      - 0
    .max_flat_workgroup_size: 1024
    .name:           _ZL22dequantize_block_iq2_sIfEvPKvPT_
    .private_segment_fixed_size: 0
    .sgpr_count:     11
    .sgpr_spill_count: 0
    .symbol:         _ZL22dequantize_block_iq2_sIfEvPKvPT_.kd
    .uniform_work_group_size: 1
    .uses_dynamic_stack: false
    .vgpr_count:     21
    .vgpr_spill_count: 0
    .wavefront_size: 64
  - .agpr_count:     0
    .args:
      - .actual_access:  read_only
        .address_space:  global
        .offset:         0
        .size:           8
        .value_kind:     global_buffer
      - .actual_access:  write_only
        .address_space:  global
        .offset:         8
        .size:           8
        .value_kind:     global_buffer
    .group_segment_fixed_size: 0
    .kernarg_segment_align: 8
    .kernarg_segment_size: 16
    .language:       OpenCL C
    .language_version:
      - 2
      - 0
    .max_flat_workgroup_size: 1024
    .name:           _ZL23dequantize_block_iq4_xsIfEvPKvPT_
    .private_segment_fixed_size: 0
    .sgpr_count:     11
    .sgpr_spill_count: 0
    .symbol:         _ZL23dequantize_block_iq4_xsIfEvPKvPT_.kd
    .uniform_work_group_size: 1
    .uses_dynamic_stack: false
    .vgpr_count:     22
    .vgpr_spill_count: 0
    .wavefront_size: 64
  - .agpr_count:     0
    .args:
      - .actual_access:  read_only
        .address_space:  global
        .offset:         0
        .size:           8
        .value_kind:     global_buffer
      - .actual_access:  write_only
        .address_space:  global
        .offset:         8
        .size:           8
        .value_kind:     global_buffer
    .group_segment_fixed_size: 0
    .kernarg_segment_align: 8
    .kernarg_segment_size: 16
    .language:       OpenCL C
    .language_version:
      - 2
      - 0
    .max_flat_workgroup_size: 1024
    .name:           _ZL22dequantize_block_iq1_mIfEvPKvPT_
    .private_segment_fixed_size: 0
    .sgpr_count:     12
    .sgpr_spill_count: 0
    .symbol:         _ZL22dequantize_block_iq1_mIfEvPKvPT_.kd
    .uniform_work_group_size: 1
    .uses_dynamic_stack: false
    .vgpr_count:     14
    .vgpr_spill_count: 0
    .wavefront_size: 64
  - .agpr_count:     0
    .args:
      - .actual_access:  read_only
        .address_space:  global
        .offset:         0
        .size:           8
        .value_kind:     global_buffer
      - .actual_access:  write_only
        .address_space:  global
        .offset:         8
        .size:           8
        .value_kind:     global_buffer
      - .offset:         16
        .size:           8
        .value_kind:     by_value
      - .offset:         24
        .size:           4
        .value_kind:     hidden_block_count_x
      - .offset:         28
        .size:           4
        .value_kind:     hidden_block_count_y
      - .offset:         32
        .size:           4
        .value_kind:     hidden_block_count_z
      - .offset:         36
        .size:           2
        .value_kind:     hidden_group_size_x
      - .offset:         38
        .size:           2
        .value_kind:     hidden_group_size_y
      - .offset:         40
        .size:           2
        .value_kind:     hidden_group_size_z
      - .offset:         42
        .size:           2
        .value_kind:     hidden_remainder_x
      - .offset:         44
        .size:           2
        .value_kind:     hidden_remainder_y
      - .offset:         46
        .size:           2
        .value_kind:     hidden_remainder_z
      - .offset:         64
        .size:           8
        .value_kind:     hidden_global_offset_x
      - .offset:         72
        .size:           8
        .value_kind:     hidden_global_offset_y
      - .offset:         80
        .size:           8
        .value_kind:     hidden_global_offset_z
      - .offset:         88
        .size:           2
        .value_kind:     hidden_grid_dims
    .group_segment_fixed_size: 0
    .kernarg_segment_align: 8
    .kernarg_segment_size: 280
    .language:       OpenCL C
    .language_version:
      - 2
      - 0
    .max_flat_workgroup_size: 1024
    .name:           _ZL16dequantize_blockILi32ELi2EXadL_ZL15dequantize_q4_0PKviiR7__half2EEN3c104HalfEEvS1_PT2_l
    .private_segment_fixed_size: 0
    .sgpr_count:     11
    .sgpr_spill_count: 0
    .symbol:         _ZL16dequantize_blockILi32ELi2EXadL_ZL15dequantize_q4_0PKviiR7__half2EEN3c104HalfEEvS1_PT2_l.kd
    .uniform_work_group_size: 1
    .uses_dynamic_stack: false
    .vgpr_count:     8
    .vgpr_spill_count: 0
    .wavefront_size: 64
  - .agpr_count:     0
    .args:
      - .actual_access:  read_only
        .address_space:  global
        .offset:         0
        .size:           8
        .value_kind:     global_buffer
      - .actual_access:  write_only
        .address_space:  global
        .offset:         8
        .size:           8
        .value_kind:     global_buffer
      - .offset:         16
        .size:           8
        .value_kind:     by_value
      - .offset:         24
        .size:           4
        .value_kind:     hidden_block_count_x
      - .offset:         28
        .size:           4
        .value_kind:     hidden_block_count_y
      - .offset:         32
        .size:           4
        .value_kind:     hidden_block_count_z
      - .offset:         36
        .size:           2
        .value_kind:     hidden_group_size_x
      - .offset:         38
        .size:           2
        .value_kind:     hidden_group_size_y
      - .offset:         40
        .size:           2
        .value_kind:     hidden_group_size_z
      - .offset:         42
        .size:           2
        .value_kind:     hidden_remainder_x
      - .offset:         44
        .size:           2
        .value_kind:     hidden_remainder_y
      - .offset:         46
        .size:           2
        .value_kind:     hidden_remainder_z
      - .offset:         64
        .size:           8
        .value_kind:     hidden_global_offset_x
      - .offset:         72
        .size:           8
        .value_kind:     hidden_global_offset_y
      - .offset:         80
        .size:           8
        .value_kind:     hidden_global_offset_z
      - .offset:         88
        .size:           2
        .value_kind:     hidden_grid_dims
    .group_segment_fixed_size: 0
    .kernarg_segment_align: 8
    .kernarg_segment_size: 280
    .language:       OpenCL C
    .language_version:
      - 2
      - 0
    .max_flat_workgroup_size: 1024
    .name:           _ZL16dequantize_blockILi32ELi2EXadL_ZL15dequantize_q4_1PKviiR7__half2EEN3c104HalfEEvS1_PT2_l
    .private_segment_fixed_size: 0
    .sgpr_count:     11
    .sgpr_spill_count: 0
    .symbol:         _ZL16dequantize_blockILi32ELi2EXadL_ZL15dequantize_q4_1PKviiR7__half2EEN3c104HalfEEvS1_PT2_l.kd
    .uniform_work_group_size: 1
    .uses_dynamic_stack: false
    .vgpr_count:     8
    .vgpr_spill_count: 0
    .wavefront_size: 64
  - .agpr_count:     0
    .args:
      - .actual_access:  read_only
        .address_space:  global
        .offset:         0
        .size:           8
        .value_kind:     global_buffer
      - .actual_access:  write_only
        .address_space:  global
        .offset:         8
        .size:           8
        .value_kind:     global_buffer
      - .offset:         16
        .size:           8
        .value_kind:     by_value
      - .offset:         24
        .size:           4
        .value_kind:     hidden_block_count_x
      - .offset:         28
        .size:           4
        .value_kind:     hidden_block_count_y
      - .offset:         32
        .size:           4
        .value_kind:     hidden_block_count_z
      - .offset:         36
        .size:           2
        .value_kind:     hidden_group_size_x
      - .offset:         38
        .size:           2
        .value_kind:     hidden_group_size_y
      - .offset:         40
        .size:           2
        .value_kind:     hidden_group_size_z
      - .offset:         42
        .size:           2
        .value_kind:     hidden_remainder_x
      - .offset:         44
        .size:           2
        .value_kind:     hidden_remainder_y
      - .offset:         46
        .size:           2
        .value_kind:     hidden_remainder_z
      - .offset:         64
        .size:           8
        .value_kind:     hidden_global_offset_x
      - .offset:         72
        .size:           8
        .value_kind:     hidden_global_offset_y
      - .offset:         80
        .size:           8
        .value_kind:     hidden_global_offset_z
      - .offset:         88
        .size:           2
        .value_kind:     hidden_grid_dims
    .group_segment_fixed_size: 0
    .kernarg_segment_align: 8
    .kernarg_segment_size: 280
    .language:       OpenCL C
    .language_version:
      - 2
      - 0
    .max_flat_workgroup_size: 1024
    .name:           _ZL16dequantize_blockILi32ELi2EXadL_ZL15dequantize_q5_0PKviiR7__half2EEN3c104HalfEEvS1_PT2_l
    .private_segment_fixed_size: 0
    .sgpr_count:     11
    .sgpr_spill_count: 0
    .symbol:         _ZL16dequantize_blockILi32ELi2EXadL_ZL15dequantize_q5_0PKviiR7__half2EEN3c104HalfEEvS1_PT2_l.kd
    .uniform_work_group_size: 1
    .uses_dynamic_stack: false
    .vgpr_count:     8
    .vgpr_spill_count: 0
    .wavefront_size: 64
  - .agpr_count:     0
    .args:
      - .actual_access:  read_only
        .address_space:  global
        .offset:         0
        .size:           8
        .value_kind:     global_buffer
      - .actual_access:  write_only
        .address_space:  global
        .offset:         8
        .size:           8
        .value_kind:     global_buffer
      - .offset:         16
        .size:           8
        .value_kind:     by_value
      - .offset:         24
        .size:           4
        .value_kind:     hidden_block_count_x
      - .offset:         28
        .size:           4
        .value_kind:     hidden_block_count_y
      - .offset:         32
        .size:           4
        .value_kind:     hidden_block_count_z
      - .offset:         36
        .size:           2
        .value_kind:     hidden_group_size_x
      - .offset:         38
        .size:           2
        .value_kind:     hidden_group_size_y
      - .offset:         40
        .size:           2
        .value_kind:     hidden_group_size_z
      - .offset:         42
        .size:           2
        .value_kind:     hidden_remainder_x
      - .offset:         44
        .size:           2
        .value_kind:     hidden_remainder_y
      - .offset:         46
        .size:           2
        .value_kind:     hidden_remainder_z
      - .offset:         64
        .size:           8
        .value_kind:     hidden_global_offset_x
      - .offset:         72
        .size:           8
        .value_kind:     hidden_global_offset_y
      - .offset:         80
        .size:           8
        .value_kind:     hidden_global_offset_z
      - .offset:         88
        .size:           2
        .value_kind:     hidden_grid_dims
    .group_segment_fixed_size: 0
    .kernarg_segment_align: 8
    .kernarg_segment_size: 280
    .language:       OpenCL C
    .language_version:
      - 2
      - 0
    .max_flat_workgroup_size: 1024
    .name:           _ZL16dequantize_blockILi32ELi2EXadL_ZL15dequantize_q5_1PKviiR7__half2EEN3c104HalfEEvS1_PT2_l
    .private_segment_fixed_size: 0
    .sgpr_count:     11
    .sgpr_spill_count: 0
    .symbol:         _ZL16dequantize_blockILi32ELi2EXadL_ZL15dequantize_q5_1PKviiR7__half2EEN3c104HalfEEvS1_PT2_l.kd
    .uniform_work_group_size: 1
    .uses_dynamic_stack: false
    .vgpr_count:     11
    .vgpr_spill_count: 0
    .wavefront_size: 64
  - .agpr_count:     0
    .args:
      - .actual_access:  read_only
        .address_space:  global
        .offset:         0
        .size:           8
        .value_kind:     global_buffer
      - .actual_access:  write_only
        .address_space:  global
        .offset:         8
        .size:           8
        .value_kind:     global_buffer
      - .offset:         16
        .size:           8
        .value_kind:     by_value
      - .offset:         24
        .size:           4
        .value_kind:     hidden_block_count_x
      - .offset:         28
        .size:           4
        .value_kind:     hidden_block_count_y
      - .offset:         32
        .size:           4
        .value_kind:     hidden_block_count_z
      - .offset:         36
        .size:           2
        .value_kind:     hidden_group_size_x
      - .offset:         38
        .size:           2
        .value_kind:     hidden_group_size_y
      - .offset:         40
        .size:           2
        .value_kind:     hidden_group_size_z
      - .offset:         42
        .size:           2
        .value_kind:     hidden_remainder_x
      - .offset:         44
        .size:           2
        .value_kind:     hidden_remainder_y
      - .offset:         46
        .size:           2
        .value_kind:     hidden_remainder_z
      - .offset:         64
        .size:           8
        .value_kind:     hidden_global_offset_x
      - .offset:         72
        .size:           8
        .value_kind:     hidden_global_offset_y
      - .offset:         80
        .size:           8
        .value_kind:     hidden_global_offset_z
      - .offset:         88
        .size:           2
        .value_kind:     hidden_grid_dims
    .group_segment_fixed_size: 0
    .kernarg_segment_align: 8
    .kernarg_segment_size: 280
    .language:       OpenCL C
    .language_version:
      - 2
      - 0
    .max_flat_workgroup_size: 1024
    .name:           _ZL16dequantize_blockILi32ELi1EXadL_ZL15dequantize_q8_0PKviiR7__half2EEN3c104HalfEEvS1_PT2_l
    .private_segment_fixed_size: 0
    .sgpr_count:     11
    .sgpr_spill_count: 0
    .symbol:         _ZL16dequantize_blockILi32ELi1EXadL_ZL15dequantize_q8_0PKviiR7__half2EEN3c104HalfEEvS1_PT2_l.kd
    .uniform_work_group_size: 1
    .uses_dynamic_stack: false
    .vgpr_count:     10
    .vgpr_spill_count: 0
    .wavefront_size: 64
  - .agpr_count:     0
    .args:
      - .actual_access:  read_only
        .address_space:  global
        .offset:         0
        .size:           8
        .value_kind:     global_buffer
      - .actual_access:  write_only
        .address_space:  global
        .offset:         8
        .size:           8
        .value_kind:     global_buffer
    .group_segment_fixed_size: 0
    .kernarg_segment_align: 8
    .kernarg_segment_size: 16
    .language:       OpenCL C
    .language_version:
      - 2
      - 0
    .max_flat_workgroup_size: 1024
    .name:           _ZL21dequantize_block_q2_KIN3c104HalfEEvPKvPT_
    .private_segment_fixed_size: 0
    .sgpr_count:     11
    .sgpr_spill_count: 0
    .symbol:         _ZL21dequantize_block_q2_KIN3c104HalfEEvPKvPT_.kd
    .uniform_work_group_size: 1
    .uses_dynamic_stack: false
    .vgpr_count:     14
    .vgpr_spill_count: 0
    .wavefront_size: 64
  - .agpr_count:     0
    .args:
      - .actual_access:  read_only
        .address_space:  global
        .offset:         0
        .size:           8
        .value_kind:     global_buffer
      - .actual_access:  write_only
        .address_space:  global
        .offset:         8
        .size:           8
        .value_kind:     global_buffer
    .group_segment_fixed_size: 0
    .kernarg_segment_align: 8
    .kernarg_segment_size: 16
    .language:       OpenCL C
    .language_version:
      - 2
      - 0
    .max_flat_workgroup_size: 1024
    .name:           _ZL21dequantize_block_q3_KIN3c104HalfEEvPKvPT_
    .private_segment_fixed_size: 0
    .sgpr_count:     20
    .sgpr_spill_count: 0
    .symbol:         _ZL21dequantize_block_q3_KIN3c104HalfEEvPKvPT_.kd
    .uniform_work_group_size: 1
    .uses_dynamic_stack: false
    .vgpr_count:     16
    .vgpr_spill_count: 0
    .wavefront_size: 64
  - .agpr_count:     0
    .args:
      - .actual_access:  read_only
        .address_space:  global
        .offset:         0
        .size:           8
        .value_kind:     global_buffer
      - .actual_access:  write_only
        .address_space:  global
        .offset:         8
        .size:           8
        .value_kind:     global_buffer
    .group_segment_fixed_size: 0
    .kernarg_segment_align: 8
    .kernarg_segment_size: 16
    .language:       OpenCL C
    .language_version:
      - 2
      - 0
    .max_flat_workgroup_size: 1024
    .name:           _ZL21dequantize_block_q4_KIN3c104HalfEEvPKvPT_
    .private_segment_fixed_size: 0
    .sgpr_count:     14
    .sgpr_spill_count: 0
    .symbol:         _ZL21dequantize_block_q4_KIN3c104HalfEEvPKvPT_.kd
    .uniform_work_group_size: 1
    .uses_dynamic_stack: false
    .vgpr_count:     15
    .vgpr_spill_count: 0
    .wavefront_size: 64
  - .agpr_count:     0
    .args:
      - .actual_access:  read_only
        .address_space:  global
        .offset:         0
        .size:           8
        .value_kind:     global_buffer
      - .actual_access:  write_only
        .address_space:  global
        .offset:         8
        .size:           8
        .value_kind:     global_buffer
    .group_segment_fixed_size: 0
    .kernarg_segment_align: 8
    .kernarg_segment_size: 16
    .language:       OpenCL C
    .language_version:
      - 2
      - 0
    .max_flat_workgroup_size: 1024
    .name:           _ZL21dequantize_block_q5_KIN3c104HalfEEvPKvPT_
    .private_segment_fixed_size: 0
    .sgpr_count:     14
    .sgpr_spill_count: 0
    .symbol:         _ZL21dequantize_block_q5_KIN3c104HalfEEvPKvPT_.kd
    .uniform_work_group_size: 1
    .uses_dynamic_stack: false
    .vgpr_count:     15
    .vgpr_spill_count: 0
    .wavefront_size: 64
  - .agpr_count:     0
    .args:
      - .actual_access:  read_only
        .address_space:  global
        .offset:         0
        .size:           8
        .value_kind:     global_buffer
      - .actual_access:  write_only
        .address_space:  global
        .offset:         8
        .size:           8
        .value_kind:     global_buffer
    .group_segment_fixed_size: 0
    .kernarg_segment_align: 8
    .kernarg_segment_size: 16
    .language:       OpenCL C
    .language_version:
      - 2
      - 0
    .max_flat_workgroup_size: 1024
    .name:           _ZL21dequantize_block_q6_KIN3c104HalfEEvPKvPT_
    .private_segment_fixed_size: 0
    .sgpr_count:     11
    .sgpr_spill_count: 0
    .symbol:         _ZL21dequantize_block_q6_KIN3c104HalfEEvPKvPT_.kd
    .uniform_work_group_size: 1
    .uses_dynamic_stack: false
    .vgpr_count:     16
    .vgpr_spill_count: 0
    .wavefront_size: 64
  - .agpr_count:     0
    .args:
      - .actual_access:  read_only
        .address_space:  global
        .offset:         0
        .size:           8
        .value_kind:     global_buffer
      - .actual_access:  write_only
        .address_space:  global
        .offset:         8
        .size:           8
        .value_kind:     global_buffer
    .group_segment_fixed_size: 0
    .kernarg_segment_align: 8
    .kernarg_segment_size: 16
    .language:       OpenCL C
    .language_version:
      - 2
      - 0
    .max_flat_workgroup_size: 1024
    .name:           _ZL24dequantize_block_iq2_xxsIN3c104HalfEEvPKvPT_
    .private_segment_fixed_size: 0
    .sgpr_count:     11
    .sgpr_spill_count: 0
    .symbol:         _ZL24dequantize_block_iq2_xxsIN3c104HalfEEvPKvPT_.kd
    .uniform_work_group_size: 1
    .uses_dynamic_stack: false
    .vgpr_count:     19
    .vgpr_spill_count: 0
    .wavefront_size: 64
  - .agpr_count:     0
    .args:
      - .actual_access:  read_only
        .address_space:  global
        .offset:         0
        .size:           8
        .value_kind:     global_buffer
      - .actual_access:  write_only
        .address_space:  global
        .offset:         8
        .size:           8
        .value_kind:     global_buffer
    .group_segment_fixed_size: 0
    .kernarg_segment_align: 8
    .kernarg_segment_size: 16
    .language:       OpenCL C
    .language_version:
      - 2
      - 0
    .max_flat_workgroup_size: 1024
    .name:           _ZL23dequantize_block_iq2_xsIN3c104HalfEEvPKvPT_
    .private_segment_fixed_size: 0
    .sgpr_count:     13
    .sgpr_spill_count: 0
    .symbol:         _ZL23dequantize_block_iq2_xsIN3c104HalfEEvPKvPT_.kd
    .uniform_work_group_size: 1
    .uses_dynamic_stack: false
    .vgpr_count:     19
    .vgpr_spill_count: 0
    .wavefront_size: 64
  - .agpr_count:     0
    .args:
      - .actual_access:  read_only
        .address_space:  global
        .offset:         0
        .size:           8
        .value_kind:     global_buffer
      - .actual_access:  write_only
        .address_space:  global
        .offset:         8
        .size:           8
        .value_kind:     global_buffer
    .group_segment_fixed_size: 0
    .kernarg_segment_align: 8
    .kernarg_segment_size: 16
    .language:       OpenCL C
    .language_version:
      - 2
      - 0
    .max_flat_workgroup_size: 1024
    .name:           _ZL24dequantize_block_iq3_xxsIN3c104HalfEEvPKvPT_
    .private_segment_fixed_size: 0
    .sgpr_count:     11
    .sgpr_spill_count: 0
    .symbol:         _ZL24dequantize_block_iq3_xxsIN3c104HalfEEvPKvPT_.kd
    .uniform_work_group_size: 1
    .uses_dynamic_stack: false
    .vgpr_count:     19
    .vgpr_spill_count: 0
    .wavefront_size: 64
  - .agpr_count:     0
    .args:
      - .actual_access:  read_only
        .address_space:  global
        .offset:         0
        .size:           8
        .value_kind:     global_buffer
      - .actual_access:  write_only
        .address_space:  global
        .offset:         8
        .size:           8
        .value_kind:     global_buffer
    .group_segment_fixed_size: 0
    .kernarg_segment_align: 8
    .kernarg_segment_size: 16
    .language:       OpenCL C
    .language_version:
      - 2
      - 0
    .max_flat_workgroup_size: 1024
    .name:           _ZL22dequantize_block_iq1_sIN3c104HalfEEvPKvPT_
    .private_segment_fixed_size: 0
    .sgpr_count:     12
    .sgpr_spill_count: 0
    .symbol:         _ZL22dequantize_block_iq1_sIN3c104HalfEEvPKvPT_.kd
    .uniform_work_group_size: 1
    .uses_dynamic_stack: false
    .vgpr_count:     14
    .vgpr_spill_count: 0
    .wavefront_size: 64
  - .agpr_count:     0
    .args:
      - .actual_access:  read_only
        .address_space:  global
        .offset:         0
        .size:           8
        .value_kind:     global_buffer
      - .actual_access:  write_only
        .address_space:  global
        .offset:         8
        .size:           8
        .value_kind:     global_buffer
    .group_segment_fixed_size: 0
    .kernarg_segment_align: 8
    .kernarg_segment_size: 16
    .language:       OpenCL C
    .language_version:
      - 2
      - 0
    .max_flat_workgroup_size: 1024
    .name:           _ZL23dequantize_block_iq4_nlIN3c104HalfEEvPKvPT_
    .private_segment_fixed_size: 0
    .sgpr_count:     11
    .sgpr_spill_count: 0
    .symbol:         _ZL23dequantize_block_iq4_nlIN3c104HalfEEvPKvPT_.kd
    .uniform_work_group_size: 1
    .uses_dynamic_stack: false
    .vgpr_count:     18
    .vgpr_spill_count: 0
    .wavefront_size: 64
  - .agpr_count:     0
    .args:
      - .actual_access:  read_only
        .address_space:  global
        .offset:         0
        .size:           8
        .value_kind:     global_buffer
      - .actual_access:  write_only
        .address_space:  global
        .offset:         8
        .size:           8
        .value_kind:     global_buffer
    .group_segment_fixed_size: 0
    .kernarg_segment_align: 8
    .kernarg_segment_size: 16
    .language:       OpenCL C
    .language_version:
      - 2
      - 0
    .max_flat_workgroup_size: 1024
    .name:           _ZL22dequantize_block_iq3_sIN3c104HalfEEvPKvPT_
    .private_segment_fixed_size: 0
    .sgpr_count:     11
    .sgpr_spill_count: 0
    .symbol:         _ZL22dequantize_block_iq3_sIN3c104HalfEEvPKvPT_.kd
    .uniform_work_group_size: 1
    .uses_dynamic_stack: false
    .vgpr_count:     19
    .vgpr_spill_count: 0
    .wavefront_size: 64
  - .agpr_count:     0
    .args:
      - .actual_access:  read_only
        .address_space:  global
        .offset:         0
        .size:           8
        .value_kind:     global_buffer
      - .actual_access:  write_only
        .address_space:  global
        .offset:         8
        .size:           8
        .value_kind:     global_buffer
    .group_segment_fixed_size: 0
    .kernarg_segment_align: 8
    .kernarg_segment_size: 16
    .language:       OpenCL C
    .language_version:
      - 2
      - 0
    .max_flat_workgroup_size: 1024
    .name:           _ZL22dequantize_block_iq2_sIN3c104HalfEEvPKvPT_
    .private_segment_fixed_size: 0
    .sgpr_count:     11
    .sgpr_spill_count: 0
    .symbol:         _ZL22dequantize_block_iq2_sIN3c104HalfEEvPKvPT_.kd
    .uniform_work_group_size: 1
    .uses_dynamic_stack: false
    .vgpr_count:     19
    .vgpr_spill_count: 0
    .wavefront_size: 64
  - .agpr_count:     0
    .args:
      - .actual_access:  read_only
        .address_space:  global
        .offset:         0
        .size:           8
        .value_kind:     global_buffer
      - .actual_access:  write_only
        .address_space:  global
        .offset:         8
        .size:           8
        .value_kind:     global_buffer
    .group_segment_fixed_size: 0
    .kernarg_segment_align: 8
    .kernarg_segment_size: 16
    .language:       OpenCL C
    .language_version:
      - 2
      - 0
    .max_flat_workgroup_size: 1024
    .name:           _ZL23dequantize_block_iq4_xsIN3c104HalfEEvPKvPT_
    .private_segment_fixed_size: 0
    .sgpr_count:     11
    .sgpr_spill_count: 0
    .symbol:         _ZL23dequantize_block_iq4_xsIN3c104HalfEEvPKvPT_.kd
    .uniform_work_group_size: 1
    .uses_dynamic_stack: false
    .vgpr_count:     20
    .vgpr_spill_count: 0
    .wavefront_size: 64
  - .agpr_count:     0
    .args:
      - .actual_access:  read_only
        .address_space:  global
        .offset:         0
        .size:           8
        .value_kind:     global_buffer
      - .actual_access:  write_only
        .address_space:  global
        .offset:         8
        .size:           8
        .value_kind:     global_buffer
    .group_segment_fixed_size: 0
    .kernarg_segment_align: 8
    .kernarg_segment_size: 16
    .language:       OpenCL C
    .language_version:
      - 2
      - 0
    .max_flat_workgroup_size: 1024
    .name:           _ZL22dequantize_block_iq1_mIN3c104HalfEEvPKvPT_
    .private_segment_fixed_size: 0
    .sgpr_count:     12
    .sgpr_spill_count: 0
    .symbol:         _ZL22dequantize_block_iq1_mIN3c104HalfEEvPKvPT_.kd
    .uniform_work_group_size: 1
    .uses_dynamic_stack: false
    .vgpr_count:     14
    .vgpr_spill_count: 0
    .wavefront_size: 64
  - .agpr_count:     0
    .args:
      - .actual_access:  read_only
        .address_space:  global
        .offset:         0
        .size:           8
        .value_kind:     global_buffer
      - .actual_access:  write_only
        .address_space:  global
        .offset:         8
        .size:           8
        .value_kind:     global_buffer
      - .offset:         16
        .size:           8
        .value_kind:     by_value
      - .offset:         24
        .size:           4
        .value_kind:     hidden_block_count_x
      - .offset:         28
        .size:           4
        .value_kind:     hidden_block_count_y
      - .offset:         32
        .size:           4
        .value_kind:     hidden_block_count_z
      - .offset:         36
        .size:           2
        .value_kind:     hidden_group_size_x
      - .offset:         38
        .size:           2
        .value_kind:     hidden_group_size_y
      - .offset:         40
        .size:           2
        .value_kind:     hidden_group_size_z
      - .offset:         42
        .size:           2
        .value_kind:     hidden_remainder_x
      - .offset:         44
        .size:           2
        .value_kind:     hidden_remainder_y
      - .offset:         46
        .size:           2
        .value_kind:     hidden_remainder_z
      - .offset:         64
        .size:           8
        .value_kind:     hidden_global_offset_x
      - .offset:         72
        .size:           8
        .value_kind:     hidden_global_offset_y
      - .offset:         80
        .size:           8
        .value_kind:     hidden_global_offset_z
      - .offset:         88
        .size:           2
        .value_kind:     hidden_grid_dims
    .group_segment_fixed_size: 0
    .kernarg_segment_align: 8
    .kernarg_segment_size: 280
    .language:       OpenCL C
    .language_version:
      - 2
      - 0
    .max_flat_workgroup_size: 1024
    .name:           _ZL16dequantize_blockILi32ELi2EXadL_ZL15dequantize_q4_0PKviiR7__half2EEN3c108BFloat16EEvS1_PT2_l
    .private_segment_fixed_size: 0
    .sgpr_count:     11
    .sgpr_spill_count: 0
    .symbol:         _ZL16dequantize_blockILi32ELi2EXadL_ZL15dequantize_q4_0PKviiR7__half2EEN3c108BFloat16EEvS1_PT2_l.kd
    .uniform_work_group_size: 1
    .uses_dynamic_stack: false
    .vgpr_count:     8
    .vgpr_spill_count: 0
    .wavefront_size: 64
  - .agpr_count:     0
    .args:
      - .actual_access:  read_only
        .address_space:  global
        .offset:         0
        .size:           8
        .value_kind:     global_buffer
      - .actual_access:  write_only
        .address_space:  global
        .offset:         8
        .size:           8
        .value_kind:     global_buffer
      - .offset:         16
        .size:           8
        .value_kind:     by_value
      - .offset:         24
        .size:           4
        .value_kind:     hidden_block_count_x
      - .offset:         28
        .size:           4
        .value_kind:     hidden_block_count_y
      - .offset:         32
        .size:           4
        .value_kind:     hidden_block_count_z
      - .offset:         36
        .size:           2
        .value_kind:     hidden_group_size_x
      - .offset:         38
        .size:           2
        .value_kind:     hidden_group_size_y
      - .offset:         40
        .size:           2
        .value_kind:     hidden_group_size_z
      - .offset:         42
        .size:           2
        .value_kind:     hidden_remainder_x
      - .offset:         44
        .size:           2
        .value_kind:     hidden_remainder_y
      - .offset:         46
        .size:           2
        .value_kind:     hidden_remainder_z
      - .offset:         64
        .size:           8
        .value_kind:     hidden_global_offset_x
      - .offset:         72
        .size:           8
        .value_kind:     hidden_global_offset_y
      - .offset:         80
        .size:           8
        .value_kind:     hidden_global_offset_z
      - .offset:         88
        .size:           2
        .value_kind:     hidden_grid_dims
    .group_segment_fixed_size: 0
    .kernarg_segment_align: 8
    .kernarg_segment_size: 280
    .language:       OpenCL C
    .language_version:
      - 2
      - 0
    .max_flat_workgroup_size: 1024
    .name:           _ZL16dequantize_blockILi32ELi2EXadL_ZL15dequantize_q4_1PKviiR7__half2EEN3c108BFloat16EEvS1_PT2_l
    .private_segment_fixed_size: 0
    .sgpr_count:     11
    .sgpr_spill_count: 0
    .symbol:         _ZL16dequantize_blockILi32ELi2EXadL_ZL15dequantize_q4_1PKviiR7__half2EEN3c108BFloat16EEvS1_PT2_l.kd
    .uniform_work_group_size: 1
    .uses_dynamic_stack: false
    .vgpr_count:     8
    .vgpr_spill_count: 0
    .wavefront_size: 64
  - .agpr_count:     0
    .args:
      - .actual_access:  read_only
        .address_space:  global
        .offset:         0
        .size:           8
        .value_kind:     global_buffer
      - .actual_access:  write_only
        .address_space:  global
        .offset:         8
        .size:           8
        .value_kind:     global_buffer
      - .offset:         16
        .size:           8
        .value_kind:     by_value
      - .offset:         24
        .size:           4
        .value_kind:     hidden_block_count_x
      - .offset:         28
        .size:           4
        .value_kind:     hidden_block_count_y
      - .offset:         32
        .size:           4
        .value_kind:     hidden_block_count_z
      - .offset:         36
        .size:           2
        .value_kind:     hidden_group_size_x
      - .offset:         38
        .size:           2
        .value_kind:     hidden_group_size_y
      - .offset:         40
        .size:           2
        .value_kind:     hidden_group_size_z
      - .offset:         42
        .size:           2
        .value_kind:     hidden_remainder_x
      - .offset:         44
        .size:           2
        .value_kind:     hidden_remainder_y
      - .offset:         46
        .size:           2
        .value_kind:     hidden_remainder_z
      - .offset:         64
        .size:           8
        .value_kind:     hidden_global_offset_x
      - .offset:         72
        .size:           8
        .value_kind:     hidden_global_offset_y
      - .offset:         80
        .size:           8
        .value_kind:     hidden_global_offset_z
      - .offset:         88
        .size:           2
        .value_kind:     hidden_grid_dims
    .group_segment_fixed_size: 0
    .kernarg_segment_align: 8
    .kernarg_segment_size: 280
    .language:       OpenCL C
    .language_version:
      - 2
      - 0
    .max_flat_workgroup_size: 1024
    .name:           _ZL16dequantize_blockILi32ELi2EXadL_ZL15dequantize_q5_0PKviiR7__half2EEN3c108BFloat16EEvS1_PT2_l
    .private_segment_fixed_size: 0
    .sgpr_count:     11
    .sgpr_spill_count: 0
    .symbol:         _ZL16dequantize_blockILi32ELi2EXadL_ZL15dequantize_q5_0PKviiR7__half2EEN3c108BFloat16EEvS1_PT2_l.kd
    .uniform_work_group_size: 1
    .uses_dynamic_stack: false
    .vgpr_count:     8
    .vgpr_spill_count: 0
    .wavefront_size: 64
  - .agpr_count:     0
    .args:
      - .actual_access:  read_only
        .address_space:  global
        .offset:         0
        .size:           8
        .value_kind:     global_buffer
      - .actual_access:  write_only
        .address_space:  global
        .offset:         8
        .size:           8
        .value_kind:     global_buffer
      - .offset:         16
        .size:           8
        .value_kind:     by_value
      - .offset:         24
        .size:           4
        .value_kind:     hidden_block_count_x
      - .offset:         28
        .size:           4
        .value_kind:     hidden_block_count_y
      - .offset:         32
        .size:           4
        .value_kind:     hidden_block_count_z
      - .offset:         36
        .size:           2
        .value_kind:     hidden_group_size_x
      - .offset:         38
        .size:           2
        .value_kind:     hidden_group_size_y
      - .offset:         40
        .size:           2
        .value_kind:     hidden_group_size_z
      - .offset:         42
        .size:           2
        .value_kind:     hidden_remainder_x
      - .offset:         44
        .size:           2
        .value_kind:     hidden_remainder_y
      - .offset:         46
        .size:           2
        .value_kind:     hidden_remainder_z
      - .offset:         64
        .size:           8
        .value_kind:     hidden_global_offset_x
      - .offset:         72
        .size:           8
        .value_kind:     hidden_global_offset_y
      - .offset:         80
        .size:           8
        .value_kind:     hidden_global_offset_z
      - .offset:         88
        .size:           2
        .value_kind:     hidden_grid_dims
    .group_segment_fixed_size: 0
    .kernarg_segment_align: 8
    .kernarg_segment_size: 280
    .language:       OpenCL C
    .language_version:
      - 2
      - 0
    .max_flat_workgroup_size: 1024
    .name:           _ZL16dequantize_blockILi32ELi2EXadL_ZL15dequantize_q5_1PKviiR7__half2EEN3c108BFloat16EEvS1_PT2_l
    .private_segment_fixed_size: 0
    .sgpr_count:     11
    .sgpr_spill_count: 0
    .symbol:         _ZL16dequantize_blockILi32ELi2EXadL_ZL15dequantize_q5_1PKviiR7__half2EEN3c108BFloat16EEvS1_PT2_l.kd
    .uniform_work_group_size: 1
    .uses_dynamic_stack: false
    .vgpr_count:     10
    .vgpr_spill_count: 0
    .wavefront_size: 64
  - .agpr_count:     0
    .args:
      - .actual_access:  read_only
        .address_space:  global
        .offset:         0
        .size:           8
        .value_kind:     global_buffer
      - .actual_access:  write_only
        .address_space:  global
        .offset:         8
        .size:           8
        .value_kind:     global_buffer
      - .offset:         16
        .size:           8
        .value_kind:     by_value
      - .offset:         24
        .size:           4
        .value_kind:     hidden_block_count_x
      - .offset:         28
        .size:           4
        .value_kind:     hidden_block_count_y
      - .offset:         32
        .size:           4
        .value_kind:     hidden_block_count_z
      - .offset:         36
        .size:           2
        .value_kind:     hidden_group_size_x
      - .offset:         38
        .size:           2
        .value_kind:     hidden_group_size_y
      - .offset:         40
        .size:           2
        .value_kind:     hidden_group_size_z
      - .offset:         42
        .size:           2
        .value_kind:     hidden_remainder_x
      - .offset:         44
        .size:           2
        .value_kind:     hidden_remainder_y
      - .offset:         46
        .size:           2
        .value_kind:     hidden_remainder_z
      - .offset:         64
        .size:           8
        .value_kind:     hidden_global_offset_x
      - .offset:         72
        .size:           8
        .value_kind:     hidden_global_offset_y
      - .offset:         80
        .size:           8
        .value_kind:     hidden_global_offset_z
      - .offset:         88
        .size:           2
        .value_kind:     hidden_grid_dims
    .group_segment_fixed_size: 0
    .kernarg_segment_align: 8
    .kernarg_segment_size: 280
    .language:       OpenCL C
    .language_version:
      - 2
      - 0
    .max_flat_workgroup_size: 1024
    .name:           _ZL16dequantize_blockILi32ELi1EXadL_ZL15dequantize_q8_0PKviiR7__half2EEN3c108BFloat16EEvS1_PT2_l
    .private_segment_fixed_size: 0
    .sgpr_count:     11
    .sgpr_spill_count: 0
    .symbol:         _ZL16dequantize_blockILi32ELi1EXadL_ZL15dequantize_q8_0PKviiR7__half2EEN3c108BFloat16EEvS1_PT2_l.kd
    .uniform_work_group_size: 1
    .uses_dynamic_stack: false
    .vgpr_count:     10
    .vgpr_spill_count: 0
    .wavefront_size: 64
  - .agpr_count:     0
    .args:
      - .actual_access:  read_only
        .address_space:  global
        .offset:         0
        .size:           8
        .value_kind:     global_buffer
      - .actual_access:  write_only
        .address_space:  global
        .offset:         8
        .size:           8
        .value_kind:     global_buffer
    .group_segment_fixed_size: 0
    .kernarg_segment_align: 8
    .kernarg_segment_size: 16
    .language:       OpenCL C
    .language_version:
      - 2
      - 0
    .max_flat_workgroup_size: 1024
    .name:           _ZL21dequantize_block_q2_KIN3c108BFloat16EEvPKvPT_
    .private_segment_fixed_size: 0
    .sgpr_count:     11
    .sgpr_spill_count: 0
    .symbol:         _ZL21dequantize_block_q2_KIN3c108BFloat16EEvPKvPT_.kd
    .uniform_work_group_size: 1
    .uses_dynamic_stack: false
    .vgpr_count:     15
    .vgpr_spill_count: 0
    .wavefront_size: 64
  - .agpr_count:     0
    .args:
      - .actual_access:  read_only
        .address_space:  global
        .offset:         0
        .size:           8
        .value_kind:     global_buffer
      - .actual_access:  write_only
        .address_space:  global
        .offset:         8
        .size:           8
        .value_kind:     global_buffer
    .group_segment_fixed_size: 0
    .kernarg_segment_align: 8
    .kernarg_segment_size: 16
    .language:       OpenCL C
    .language_version:
      - 2
      - 0
    .max_flat_workgroup_size: 1024
    .name:           _ZL21dequantize_block_q3_KIN3c108BFloat16EEvPKvPT_
    .private_segment_fixed_size: 0
    .sgpr_count:     20
    .sgpr_spill_count: 0
    .symbol:         _ZL21dequantize_block_q3_KIN3c108BFloat16EEvPKvPT_.kd
    .uniform_work_group_size: 1
    .uses_dynamic_stack: false
    .vgpr_count:     16
    .vgpr_spill_count: 0
    .wavefront_size: 64
  - .agpr_count:     0
    .args:
      - .actual_access:  read_only
        .address_space:  global
        .offset:         0
        .size:           8
        .value_kind:     global_buffer
      - .actual_access:  write_only
        .address_space:  global
        .offset:         8
        .size:           8
        .value_kind:     global_buffer
    .group_segment_fixed_size: 0
    .kernarg_segment_align: 8
    .kernarg_segment_size: 16
    .language:       OpenCL C
    .language_version:
      - 2
      - 0
    .max_flat_workgroup_size: 1024
    .name:           _ZL21dequantize_block_q4_KIN3c108BFloat16EEvPKvPT_
    .private_segment_fixed_size: 0
    .sgpr_count:     14
    .sgpr_spill_count: 0
    .symbol:         _ZL21dequantize_block_q4_KIN3c108BFloat16EEvPKvPT_.kd
    .uniform_work_group_size: 1
    .uses_dynamic_stack: false
    .vgpr_count:     19
    .vgpr_spill_count: 0
    .wavefront_size: 64
  - .agpr_count:     0
    .args:
      - .actual_access:  read_only
        .address_space:  global
        .offset:         0
        .size:           8
        .value_kind:     global_buffer
      - .actual_access:  write_only
        .address_space:  global
        .offset:         8
        .size:           8
        .value_kind:     global_buffer
    .group_segment_fixed_size: 0
    .kernarg_segment_align: 8
    .kernarg_segment_size: 16
    .language:       OpenCL C
    .language_version:
      - 2
      - 0
    .max_flat_workgroup_size: 1024
    .name:           _ZL21dequantize_block_q5_KIN3c108BFloat16EEvPKvPT_
    .private_segment_fixed_size: 0
    .sgpr_count:     14
    .sgpr_spill_count: 0
    .symbol:         _ZL21dequantize_block_q5_KIN3c108BFloat16EEvPKvPT_.kd
    .uniform_work_group_size: 1
    .uses_dynamic_stack: false
    .vgpr_count:     16
    .vgpr_spill_count: 0
    .wavefront_size: 64
  - .agpr_count:     0
    .args:
      - .actual_access:  read_only
        .address_space:  global
        .offset:         0
        .size:           8
        .value_kind:     global_buffer
      - .actual_access:  write_only
        .address_space:  global
        .offset:         8
        .size:           8
        .value_kind:     global_buffer
    .group_segment_fixed_size: 0
    .kernarg_segment_align: 8
    .kernarg_segment_size: 16
    .language:       OpenCL C
    .language_version:
      - 2
      - 0
    .max_flat_workgroup_size: 1024
    .name:           _ZL21dequantize_block_q6_KIN3c108BFloat16EEvPKvPT_
    .private_segment_fixed_size: 0
    .sgpr_count:     11
    .sgpr_spill_count: 0
    .symbol:         _ZL21dequantize_block_q6_KIN3c108BFloat16EEvPKvPT_.kd
    .uniform_work_group_size: 1
    .uses_dynamic_stack: false
    .vgpr_count:     17
    .vgpr_spill_count: 0
    .wavefront_size: 64
  - .agpr_count:     0
    .args:
      - .actual_access:  read_only
        .address_space:  global
        .offset:         0
        .size:           8
        .value_kind:     global_buffer
      - .actual_access:  write_only
        .address_space:  global
        .offset:         8
        .size:           8
        .value_kind:     global_buffer
    .group_segment_fixed_size: 0
    .kernarg_segment_align: 8
    .kernarg_segment_size: 16
    .language:       OpenCL C
    .language_version:
      - 2
      - 0
    .max_flat_workgroup_size: 1024
    .name:           _ZL24dequantize_block_iq2_xxsIN3c108BFloat16EEvPKvPT_
    .private_segment_fixed_size: 0
    .sgpr_count:     11
    .sgpr_spill_count: 0
    .symbol:         _ZL24dequantize_block_iq2_xxsIN3c108BFloat16EEvPKvPT_.kd
    .uniform_work_group_size: 1
    .uses_dynamic_stack: false
    .vgpr_count:     22
    .vgpr_spill_count: 0
    .wavefront_size: 64
  - .agpr_count:     0
    .args:
      - .actual_access:  read_only
        .address_space:  global
        .offset:         0
        .size:           8
        .value_kind:     global_buffer
      - .actual_access:  write_only
        .address_space:  global
        .offset:         8
        .size:           8
        .value_kind:     global_buffer
    .group_segment_fixed_size: 0
    .kernarg_segment_align: 8
    .kernarg_segment_size: 16
    .language:       OpenCL C
    .language_version:
      - 2
      - 0
    .max_flat_workgroup_size: 1024
    .name:           _ZL23dequantize_block_iq2_xsIN3c108BFloat16EEvPKvPT_
    .private_segment_fixed_size: 0
    .sgpr_count:     13
    .sgpr_spill_count: 0
    .symbol:         _ZL23dequantize_block_iq2_xsIN3c108BFloat16EEvPKvPT_.kd
    .uniform_work_group_size: 1
    .uses_dynamic_stack: false
    .vgpr_count:     20
    .vgpr_spill_count: 0
    .wavefront_size: 64
  - .agpr_count:     0
    .args:
      - .actual_access:  read_only
        .address_space:  global
        .offset:         0
        .size:           8
        .value_kind:     global_buffer
      - .actual_access:  write_only
        .address_space:  global
        .offset:         8
        .size:           8
        .value_kind:     global_buffer
    .group_segment_fixed_size: 0
    .kernarg_segment_align: 8
    .kernarg_segment_size: 16
    .language:       OpenCL C
    .language_version:
      - 2
      - 0
    .max_flat_workgroup_size: 1024
    .name:           _ZL24dequantize_block_iq3_xxsIN3c108BFloat16EEvPKvPT_
    .private_segment_fixed_size: 0
    .sgpr_count:     11
    .sgpr_spill_count: 0
    .symbol:         _ZL24dequantize_block_iq3_xxsIN3c108BFloat16EEvPKvPT_.kd
    .uniform_work_group_size: 1
    .uses_dynamic_stack: false
    .vgpr_count:     21
    .vgpr_spill_count: 0
    .wavefront_size: 64
  - .agpr_count:     0
    .args:
      - .actual_access:  read_only
        .address_space:  global
        .offset:         0
        .size:           8
        .value_kind:     global_buffer
      - .actual_access:  write_only
        .address_space:  global
        .offset:         8
        .size:           8
        .value_kind:     global_buffer
    .group_segment_fixed_size: 0
    .kernarg_segment_align: 8
    .kernarg_segment_size: 16
    .language:       OpenCL C
    .language_version:
      - 2
      - 0
    .max_flat_workgroup_size: 1024
    .name:           _ZL22dequantize_block_iq1_sIN3c108BFloat16EEvPKvPT_
    .private_segment_fixed_size: 0
    .sgpr_count:     12
    .sgpr_spill_count: 0
    .symbol:         _ZL22dequantize_block_iq1_sIN3c108BFloat16EEvPKvPT_.kd
    .uniform_work_group_size: 1
    .uses_dynamic_stack: false
    .vgpr_count:     19
    .vgpr_spill_count: 0
    .wavefront_size: 64
  - .agpr_count:     0
    .args:
      - .actual_access:  read_only
        .address_space:  global
        .offset:         0
        .size:           8
        .value_kind:     global_buffer
      - .actual_access:  write_only
        .address_space:  global
        .offset:         8
        .size:           8
        .value_kind:     global_buffer
    .group_segment_fixed_size: 0
    .kernarg_segment_align: 8
    .kernarg_segment_size: 16
    .language:       OpenCL C
    .language_version:
      - 2
      - 0
    .max_flat_workgroup_size: 1024
    .name:           _ZL23dequantize_block_iq4_nlIN3c108BFloat16EEvPKvPT_
    .private_segment_fixed_size: 0
    .sgpr_count:     11
    .sgpr_spill_count: 0
    .symbol:         _ZL23dequantize_block_iq4_nlIN3c108BFloat16EEvPKvPT_.kd
    .uniform_work_group_size: 1
    .uses_dynamic_stack: false
    .vgpr_count:     21
    .vgpr_spill_count: 0
    .wavefront_size: 64
  - .agpr_count:     0
    .args:
      - .actual_access:  read_only
        .address_space:  global
        .offset:         0
        .size:           8
        .value_kind:     global_buffer
      - .actual_access:  write_only
        .address_space:  global
        .offset:         8
        .size:           8
        .value_kind:     global_buffer
    .group_segment_fixed_size: 0
    .kernarg_segment_align: 8
    .kernarg_segment_size: 16
    .language:       OpenCL C
    .language_version:
      - 2
      - 0
    .max_flat_workgroup_size: 1024
    .name:           _ZL22dequantize_block_iq3_sIN3c108BFloat16EEvPKvPT_
    .private_segment_fixed_size: 0
    .sgpr_count:     11
    .sgpr_spill_count: 0
    .symbol:         _ZL22dequantize_block_iq3_sIN3c108BFloat16EEvPKvPT_.kd
    .uniform_work_group_size: 1
    .uses_dynamic_stack: false
    .vgpr_count:     20
    .vgpr_spill_count: 0
    .wavefront_size: 64
  - .agpr_count:     0
    .args:
      - .actual_access:  read_only
        .address_space:  global
        .offset:         0
        .size:           8
        .value_kind:     global_buffer
      - .actual_access:  write_only
        .address_space:  global
        .offset:         8
        .size:           8
        .value_kind:     global_buffer
    .group_segment_fixed_size: 0
    .kernarg_segment_align: 8
    .kernarg_segment_size: 16
    .language:       OpenCL C
    .language_version:
      - 2
      - 0
    .max_flat_workgroup_size: 1024
    .name:           _ZL22dequantize_block_iq2_sIN3c108BFloat16EEvPKvPT_
    .private_segment_fixed_size: 0
    .sgpr_count:     11
    .sgpr_spill_count: 0
    .symbol:         _ZL22dequantize_block_iq2_sIN3c108BFloat16EEvPKvPT_.kd
    .uniform_work_group_size: 1
    .uses_dynamic_stack: false
    .vgpr_count:     20
    .vgpr_spill_count: 0
    .wavefront_size: 64
  - .agpr_count:     0
    .args:
      - .actual_access:  read_only
        .address_space:  global
        .offset:         0
        .size:           8
        .value_kind:     global_buffer
      - .actual_access:  write_only
        .address_space:  global
        .offset:         8
        .size:           8
        .value_kind:     global_buffer
    .group_segment_fixed_size: 0
    .kernarg_segment_align: 8
    .kernarg_segment_size: 16
    .language:       OpenCL C
    .language_version:
      - 2
      - 0
    .max_flat_workgroup_size: 1024
    .name:           _ZL23dequantize_block_iq4_xsIN3c108BFloat16EEvPKvPT_
    .private_segment_fixed_size: 0
    .sgpr_count:     11
    .sgpr_spill_count: 0
    .symbol:         _ZL23dequantize_block_iq4_xsIN3c108BFloat16EEvPKvPT_.kd
    .uniform_work_group_size: 1
    .uses_dynamic_stack: false
    .vgpr_count:     23
    .vgpr_spill_count: 0
    .wavefront_size: 64
  - .agpr_count:     0
    .args:
      - .actual_access:  read_only
        .address_space:  global
        .offset:         0
        .size:           8
        .value_kind:     global_buffer
      - .actual_access:  write_only
        .address_space:  global
        .offset:         8
        .size:           8
        .value_kind:     global_buffer
    .group_segment_fixed_size: 0
    .kernarg_segment_align: 8
    .kernarg_segment_size: 16
    .language:       OpenCL C
    .language_version:
      - 2
      - 0
    .max_flat_workgroup_size: 1024
    .name:           _ZL22dequantize_block_iq1_mIN3c108BFloat16EEvPKvPT_
    .private_segment_fixed_size: 0
    .sgpr_count:     12
    .sgpr_spill_count: 0
    .symbol:         _ZL22dequantize_block_iq1_mIN3c108BFloat16EEvPKvPT_.kd
    .uniform_work_group_size: 1
    .uses_dynamic_stack: false
    .vgpr_count:     19
    .vgpr_spill_count: 0
    .wavefront_size: 64
  - .agpr_count:     0
    .args:
      - .actual_access:  read_only
        .address_space:  global
        .offset:         0
        .size:           8
        .value_kind:     global_buffer
      - .actual_access:  write_only
        .address_space:  global
        .offset:         8
        .size:           8
        .value_kind:     global_buffer
      - .offset:         16
        .size:           4
        .value_kind:     by_value
      - .offset:         20
        .size:           4
        .value_kind:     by_value
      - .offset:         24
        .size:           4
        .value_kind:     hidden_block_count_x
      - .offset:         28
        .size:           4
        .value_kind:     hidden_block_count_y
      - .offset:         32
        .size:           4
        .value_kind:     hidden_block_count_z
      - .offset:         36
        .size:           2
        .value_kind:     hidden_group_size_x
      - .offset:         38
        .size:           2
        .value_kind:     hidden_group_size_y
      - .offset:         40
        .size:           2
        .value_kind:     hidden_group_size_z
      - .offset:         42
        .size:           2
        .value_kind:     hidden_remainder_x
      - .offset:         44
        .size:           2
        .value_kind:     hidden_remainder_y
      - .offset:         46
        .size:           2
        .value_kind:     hidden_remainder_z
      - .offset:         64
        .size:           8
        .value_kind:     hidden_global_offset_x
      - .offset:         72
        .size:           8
        .value_kind:     hidden_global_offset_y
      - .offset:         80
        .size:           8
        .value_kind:     hidden_global_offset_z
      - .offset:         88
        .size:           2
        .value_kind:     hidden_grid_dims
    .group_segment_fixed_size: 0
    .kernarg_segment_align: 8
    .kernarg_segment_size: 280
    .language:       OpenCL C
    .language_version:
      - 2
      - 0
    .max_flat_workgroup_size: 1024
    .name:           _ZL13quantize_q8_1IfEvPKT_Pvii
    .private_segment_fixed_size: 0
    .sgpr_count:     14
    .sgpr_spill_count: 0
    .symbol:         _ZL13quantize_q8_1IfEvPKT_Pvii.kd
    .uniform_work_group_size: 1
    .uses_dynamic_stack: false
    .vgpr_count:     12
    .vgpr_spill_count: 0
    .wavefront_size: 64
  - .agpr_count:     0
    .args:
      - .actual_access:  read_only
        .address_space:  global
        .offset:         0
        .size:           8
        .value_kind:     global_buffer
      - .actual_access:  read_only
        .address_space:  global
        .offset:         8
        .size:           8
        .value_kind:     global_buffer
      - .actual_access:  write_only
        .address_space:  global
        .offset:         16
        .size:           8
        .value_kind:     global_buffer
      - .offset:         24
        .size:           4
        .value_kind:     by_value
      - .offset:         28
        .size:           4
        .value_kind:     by_value
      - .offset:         32
        .size:           4
        .value_kind:     by_value
      - .offset:         40
        .size:           4
        .value_kind:     hidden_block_count_x
      - .offset:         44
        .size:           4
        .value_kind:     hidden_block_count_y
      - .offset:         48
        .size:           4
        .value_kind:     hidden_block_count_z
      - .offset:         52
        .size:           2
        .value_kind:     hidden_group_size_x
      - .offset:         54
        .size:           2
        .value_kind:     hidden_group_size_y
      - .offset:         56
        .size:           2
        .value_kind:     hidden_group_size_z
      - .offset:         58
        .size:           2
        .value_kind:     hidden_remainder_x
      - .offset:         60
        .size:           2
        .value_kind:     hidden_remainder_y
      - .offset:         62
        .size:           2
        .value_kind:     hidden_remainder_z
      - .offset:         80
        .size:           8
        .value_kind:     hidden_global_offset_x
      - .offset:         88
        .size:           8
        .value_kind:     hidden_global_offset_y
      - .offset:         96
        .size:           8
        .value_kind:     hidden_global_offset_z
      - .offset:         104
        .size:           2
        .value_kind:     hidden_grid_dims
    .group_segment_fixed_size: 0
    .kernarg_segment_align: 8
    .kernarg_segment_size: 296
    .language:       OpenCL C
    .language_version:
      - 2
      - 0
    .max_flat_workgroup_size: 1024
    .name:           _ZL13mul_mat_vec_qIfLi32ELi4E10block_q4_0Li2EXadL_ZL17vec_dot_q4_0_q8_1PKvPK10block_q8_1RKiEEEvS2_S2_PT_iii
    .private_segment_fixed_size: 0
    .sgpr_count:     20
    .sgpr_spill_count: 0
    .symbol:         _ZL13mul_mat_vec_qIfLi32ELi4E10block_q4_0Li2EXadL_ZL17vec_dot_q4_0_q8_1PKvPK10block_q8_1RKiEEEvS2_S2_PT_iii.kd
    .uniform_work_group_size: 1
    .uses_dynamic_stack: false
    .vgpr_count:     23
    .vgpr_spill_count: 0
    .wavefront_size: 64
  - .agpr_count:     0
    .args:
      - .actual_access:  read_only
        .address_space:  global
        .offset:         0
        .size:           8
        .value_kind:     global_buffer
      - .actual_access:  read_only
        .address_space:  global
        .offset:         8
        .size:           8
        .value_kind:     global_buffer
      - .actual_access:  write_only
        .address_space:  global
        .offset:         16
        .size:           8
        .value_kind:     global_buffer
      - .offset:         24
        .size:           4
        .value_kind:     by_value
      - .offset:         28
        .size:           4
        .value_kind:     by_value
      - .offset:         32
        .size:           4
        .value_kind:     by_value
      - .offset:         40
        .size:           4
        .value_kind:     hidden_block_count_x
      - .offset:         44
        .size:           4
        .value_kind:     hidden_block_count_y
      - .offset:         48
        .size:           4
        .value_kind:     hidden_block_count_z
      - .offset:         52
        .size:           2
        .value_kind:     hidden_group_size_x
      - .offset:         54
        .size:           2
        .value_kind:     hidden_group_size_y
      - .offset:         56
        .size:           2
        .value_kind:     hidden_group_size_z
      - .offset:         58
        .size:           2
        .value_kind:     hidden_remainder_x
      - .offset:         60
        .size:           2
        .value_kind:     hidden_remainder_y
      - .offset:         62
        .size:           2
        .value_kind:     hidden_remainder_z
      - .offset:         80
        .size:           8
        .value_kind:     hidden_global_offset_x
      - .offset:         88
        .size:           8
        .value_kind:     hidden_global_offset_y
      - .offset:         96
        .size:           8
        .value_kind:     hidden_global_offset_z
      - .offset:         104
        .size:           2
        .value_kind:     hidden_grid_dims
    .group_segment_fixed_size: 0
    .kernarg_segment_align: 8
    .kernarg_segment_size: 296
    .language:       OpenCL C
    .language_version:
      - 2
      - 0
    .max_flat_workgroup_size: 1024
    .name:           _ZL13mul_mat_vec_qIfLi32ELi4E10block_q4_1Li2EXadL_ZL17vec_dot_q4_1_q8_1PKvPK10block_q8_1RKiEEEvS2_S2_PT_iii
    .private_segment_fixed_size: 0
    .sgpr_count:     22
    .sgpr_spill_count: 0
    .symbol:         _ZL13mul_mat_vec_qIfLi32ELi4E10block_q4_1Li2EXadL_ZL17vec_dot_q4_1_q8_1PKvPK10block_q8_1RKiEEEvS2_S2_PT_iii.kd
    .uniform_work_group_size: 1
    .uses_dynamic_stack: false
    .vgpr_count:     22
    .vgpr_spill_count: 0
    .wavefront_size: 64
  - .agpr_count:     0
    .args:
      - .actual_access:  read_only
        .address_space:  global
        .offset:         0
        .size:           8
        .value_kind:     global_buffer
      - .actual_access:  read_only
        .address_space:  global
        .offset:         8
        .size:           8
        .value_kind:     global_buffer
      - .actual_access:  write_only
        .address_space:  global
        .offset:         16
        .size:           8
        .value_kind:     global_buffer
      - .offset:         24
        .size:           4
        .value_kind:     by_value
      - .offset:         28
        .size:           4
        .value_kind:     by_value
      - .offset:         32
        .size:           4
        .value_kind:     by_value
      - .offset:         40
        .size:           4
        .value_kind:     hidden_block_count_x
      - .offset:         44
        .size:           4
        .value_kind:     hidden_block_count_y
      - .offset:         48
        .size:           4
        .value_kind:     hidden_block_count_z
      - .offset:         52
        .size:           2
        .value_kind:     hidden_group_size_x
      - .offset:         54
        .size:           2
        .value_kind:     hidden_group_size_y
      - .offset:         56
        .size:           2
        .value_kind:     hidden_group_size_z
      - .offset:         58
        .size:           2
        .value_kind:     hidden_remainder_x
      - .offset:         60
        .size:           2
        .value_kind:     hidden_remainder_y
      - .offset:         62
        .size:           2
        .value_kind:     hidden_remainder_z
      - .offset:         80
        .size:           8
        .value_kind:     hidden_global_offset_x
      - .offset:         88
        .size:           8
        .value_kind:     hidden_global_offset_y
      - .offset:         96
        .size:           8
        .value_kind:     hidden_global_offset_z
      - .offset:         104
        .size:           2
        .value_kind:     hidden_grid_dims
    .group_segment_fixed_size: 0
    .kernarg_segment_align: 8
    .kernarg_segment_size: 296
    .language:       OpenCL C
    .language_version:
      - 2
      - 0
    .max_flat_workgroup_size: 1024
    .name:           _ZL13mul_mat_vec_qIfLi32ELi4E10block_q5_0Li2EXadL_ZL17vec_dot_q5_0_q8_1PKvPK10block_q8_1RKiEEEvS2_S2_PT_iii
    .private_segment_fixed_size: 0
    .sgpr_count:     22
    .sgpr_spill_count: 0
    .symbol:         _ZL13mul_mat_vec_qIfLi32ELi4E10block_q5_0Li2EXadL_ZL17vec_dot_q5_0_q8_1PKvPK10block_q8_1RKiEEEvS2_S2_PT_iii.kd
    .uniform_work_group_size: 1
    .uses_dynamic_stack: false
    .vgpr_count:     36
    .vgpr_spill_count: 0
    .wavefront_size: 64
  - .agpr_count:     0
    .args:
      - .actual_access:  read_only
        .address_space:  global
        .offset:         0
        .size:           8
        .value_kind:     global_buffer
      - .actual_access:  read_only
        .address_space:  global
        .offset:         8
        .size:           8
        .value_kind:     global_buffer
      - .actual_access:  write_only
        .address_space:  global
        .offset:         16
        .size:           8
        .value_kind:     global_buffer
      - .offset:         24
        .size:           4
        .value_kind:     by_value
      - .offset:         28
        .size:           4
        .value_kind:     by_value
      - .offset:         32
        .size:           4
        .value_kind:     by_value
      - .offset:         40
        .size:           4
        .value_kind:     hidden_block_count_x
      - .offset:         44
        .size:           4
        .value_kind:     hidden_block_count_y
      - .offset:         48
        .size:           4
        .value_kind:     hidden_block_count_z
      - .offset:         52
        .size:           2
        .value_kind:     hidden_group_size_x
      - .offset:         54
        .size:           2
        .value_kind:     hidden_group_size_y
      - .offset:         56
        .size:           2
        .value_kind:     hidden_group_size_z
      - .offset:         58
        .size:           2
        .value_kind:     hidden_remainder_x
      - .offset:         60
        .size:           2
        .value_kind:     hidden_remainder_y
      - .offset:         62
        .size:           2
        .value_kind:     hidden_remainder_z
      - .offset:         80
        .size:           8
        .value_kind:     hidden_global_offset_x
      - .offset:         88
        .size:           8
        .value_kind:     hidden_global_offset_y
      - .offset:         96
        .size:           8
        .value_kind:     hidden_global_offset_z
      - .offset:         104
        .size:           2
        .value_kind:     hidden_grid_dims
    .group_segment_fixed_size: 0
    .kernarg_segment_align: 8
    .kernarg_segment_size: 296
    .language:       OpenCL C
    .language_version:
      - 2
      - 0
    .max_flat_workgroup_size: 1024
    .name:           _ZL13mul_mat_vec_qIfLi32ELi4E10block_q5_1Li2EXadL_ZL17vec_dot_q5_1_q8_1PKvPK10block_q8_1RKiEEEvS2_S2_PT_iii
    .private_segment_fixed_size: 0
    .sgpr_count:     22
    .sgpr_spill_count: 0
    .symbol:         _ZL13mul_mat_vec_qIfLi32ELi4E10block_q5_1Li2EXadL_ZL17vec_dot_q5_1_q8_1PKvPK10block_q8_1RKiEEEvS2_S2_PT_iii.kd
    .uniform_work_group_size: 1
    .uses_dynamic_stack: false
    .vgpr_count:     34
    .vgpr_spill_count: 0
    .wavefront_size: 64
  - .agpr_count:     0
    .args:
      - .actual_access:  read_only
        .address_space:  global
        .offset:         0
        .size:           8
        .value_kind:     global_buffer
      - .actual_access:  read_only
        .address_space:  global
        .offset:         8
        .size:           8
        .value_kind:     global_buffer
      - .actual_access:  write_only
        .address_space:  global
        .offset:         16
        .size:           8
        .value_kind:     global_buffer
      - .offset:         24
        .size:           4
        .value_kind:     by_value
      - .offset:         28
        .size:           4
        .value_kind:     by_value
      - .offset:         32
        .size:           4
        .value_kind:     by_value
      - .offset:         40
        .size:           4
        .value_kind:     hidden_block_count_x
      - .offset:         44
        .size:           4
        .value_kind:     hidden_block_count_y
      - .offset:         48
        .size:           4
        .value_kind:     hidden_block_count_z
      - .offset:         52
        .size:           2
        .value_kind:     hidden_group_size_x
      - .offset:         54
        .size:           2
        .value_kind:     hidden_group_size_y
      - .offset:         56
        .size:           2
        .value_kind:     hidden_group_size_z
      - .offset:         58
        .size:           2
        .value_kind:     hidden_remainder_x
      - .offset:         60
        .size:           2
        .value_kind:     hidden_remainder_y
      - .offset:         62
        .size:           2
        .value_kind:     hidden_remainder_z
      - .offset:         80
        .size:           8
        .value_kind:     hidden_global_offset_x
      - .offset:         88
        .size:           8
        .value_kind:     hidden_global_offset_y
      - .offset:         96
        .size:           8
        .value_kind:     hidden_global_offset_z
      - .offset:         104
        .size:           2
        .value_kind:     hidden_grid_dims
    .group_segment_fixed_size: 0
    .kernarg_segment_align: 8
    .kernarg_segment_size: 296
    .language:       OpenCL C
    .language_version:
      - 2
      - 0
    .max_flat_workgroup_size: 1024
    .name:           _ZL13mul_mat_vec_qIfLi32ELi8E10block_q8_0Li2EXadL_ZL17vec_dot_q8_0_q8_1PKvPK10block_q8_1RKiEEEvS2_S2_PT_iii
    .private_segment_fixed_size: 0
    .sgpr_count:     20
    .sgpr_spill_count: 0
    .symbol:         _ZL13mul_mat_vec_qIfLi32ELi8E10block_q8_0Li2EXadL_ZL17vec_dot_q8_0_q8_1PKvPK10block_q8_1RKiEEEvS2_S2_PT_iii.kd
    .uniform_work_group_size: 1
    .uses_dynamic_stack: false
    .vgpr_count:     20
    .vgpr_spill_count: 0
    .wavefront_size: 64
  - .agpr_count:     0
    .args:
      - .actual_access:  read_only
        .address_space:  global
        .offset:         0
        .size:           8
        .value_kind:     global_buffer
      - .actual_access:  read_only
        .address_space:  global
        .offset:         8
        .size:           8
        .value_kind:     global_buffer
      - .actual_access:  write_only
        .address_space:  global
        .offset:         16
        .size:           8
        .value_kind:     global_buffer
      - .offset:         24
        .size:           4
        .value_kind:     by_value
      - .offset:         28
        .size:           4
        .value_kind:     by_value
      - .offset:         32
        .size:           4
        .value_kind:     by_value
      - .offset:         40
        .size:           4
        .value_kind:     hidden_block_count_x
      - .offset:         44
        .size:           4
        .value_kind:     hidden_block_count_y
      - .offset:         48
        .size:           4
        .value_kind:     hidden_block_count_z
      - .offset:         52
        .size:           2
        .value_kind:     hidden_group_size_x
      - .offset:         54
        .size:           2
        .value_kind:     hidden_group_size_y
      - .offset:         56
        .size:           2
        .value_kind:     hidden_group_size_z
      - .offset:         58
        .size:           2
        .value_kind:     hidden_remainder_x
      - .offset:         60
        .size:           2
        .value_kind:     hidden_remainder_y
      - .offset:         62
        .size:           2
        .value_kind:     hidden_remainder_z
      - .offset:         80
        .size:           8
        .value_kind:     hidden_global_offset_x
      - .offset:         88
        .size:           8
        .value_kind:     hidden_global_offset_y
      - .offset:         96
        .size:           8
        .value_kind:     hidden_global_offset_z
      - .offset:         104
        .size:           2
        .value_kind:     hidden_grid_dims
    .group_segment_fixed_size: 0
    .kernarg_segment_align: 8
    .kernarg_segment_size: 296
    .language:       OpenCL C
    .language_version:
      - 2
      - 0
    .max_flat_workgroup_size: 1024
    .name:           _ZL13mul_mat_vec_qIfLi256ELi16E10block_q2_KLi1EXadL_ZL17vec_dot_q2_K_q8_1PKvPK10block_q8_1RKiEEEvS2_S2_PT_iii
    .private_segment_fixed_size: 0
    .sgpr_count:     20
    .sgpr_spill_count: 0
    .symbol:         _ZL13mul_mat_vec_qIfLi256ELi16E10block_q2_KLi1EXadL_ZL17vec_dot_q2_K_q8_1PKvPK10block_q8_1RKiEEEvS2_S2_PT_iii.kd
    .uniform_work_group_size: 1
    .uses_dynamic_stack: false
    .vgpr_count:     46
    .vgpr_spill_count: 0
    .wavefront_size: 64
  - .agpr_count:     0
    .args:
      - .actual_access:  read_only
        .address_space:  global
        .offset:         0
        .size:           8
        .value_kind:     global_buffer
      - .actual_access:  read_only
        .address_space:  global
        .offset:         8
        .size:           8
        .value_kind:     global_buffer
      - .actual_access:  write_only
        .address_space:  global
        .offset:         16
        .size:           8
        .value_kind:     global_buffer
      - .offset:         24
        .size:           4
        .value_kind:     by_value
      - .offset:         28
        .size:           4
        .value_kind:     by_value
      - .offset:         32
        .size:           4
        .value_kind:     by_value
      - .offset:         40
        .size:           4
        .value_kind:     hidden_block_count_x
      - .offset:         44
        .size:           4
        .value_kind:     hidden_block_count_y
      - .offset:         48
        .size:           4
        .value_kind:     hidden_block_count_z
      - .offset:         52
        .size:           2
        .value_kind:     hidden_group_size_x
      - .offset:         54
        .size:           2
        .value_kind:     hidden_group_size_y
      - .offset:         56
        .size:           2
        .value_kind:     hidden_group_size_z
      - .offset:         58
        .size:           2
        .value_kind:     hidden_remainder_x
      - .offset:         60
        .size:           2
        .value_kind:     hidden_remainder_y
      - .offset:         62
        .size:           2
        .value_kind:     hidden_remainder_z
      - .offset:         80
        .size:           8
        .value_kind:     hidden_global_offset_x
      - .offset:         88
        .size:           8
        .value_kind:     hidden_global_offset_y
      - .offset:         96
        .size:           8
        .value_kind:     hidden_global_offset_z
      - .offset:         104
        .size:           2
        .value_kind:     hidden_grid_dims
    .group_segment_fixed_size: 0
    .kernarg_segment_align: 8
    .kernarg_segment_size: 296
    .language:       OpenCL C
    .language_version:
      - 2
      - 0
    .max_flat_workgroup_size: 1024
    .name:           _ZL13mul_mat_vec_qIfLi256ELi16E10block_q3_KLi1EXadL_ZL17vec_dot_q3_K_q8_1PKvPK10block_q8_1RKiEEEvS2_S2_PT_iii
    .private_segment_fixed_size: 0
    .sgpr_count:     20
    .sgpr_spill_count: 0
    .symbol:         _ZL13mul_mat_vec_qIfLi256ELi16E10block_q3_KLi1EXadL_ZL17vec_dot_q3_K_q8_1PKvPK10block_q8_1RKiEEEvS2_S2_PT_iii.kd
    .uniform_work_group_size: 1
    .uses_dynamic_stack: false
    .vgpr_count:     64
    .vgpr_spill_count: 0
    .wavefront_size: 64
  - .agpr_count:     0
    .args:
      - .actual_access:  read_only
        .address_space:  global
        .offset:         0
        .size:           8
        .value_kind:     global_buffer
      - .actual_access:  read_only
        .address_space:  global
        .offset:         8
        .size:           8
        .value_kind:     global_buffer
      - .actual_access:  write_only
        .address_space:  global
        .offset:         16
        .size:           8
        .value_kind:     global_buffer
      - .offset:         24
        .size:           4
        .value_kind:     by_value
      - .offset:         28
        .size:           4
        .value_kind:     by_value
      - .offset:         32
        .size:           4
        .value_kind:     by_value
      - .offset:         40
        .size:           4
        .value_kind:     hidden_block_count_x
      - .offset:         44
        .size:           4
        .value_kind:     hidden_block_count_y
      - .offset:         48
        .size:           4
        .value_kind:     hidden_block_count_z
      - .offset:         52
        .size:           2
        .value_kind:     hidden_group_size_x
      - .offset:         54
        .size:           2
        .value_kind:     hidden_group_size_y
      - .offset:         56
        .size:           2
        .value_kind:     hidden_group_size_z
      - .offset:         58
        .size:           2
        .value_kind:     hidden_remainder_x
      - .offset:         60
        .size:           2
        .value_kind:     hidden_remainder_y
      - .offset:         62
        .size:           2
        .value_kind:     hidden_remainder_z
      - .offset:         80
        .size:           8
        .value_kind:     hidden_global_offset_x
      - .offset:         88
        .size:           8
        .value_kind:     hidden_global_offset_y
      - .offset:         96
        .size:           8
        .value_kind:     hidden_global_offset_z
      - .offset:         104
        .size:           2
        .value_kind:     hidden_grid_dims
    .group_segment_fixed_size: 0
    .kernarg_segment_align: 8
    .kernarg_segment_size: 296
    .language:       OpenCL C
    .language_version:
      - 2
      - 0
    .max_flat_workgroup_size: 1024
    .name:           _ZL13mul_mat_vec_qIfLi256ELi32E10block_q4_KLi2EXadL_ZL17vec_dot_q4_K_q8_1PKvPK10block_q8_1RKiEEEvS2_S2_PT_iii
    .private_segment_fixed_size: 0
    .sgpr_count:     20
    .sgpr_spill_count: 0
    .symbol:         _ZL13mul_mat_vec_qIfLi256ELi32E10block_q4_KLi2EXadL_ZL17vec_dot_q4_K_q8_1PKvPK10block_q8_1RKiEEEvS2_S2_PT_iii.kd
    .uniform_work_group_size: 1
    .uses_dynamic_stack: false
    .vgpr_count:     36
    .vgpr_spill_count: 0
    .wavefront_size: 64
  - .agpr_count:     0
    .args:
      - .actual_access:  read_only
        .address_space:  global
        .offset:         0
        .size:           8
        .value_kind:     global_buffer
      - .actual_access:  read_only
        .address_space:  global
        .offset:         8
        .size:           8
        .value_kind:     global_buffer
      - .actual_access:  write_only
        .address_space:  global
        .offset:         16
        .size:           8
        .value_kind:     global_buffer
      - .offset:         24
        .size:           4
        .value_kind:     by_value
      - .offset:         28
        .size:           4
        .value_kind:     by_value
      - .offset:         32
        .size:           4
        .value_kind:     by_value
      - .offset:         40
        .size:           4
        .value_kind:     hidden_block_count_x
      - .offset:         44
        .size:           4
        .value_kind:     hidden_block_count_y
      - .offset:         48
        .size:           4
        .value_kind:     hidden_block_count_z
      - .offset:         52
        .size:           2
        .value_kind:     hidden_group_size_x
      - .offset:         54
        .size:           2
        .value_kind:     hidden_group_size_y
      - .offset:         56
        .size:           2
        .value_kind:     hidden_group_size_z
      - .offset:         58
        .size:           2
        .value_kind:     hidden_remainder_x
      - .offset:         60
        .size:           2
        .value_kind:     hidden_remainder_y
      - .offset:         62
        .size:           2
        .value_kind:     hidden_remainder_z
      - .offset:         80
        .size:           8
        .value_kind:     hidden_global_offset_x
      - .offset:         88
        .size:           8
        .value_kind:     hidden_global_offset_y
      - .offset:         96
        .size:           8
        .value_kind:     hidden_global_offset_z
      - .offset:         104
        .size:           2
        .value_kind:     hidden_grid_dims
    .group_segment_fixed_size: 0
    .kernarg_segment_align: 8
    .kernarg_segment_size: 296
    .language:       OpenCL C
    .language_version:
      - 2
      - 0
    .max_flat_workgroup_size: 1024
    .name:           _ZL13mul_mat_vec_qIfLi256ELi32E10block_q5_KLi2EXadL_ZL17vec_dot_q5_K_q8_1PKvPK10block_q8_1RKiEEEvS2_S2_PT_iii
    .private_segment_fixed_size: 0
    .sgpr_count:     20
    .sgpr_spill_count: 0
    .symbol:         _ZL13mul_mat_vec_qIfLi256ELi32E10block_q5_KLi2EXadL_ZL17vec_dot_q5_K_q8_1PKvPK10block_q8_1RKiEEEvS2_S2_PT_iii.kd
    .uniform_work_group_size: 1
    .uses_dynamic_stack: false
    .vgpr_count:     38
    .vgpr_spill_count: 0
    .wavefront_size: 64
  - .agpr_count:     0
    .args:
      - .actual_access:  read_only
        .address_space:  global
        .offset:         0
        .size:           8
        .value_kind:     global_buffer
      - .actual_access:  read_only
        .address_space:  global
        .offset:         8
        .size:           8
        .value_kind:     global_buffer
      - .actual_access:  write_only
        .address_space:  global
        .offset:         16
        .size:           8
        .value_kind:     global_buffer
      - .offset:         24
        .size:           4
        .value_kind:     by_value
      - .offset:         28
        .size:           4
        .value_kind:     by_value
      - .offset:         32
        .size:           4
        .value_kind:     by_value
      - .offset:         40
        .size:           4
        .value_kind:     hidden_block_count_x
      - .offset:         44
        .size:           4
        .value_kind:     hidden_block_count_y
      - .offset:         48
        .size:           4
        .value_kind:     hidden_block_count_z
      - .offset:         52
        .size:           2
        .value_kind:     hidden_group_size_x
      - .offset:         54
        .size:           2
        .value_kind:     hidden_group_size_y
      - .offset:         56
        .size:           2
        .value_kind:     hidden_group_size_z
      - .offset:         58
        .size:           2
        .value_kind:     hidden_remainder_x
      - .offset:         60
        .size:           2
        .value_kind:     hidden_remainder_y
      - .offset:         62
        .size:           2
        .value_kind:     hidden_remainder_z
      - .offset:         80
        .size:           8
        .value_kind:     hidden_global_offset_x
      - .offset:         88
        .size:           8
        .value_kind:     hidden_global_offset_y
      - .offset:         96
        .size:           8
        .value_kind:     hidden_global_offset_z
      - .offset:         104
        .size:           2
        .value_kind:     hidden_grid_dims
    .group_segment_fixed_size: 0
    .kernarg_segment_align: 8
    .kernarg_segment_size: 296
    .language:       OpenCL C
    .language_version:
      - 2
      - 0
    .max_flat_workgroup_size: 1024
    .name:           _ZL13mul_mat_vec_qIfLi256ELi32E10block_q6_KLi1EXadL_ZL17vec_dot_q6_K_q8_1PKvPK10block_q8_1RKiEEEvS2_S2_PT_iii
    .private_segment_fixed_size: 0
    .sgpr_count:     20
    .sgpr_spill_count: 0
    .symbol:         _ZL13mul_mat_vec_qIfLi256ELi32E10block_q6_KLi1EXadL_ZL17vec_dot_q6_K_q8_1PKvPK10block_q8_1RKiEEEvS2_S2_PT_iii.kd
    .uniform_work_group_size: 1
    .uses_dynamic_stack: false
    .vgpr_count:     33
    .vgpr_spill_count: 0
    .wavefront_size: 64
  - .agpr_count:     0
    .args:
      - .actual_access:  read_only
        .address_space:  global
        .offset:         0
        .size:           8
        .value_kind:     global_buffer
      - .actual_access:  read_only
        .address_space:  global
        .offset:         8
        .size:           8
        .value_kind:     global_buffer
      - .actual_access:  write_only
        .address_space:  global
        .offset:         16
        .size:           8
        .value_kind:     global_buffer
      - .offset:         24
        .size:           4
        .value_kind:     by_value
      - .offset:         28
        .size:           4
        .value_kind:     by_value
      - .offset:         32
        .size:           4
        .value_kind:     by_value
      - .offset:         40
        .size:           4
        .value_kind:     hidden_block_count_x
      - .offset:         44
        .size:           4
        .value_kind:     hidden_block_count_y
      - .offset:         48
        .size:           4
        .value_kind:     hidden_block_count_z
      - .offset:         52
        .size:           2
        .value_kind:     hidden_group_size_x
      - .offset:         54
        .size:           2
        .value_kind:     hidden_group_size_y
      - .offset:         56
        .size:           2
        .value_kind:     hidden_group_size_z
      - .offset:         58
        .size:           2
        .value_kind:     hidden_remainder_x
      - .offset:         60
        .size:           2
        .value_kind:     hidden_remainder_y
      - .offset:         62
        .size:           2
        .value_kind:     hidden_remainder_z
      - .offset:         80
        .size:           8
        .value_kind:     hidden_global_offset_x
      - .offset:         88
        .size:           8
        .value_kind:     hidden_global_offset_y
      - .offset:         96
        .size:           8
        .value_kind:     hidden_global_offset_z
      - .offset:         104
        .size:           2
        .value_kind:     hidden_grid_dims
    .group_segment_fixed_size: 0
    .kernarg_segment_align: 8
    .kernarg_segment_size: 296
    .language:       OpenCL C
    .language_version:
      - 2
      - 0
    .max_flat_workgroup_size: 1024
    .name:           _ZL13mul_mat_vec_qIfLi256ELi8E13block_iq2_xxsLi1EXadL_ZL20vec_dot_iq2_xxs_q8_1PKvPK10block_q8_1RKiEEEvS2_S2_PT_iii
    .private_segment_fixed_size: 0
    .sgpr_count:     20
    .sgpr_spill_count: 0
    .symbol:         _ZL13mul_mat_vec_qIfLi256ELi8E13block_iq2_xxsLi1EXadL_ZL20vec_dot_iq2_xxs_q8_1PKvPK10block_q8_1RKiEEEvS2_S2_PT_iii.kd
    .uniform_work_group_size: 1
    .uses_dynamic_stack: false
    .vgpr_count:     30
    .vgpr_spill_count: 0
    .wavefront_size: 64
  - .agpr_count:     0
    .args:
      - .actual_access:  read_only
        .address_space:  global
        .offset:         0
        .size:           8
        .value_kind:     global_buffer
      - .actual_access:  read_only
        .address_space:  global
        .offset:         8
        .size:           8
        .value_kind:     global_buffer
      - .actual_access:  write_only
        .address_space:  global
        .offset:         16
        .size:           8
        .value_kind:     global_buffer
      - .offset:         24
        .size:           4
        .value_kind:     by_value
      - .offset:         28
        .size:           4
        .value_kind:     by_value
      - .offset:         32
        .size:           4
        .value_kind:     by_value
      - .offset:         40
        .size:           4
        .value_kind:     hidden_block_count_x
      - .offset:         44
        .size:           4
        .value_kind:     hidden_block_count_y
      - .offset:         48
        .size:           4
        .value_kind:     hidden_block_count_z
      - .offset:         52
        .size:           2
        .value_kind:     hidden_group_size_x
      - .offset:         54
        .size:           2
        .value_kind:     hidden_group_size_y
      - .offset:         56
        .size:           2
        .value_kind:     hidden_group_size_z
      - .offset:         58
        .size:           2
        .value_kind:     hidden_remainder_x
      - .offset:         60
        .size:           2
        .value_kind:     hidden_remainder_y
      - .offset:         62
        .size:           2
        .value_kind:     hidden_remainder_z
      - .offset:         80
        .size:           8
        .value_kind:     hidden_global_offset_x
      - .offset:         88
        .size:           8
        .value_kind:     hidden_global_offset_y
      - .offset:         96
        .size:           8
        .value_kind:     hidden_global_offset_z
      - .offset:         104
        .size:           2
        .value_kind:     hidden_grid_dims
    .group_segment_fixed_size: 0
    .kernarg_segment_align: 8
    .kernarg_segment_size: 296
    .language:       OpenCL C
    .language_version:
      - 2
      - 0
    .max_flat_workgroup_size: 1024
    .name:           _ZL13mul_mat_vec_qIfLi256ELi8E12block_iq2_xsLi1EXadL_ZL19vec_dot_iq2_xs_q8_1PKvPK10block_q8_1RKiEEEvS2_S2_PT_iii
    .private_segment_fixed_size: 0
    .sgpr_count:     20
    .sgpr_spill_count: 0
    .symbol:         _ZL13mul_mat_vec_qIfLi256ELi8E12block_iq2_xsLi1EXadL_ZL19vec_dot_iq2_xs_q8_1PKvPK10block_q8_1RKiEEEvS2_S2_PT_iii.kd
    .uniform_work_group_size: 1
    .uses_dynamic_stack: false
    .vgpr_count:     38
    .vgpr_spill_count: 0
    .wavefront_size: 64
  - .agpr_count:     0
    .args:
      - .actual_access:  read_only
        .address_space:  global
        .offset:         0
        .size:           8
        .value_kind:     global_buffer
      - .actual_access:  read_only
        .address_space:  global
        .offset:         8
        .size:           8
        .value_kind:     global_buffer
      - .actual_access:  write_only
        .address_space:  global
        .offset:         16
        .size:           8
        .value_kind:     global_buffer
      - .offset:         24
        .size:           4
        .value_kind:     by_value
      - .offset:         28
        .size:           4
        .value_kind:     by_value
      - .offset:         32
        .size:           4
        .value_kind:     by_value
      - .offset:         40
        .size:           4
        .value_kind:     hidden_block_count_x
      - .offset:         44
        .size:           4
        .value_kind:     hidden_block_count_y
      - .offset:         48
        .size:           4
        .value_kind:     hidden_block_count_z
      - .offset:         52
        .size:           2
        .value_kind:     hidden_group_size_x
      - .offset:         54
        .size:           2
        .value_kind:     hidden_group_size_y
      - .offset:         56
        .size:           2
        .value_kind:     hidden_group_size_z
      - .offset:         58
        .size:           2
        .value_kind:     hidden_remainder_x
      - .offset:         60
        .size:           2
        .value_kind:     hidden_remainder_y
      - .offset:         62
        .size:           2
        .value_kind:     hidden_remainder_z
      - .offset:         80
        .size:           8
        .value_kind:     hidden_global_offset_x
      - .offset:         88
        .size:           8
        .value_kind:     hidden_global_offset_y
      - .offset:         96
        .size:           8
        .value_kind:     hidden_global_offset_z
      - .offset:         104
        .size:           2
        .value_kind:     hidden_grid_dims
    .group_segment_fixed_size: 0
    .kernarg_segment_align: 8
    .kernarg_segment_size: 296
    .language:       OpenCL C
    .language_version:
      - 2
      - 0
    .max_flat_workgroup_size: 1024
    .name:           _ZL13mul_mat_vec_qIfLi256ELi8E13block_iq3_xxsLi1EXadL_ZL20vec_dot_iq3_xxs_q8_1PKvPK10block_q8_1RKiEEEvS2_S2_PT_iii
    .private_segment_fixed_size: 0
    .sgpr_count:     22
    .sgpr_spill_count: 0
    .symbol:         _ZL13mul_mat_vec_qIfLi256ELi8E13block_iq3_xxsLi1EXadL_ZL20vec_dot_iq3_xxs_q8_1PKvPK10block_q8_1RKiEEEvS2_S2_PT_iii.kd
    .uniform_work_group_size: 1
    .uses_dynamic_stack: false
    .vgpr_count:     59
    .vgpr_spill_count: 0
    .wavefront_size: 64
  - .agpr_count:     0
    .args:
      - .actual_access:  read_only
        .address_space:  global
        .offset:         0
        .size:           8
        .value_kind:     global_buffer
      - .actual_access:  read_only
        .address_space:  global
        .offset:         8
        .size:           8
        .value_kind:     global_buffer
      - .actual_access:  write_only
        .address_space:  global
        .offset:         16
        .size:           8
        .value_kind:     global_buffer
      - .offset:         24
        .size:           4
        .value_kind:     by_value
      - .offset:         28
        .size:           4
        .value_kind:     by_value
      - .offset:         32
        .size:           4
        .value_kind:     by_value
      - .offset:         40
        .size:           4
        .value_kind:     hidden_block_count_x
      - .offset:         44
        .size:           4
        .value_kind:     hidden_block_count_y
      - .offset:         48
        .size:           4
        .value_kind:     hidden_block_count_z
      - .offset:         52
        .size:           2
        .value_kind:     hidden_group_size_x
      - .offset:         54
        .size:           2
        .value_kind:     hidden_group_size_y
      - .offset:         56
        .size:           2
        .value_kind:     hidden_group_size_z
      - .offset:         58
        .size:           2
        .value_kind:     hidden_remainder_x
      - .offset:         60
        .size:           2
        .value_kind:     hidden_remainder_y
      - .offset:         62
        .size:           2
        .value_kind:     hidden_remainder_z
      - .offset:         80
        .size:           8
        .value_kind:     hidden_global_offset_x
      - .offset:         88
        .size:           8
        .value_kind:     hidden_global_offset_y
      - .offset:         96
        .size:           8
        .value_kind:     hidden_global_offset_z
      - .offset:         104
        .size:           2
        .value_kind:     hidden_grid_dims
    .group_segment_fixed_size: 0
    .kernarg_segment_align: 8
    .kernarg_segment_size: 296
    .language:       OpenCL C
    .language_version:
      - 2
      - 0
    .max_flat_workgroup_size: 1024
    .name:           _ZL13mul_mat_vec_qIfLi256ELi8E11block_iq1_sLi1EXadL_ZL18vec_dot_iq1_s_q8_1PKvPK10block_q8_1RKiEEEvS2_S2_PT_iii
    .private_segment_fixed_size: 0
    .sgpr_count:     22
    .sgpr_spill_count: 0
    .symbol:         _ZL13mul_mat_vec_qIfLi256ELi8E11block_iq1_sLi1EXadL_ZL18vec_dot_iq1_s_q8_1PKvPK10block_q8_1RKiEEEvS2_S2_PT_iii.kd
    .uniform_work_group_size: 1
    .uses_dynamic_stack: false
    .vgpr_count:     32
    .vgpr_spill_count: 0
    .wavefront_size: 64
  - .agpr_count:     0
    .args:
      - .actual_access:  read_only
        .address_space:  global
        .offset:         0
        .size:           8
        .value_kind:     global_buffer
      - .actual_access:  read_only
        .address_space:  global
        .offset:         8
        .size:           8
        .value_kind:     global_buffer
      - .actual_access:  write_only
        .address_space:  global
        .offset:         16
        .size:           8
        .value_kind:     global_buffer
      - .offset:         24
        .size:           4
        .value_kind:     by_value
      - .offset:         28
        .size:           4
        .value_kind:     by_value
      - .offset:         32
        .size:           4
        .value_kind:     by_value
      - .offset:         40
        .size:           4
        .value_kind:     hidden_block_count_x
      - .offset:         44
        .size:           4
        .value_kind:     hidden_block_count_y
      - .offset:         48
        .size:           4
        .value_kind:     hidden_block_count_z
      - .offset:         52
        .size:           2
        .value_kind:     hidden_group_size_x
      - .offset:         54
        .size:           2
        .value_kind:     hidden_group_size_y
      - .offset:         56
        .size:           2
        .value_kind:     hidden_group_size_z
      - .offset:         58
        .size:           2
        .value_kind:     hidden_remainder_x
      - .offset:         60
        .size:           2
        .value_kind:     hidden_remainder_y
      - .offset:         62
        .size:           2
        .value_kind:     hidden_remainder_z
      - .offset:         80
        .size:           8
        .value_kind:     hidden_global_offset_x
      - .offset:         88
        .size:           8
        .value_kind:     hidden_global_offset_y
      - .offset:         96
        .size:           8
        .value_kind:     hidden_global_offset_z
      - .offset:         104
        .size:           2
        .value_kind:     hidden_grid_dims
    .group_segment_fixed_size: 0
    .kernarg_segment_align: 8
    .kernarg_segment_size: 296
    .language:       OpenCL C
    .language_version:
      - 2
      - 0
    .max_flat_workgroup_size: 1024
    .name:           _ZL13mul_mat_vec_qIfLi32ELi4E12block_iq4_nlLi2EXadL_ZL19vec_dot_iq4_nl_q8_1PKvPK10block_q8_1RKiEEEvS2_S2_PT_iii
    .private_segment_fixed_size: 0
    .sgpr_count:     22
    .sgpr_spill_count: 0
    .symbol:         _ZL13mul_mat_vec_qIfLi32ELi4E12block_iq4_nlLi2EXadL_ZL19vec_dot_iq4_nl_q8_1PKvPK10block_q8_1RKiEEEvS2_S2_PT_iii.kd
    .uniform_work_group_size: 1
    .uses_dynamic_stack: false
    .vgpr_count:     45
    .vgpr_spill_count: 0
    .wavefront_size: 64
  - .agpr_count:     0
    .args:
      - .actual_access:  read_only
        .address_space:  global
        .offset:         0
        .size:           8
        .value_kind:     global_buffer
      - .actual_access:  read_only
        .address_space:  global
        .offset:         8
        .size:           8
        .value_kind:     global_buffer
      - .actual_access:  write_only
        .address_space:  global
        .offset:         16
        .size:           8
        .value_kind:     global_buffer
      - .offset:         24
        .size:           4
        .value_kind:     by_value
      - .offset:         28
        .size:           4
        .value_kind:     by_value
      - .offset:         32
        .size:           4
        .value_kind:     by_value
      - .offset:         40
        .size:           4
        .value_kind:     hidden_block_count_x
      - .offset:         44
        .size:           4
        .value_kind:     hidden_block_count_y
      - .offset:         48
        .size:           4
        .value_kind:     hidden_block_count_z
      - .offset:         52
        .size:           2
        .value_kind:     hidden_group_size_x
      - .offset:         54
        .size:           2
        .value_kind:     hidden_group_size_y
      - .offset:         56
        .size:           2
        .value_kind:     hidden_group_size_z
      - .offset:         58
        .size:           2
        .value_kind:     hidden_remainder_x
      - .offset:         60
        .size:           2
        .value_kind:     hidden_remainder_y
      - .offset:         62
        .size:           2
        .value_kind:     hidden_remainder_z
      - .offset:         80
        .size:           8
        .value_kind:     hidden_global_offset_x
      - .offset:         88
        .size:           8
        .value_kind:     hidden_global_offset_y
      - .offset:         96
        .size:           8
        .value_kind:     hidden_global_offset_z
      - .offset:         104
        .size:           2
        .value_kind:     hidden_grid_dims
    .group_segment_fixed_size: 0
    .kernarg_segment_align: 8
    .kernarg_segment_size: 296
    .language:       OpenCL C
    .language_version:
      - 2
      - 0
    .max_flat_workgroup_size: 1024
    .name:           _ZL13mul_mat_vec_qIfLi256ELi8E11block_iq3_sLi1EXadL_ZL18vec_dot_iq3_s_q8_1PKvPK10block_q8_1RKiEEEvS2_S2_PT_iii
    .private_segment_fixed_size: 0
    .sgpr_count:     23
    .sgpr_spill_count: 0
    .symbol:         _ZL13mul_mat_vec_qIfLi256ELi8E11block_iq3_sLi1EXadL_ZL18vec_dot_iq3_s_q8_1PKvPK10block_q8_1RKiEEEvS2_S2_PT_iii.kd
    .uniform_work_group_size: 1
    .uses_dynamic_stack: false
    .vgpr_count:     46
    .vgpr_spill_count: 0
    .wavefront_size: 64
  - .agpr_count:     0
    .args:
      - .actual_access:  read_only
        .address_space:  global
        .offset:         0
        .size:           8
        .value_kind:     global_buffer
      - .actual_access:  read_only
        .address_space:  global
        .offset:         8
        .size:           8
        .value_kind:     global_buffer
      - .actual_access:  write_only
        .address_space:  global
        .offset:         16
        .size:           8
        .value_kind:     global_buffer
      - .offset:         24
        .size:           4
        .value_kind:     by_value
      - .offset:         28
        .size:           4
        .value_kind:     by_value
      - .offset:         32
        .size:           4
        .value_kind:     by_value
      - .offset:         40
        .size:           4
        .value_kind:     hidden_block_count_x
      - .offset:         44
        .size:           4
        .value_kind:     hidden_block_count_y
      - .offset:         48
        .size:           4
        .value_kind:     hidden_block_count_z
      - .offset:         52
        .size:           2
        .value_kind:     hidden_group_size_x
      - .offset:         54
        .size:           2
        .value_kind:     hidden_group_size_y
      - .offset:         56
        .size:           2
        .value_kind:     hidden_group_size_z
      - .offset:         58
        .size:           2
        .value_kind:     hidden_remainder_x
      - .offset:         60
        .size:           2
        .value_kind:     hidden_remainder_y
      - .offset:         62
        .size:           2
        .value_kind:     hidden_remainder_z
      - .offset:         80
        .size:           8
        .value_kind:     hidden_global_offset_x
      - .offset:         88
        .size:           8
        .value_kind:     hidden_global_offset_y
      - .offset:         96
        .size:           8
        .value_kind:     hidden_global_offset_z
      - .offset:         104
        .size:           2
        .value_kind:     hidden_grid_dims
    .group_segment_fixed_size: 0
    .kernarg_segment_align: 8
    .kernarg_segment_size: 296
    .language:       OpenCL C
    .language_version:
      - 2
      - 0
    .max_flat_workgroup_size: 1024
    .name:           _ZL13mul_mat_vec_qIfLi256ELi8E11block_iq2_sLi1EXadL_ZL18vec_dot_iq2_s_q8_1PKvPK10block_q8_1RKiEEEvS2_S2_PT_iii
    .private_segment_fixed_size: 0
    .sgpr_count:     22
    .sgpr_spill_count: 0
    .symbol:         _ZL13mul_mat_vec_qIfLi256ELi8E11block_iq2_sLi1EXadL_ZL18vec_dot_iq2_s_q8_1PKvPK10block_q8_1RKiEEEvS2_S2_PT_iii.kd
    .uniform_work_group_size: 1
    .uses_dynamic_stack: false
    .vgpr_count:     63
    .vgpr_spill_count: 0
    .wavefront_size: 64
  - .agpr_count:     0
    .args:
      - .actual_access:  read_only
        .address_space:  global
        .offset:         0
        .size:           8
        .value_kind:     global_buffer
      - .actual_access:  read_only
        .address_space:  global
        .offset:         8
        .size:           8
        .value_kind:     global_buffer
      - .actual_access:  write_only
        .address_space:  global
        .offset:         16
        .size:           8
        .value_kind:     global_buffer
      - .offset:         24
        .size:           4
        .value_kind:     by_value
      - .offset:         28
        .size:           4
        .value_kind:     by_value
      - .offset:         32
        .size:           4
        .value_kind:     by_value
      - .offset:         40
        .size:           4
        .value_kind:     hidden_block_count_x
      - .offset:         44
        .size:           4
        .value_kind:     hidden_block_count_y
      - .offset:         48
        .size:           4
        .value_kind:     hidden_block_count_z
      - .offset:         52
        .size:           2
        .value_kind:     hidden_group_size_x
      - .offset:         54
        .size:           2
        .value_kind:     hidden_group_size_y
      - .offset:         56
        .size:           2
        .value_kind:     hidden_group_size_z
      - .offset:         58
        .size:           2
        .value_kind:     hidden_remainder_x
      - .offset:         60
        .size:           2
        .value_kind:     hidden_remainder_y
      - .offset:         62
        .size:           2
        .value_kind:     hidden_remainder_z
      - .offset:         80
        .size:           8
        .value_kind:     hidden_global_offset_x
      - .offset:         88
        .size:           8
        .value_kind:     hidden_global_offset_y
      - .offset:         96
        .size:           8
        .value_kind:     hidden_global_offset_z
      - .offset:         104
        .size:           2
        .value_kind:     hidden_grid_dims
    .group_segment_fixed_size: 0
    .kernarg_segment_align: 8
    .kernarg_segment_size: 296
    .language:       OpenCL C
    .language_version:
      - 2
      - 0
    .max_flat_workgroup_size: 1024
    .name:           _ZL13mul_mat_vec_qIfLi256ELi8E12block_iq4_xsLi1EXadL_ZL19vec_dot_iq4_xs_q8_1PKvPK10block_q8_1RKiEEEvS2_S2_PT_iii
    .private_segment_fixed_size: 0
    .sgpr_count:     20
    .sgpr_spill_count: 0
    .symbol:         _ZL13mul_mat_vec_qIfLi256ELi8E12block_iq4_xsLi1EXadL_ZL19vec_dot_iq4_xs_q8_1PKvPK10block_q8_1RKiEEEvS2_S2_PT_iii.kd
    .uniform_work_group_size: 1
    .uses_dynamic_stack: false
    .vgpr_count:     64
    .vgpr_spill_count: 0
    .wavefront_size: 64
  - .agpr_count:     0
    .args:
      - .actual_access:  read_only
        .address_space:  global
        .offset:         0
        .size:           8
        .value_kind:     global_buffer
      - .actual_access:  read_only
        .address_space:  global
        .offset:         8
        .size:           8
        .value_kind:     global_buffer
      - .actual_access:  write_only
        .address_space:  global
        .offset:         16
        .size:           8
        .value_kind:     global_buffer
      - .offset:         24
        .size:           4
        .value_kind:     by_value
      - .offset:         28
        .size:           4
        .value_kind:     by_value
      - .offset:         32
        .size:           4
        .value_kind:     by_value
      - .offset:         40
        .size:           4
        .value_kind:     hidden_block_count_x
      - .offset:         44
        .size:           4
        .value_kind:     hidden_block_count_y
      - .offset:         48
        .size:           4
        .value_kind:     hidden_block_count_z
      - .offset:         52
        .size:           2
        .value_kind:     hidden_group_size_x
      - .offset:         54
        .size:           2
        .value_kind:     hidden_group_size_y
      - .offset:         56
        .size:           2
        .value_kind:     hidden_group_size_z
      - .offset:         58
        .size:           2
        .value_kind:     hidden_remainder_x
      - .offset:         60
        .size:           2
        .value_kind:     hidden_remainder_y
      - .offset:         62
        .size:           2
        .value_kind:     hidden_remainder_z
      - .offset:         80
        .size:           8
        .value_kind:     hidden_global_offset_x
      - .offset:         88
        .size:           8
        .value_kind:     hidden_global_offset_y
      - .offset:         96
        .size:           8
        .value_kind:     hidden_global_offset_z
      - .offset:         104
        .size:           2
        .value_kind:     hidden_grid_dims
    .group_segment_fixed_size: 0
    .kernarg_segment_align: 8
    .kernarg_segment_size: 296
    .language:       OpenCL C
    .language_version:
      - 2
      - 0
    .max_flat_workgroup_size: 1024
    .name:           _ZL13mul_mat_vec_qIfLi256ELi8E11block_iq1_mLi1EXadL_ZL18vec_dot_iq1_m_q8_1PKvPK10block_q8_1RKiEEEvS2_S2_PT_iii
    .private_segment_fixed_size: 0
    .sgpr_count:     26
    .sgpr_spill_count: 0
    .symbol:         _ZL13mul_mat_vec_qIfLi256ELi8E11block_iq1_mLi1EXadL_ZL18vec_dot_iq1_m_q8_1PKvPK10block_q8_1RKiEEEvS2_S2_PT_iii.kd
    .uniform_work_group_size: 1
    .uses_dynamic_stack: false
    .vgpr_count:     44
    .vgpr_spill_count: 0
    .wavefront_size: 64
  - .agpr_count:     0
    .args:
      - .actual_access:  read_only
        .address_space:  global
        .offset:         0
        .size:           8
        .value_kind:     global_buffer
      - .actual_access:  write_only
        .address_space:  global
        .offset:         8
        .size:           8
        .value_kind:     global_buffer
      - .offset:         16
        .size:           4
        .value_kind:     by_value
      - .offset:         20
        .size:           4
        .value_kind:     by_value
      - .offset:         24
        .size:           4
        .value_kind:     hidden_block_count_x
      - .offset:         28
        .size:           4
        .value_kind:     hidden_block_count_y
      - .offset:         32
        .size:           4
        .value_kind:     hidden_block_count_z
      - .offset:         36
        .size:           2
        .value_kind:     hidden_group_size_x
      - .offset:         38
        .size:           2
        .value_kind:     hidden_group_size_y
      - .offset:         40
        .size:           2
        .value_kind:     hidden_group_size_z
      - .offset:         42
        .size:           2
        .value_kind:     hidden_remainder_x
      - .offset:         44
        .size:           2
        .value_kind:     hidden_remainder_y
      - .offset:         46
        .size:           2
        .value_kind:     hidden_remainder_z
      - .offset:         64
        .size:           8
        .value_kind:     hidden_global_offset_x
      - .offset:         72
        .size:           8
        .value_kind:     hidden_global_offset_y
      - .offset:         80
        .size:           8
        .value_kind:     hidden_global_offset_z
      - .offset:         88
        .size:           2
        .value_kind:     hidden_grid_dims
    .group_segment_fixed_size: 0
    .kernarg_segment_align: 8
    .kernarg_segment_size: 280
    .language:       OpenCL C
    .language_version:
      - 2
      - 0
    .max_flat_workgroup_size: 1024
    .name:           _ZL13quantize_q8_1IN3c104HalfEEvPKT_Pvii
    .private_segment_fixed_size: 0
    .sgpr_count:     14
    .sgpr_spill_count: 0
    .symbol:         _ZL13quantize_q8_1IN3c104HalfEEvPKT_Pvii.kd
    .uniform_work_group_size: 1
    .uses_dynamic_stack: false
    .vgpr_count:     12
    .vgpr_spill_count: 0
    .wavefront_size: 64
  - .agpr_count:     0
    .args:
      - .actual_access:  read_only
        .address_space:  global
        .offset:         0
        .size:           8
        .value_kind:     global_buffer
      - .actual_access:  read_only
        .address_space:  global
        .offset:         8
        .size:           8
        .value_kind:     global_buffer
      - .actual_access:  write_only
        .address_space:  global
        .offset:         16
        .size:           8
        .value_kind:     global_buffer
      - .offset:         24
        .size:           4
        .value_kind:     by_value
      - .offset:         28
        .size:           4
        .value_kind:     by_value
      - .offset:         32
        .size:           4
        .value_kind:     by_value
      - .offset:         40
        .size:           4
        .value_kind:     hidden_block_count_x
      - .offset:         44
        .size:           4
        .value_kind:     hidden_block_count_y
      - .offset:         48
        .size:           4
        .value_kind:     hidden_block_count_z
      - .offset:         52
        .size:           2
        .value_kind:     hidden_group_size_x
      - .offset:         54
        .size:           2
        .value_kind:     hidden_group_size_y
      - .offset:         56
        .size:           2
        .value_kind:     hidden_group_size_z
      - .offset:         58
        .size:           2
        .value_kind:     hidden_remainder_x
      - .offset:         60
        .size:           2
        .value_kind:     hidden_remainder_y
      - .offset:         62
        .size:           2
        .value_kind:     hidden_remainder_z
      - .offset:         80
        .size:           8
        .value_kind:     hidden_global_offset_x
      - .offset:         88
        .size:           8
        .value_kind:     hidden_global_offset_y
      - .offset:         96
        .size:           8
        .value_kind:     hidden_global_offset_z
      - .offset:         104
        .size:           2
        .value_kind:     hidden_grid_dims
    .group_segment_fixed_size: 0
    .kernarg_segment_align: 8
    .kernarg_segment_size: 296
    .language:       OpenCL C
    .language_version:
      - 2
      - 0
    .max_flat_workgroup_size: 1024
    .name:           _ZL13mul_mat_vec_qIN3c104HalfELi32ELi4E10block_q4_0Li2EXadL_ZL17vec_dot_q4_0_q8_1PKvPK10block_q8_1RKiEEEvS4_S4_PT_iii
    .private_segment_fixed_size: 0
    .sgpr_count:     20
    .sgpr_spill_count: 0
    .symbol:         _ZL13mul_mat_vec_qIN3c104HalfELi32ELi4E10block_q4_0Li2EXadL_ZL17vec_dot_q4_0_q8_1PKvPK10block_q8_1RKiEEEvS4_S4_PT_iii.kd
    .uniform_work_group_size: 1
    .uses_dynamic_stack: false
    .vgpr_count:     23
    .vgpr_spill_count: 0
    .wavefront_size: 64
  - .agpr_count:     0
    .args:
      - .actual_access:  read_only
        .address_space:  global
        .offset:         0
        .size:           8
        .value_kind:     global_buffer
      - .actual_access:  read_only
        .address_space:  global
        .offset:         8
        .size:           8
        .value_kind:     global_buffer
      - .actual_access:  write_only
        .address_space:  global
        .offset:         16
        .size:           8
        .value_kind:     global_buffer
      - .offset:         24
        .size:           4
        .value_kind:     by_value
      - .offset:         28
        .size:           4
        .value_kind:     by_value
      - .offset:         32
        .size:           4
        .value_kind:     by_value
      - .offset:         40
        .size:           4
        .value_kind:     hidden_block_count_x
      - .offset:         44
        .size:           4
        .value_kind:     hidden_block_count_y
      - .offset:         48
        .size:           4
        .value_kind:     hidden_block_count_z
      - .offset:         52
        .size:           2
        .value_kind:     hidden_group_size_x
      - .offset:         54
        .size:           2
        .value_kind:     hidden_group_size_y
      - .offset:         56
        .size:           2
        .value_kind:     hidden_group_size_z
      - .offset:         58
        .size:           2
        .value_kind:     hidden_remainder_x
      - .offset:         60
        .size:           2
        .value_kind:     hidden_remainder_y
      - .offset:         62
        .size:           2
        .value_kind:     hidden_remainder_z
      - .offset:         80
        .size:           8
        .value_kind:     hidden_global_offset_x
      - .offset:         88
        .size:           8
        .value_kind:     hidden_global_offset_y
      - .offset:         96
        .size:           8
        .value_kind:     hidden_global_offset_z
      - .offset:         104
        .size:           2
        .value_kind:     hidden_grid_dims
    .group_segment_fixed_size: 0
    .kernarg_segment_align: 8
    .kernarg_segment_size: 296
    .language:       OpenCL C
    .language_version:
      - 2
      - 0
    .max_flat_workgroup_size: 1024
    .name:           _ZL13mul_mat_vec_qIN3c104HalfELi32ELi4E10block_q4_1Li2EXadL_ZL17vec_dot_q4_1_q8_1PKvPK10block_q8_1RKiEEEvS4_S4_PT_iii
    .private_segment_fixed_size: 0
    .sgpr_count:     22
    .sgpr_spill_count: 0
    .symbol:         _ZL13mul_mat_vec_qIN3c104HalfELi32ELi4E10block_q4_1Li2EXadL_ZL17vec_dot_q4_1_q8_1PKvPK10block_q8_1RKiEEEvS4_S4_PT_iii.kd
    .uniform_work_group_size: 1
    .uses_dynamic_stack: false
    .vgpr_count:     22
    .vgpr_spill_count: 0
    .wavefront_size: 64
  - .agpr_count:     0
    .args:
      - .actual_access:  read_only
        .address_space:  global
        .offset:         0
        .size:           8
        .value_kind:     global_buffer
      - .actual_access:  read_only
        .address_space:  global
        .offset:         8
        .size:           8
        .value_kind:     global_buffer
      - .actual_access:  write_only
        .address_space:  global
        .offset:         16
        .size:           8
        .value_kind:     global_buffer
      - .offset:         24
        .size:           4
        .value_kind:     by_value
      - .offset:         28
        .size:           4
        .value_kind:     by_value
      - .offset:         32
        .size:           4
        .value_kind:     by_value
      - .offset:         40
        .size:           4
        .value_kind:     hidden_block_count_x
      - .offset:         44
        .size:           4
        .value_kind:     hidden_block_count_y
      - .offset:         48
        .size:           4
        .value_kind:     hidden_block_count_z
      - .offset:         52
        .size:           2
        .value_kind:     hidden_group_size_x
      - .offset:         54
        .size:           2
        .value_kind:     hidden_group_size_y
      - .offset:         56
        .size:           2
        .value_kind:     hidden_group_size_z
      - .offset:         58
        .size:           2
        .value_kind:     hidden_remainder_x
      - .offset:         60
        .size:           2
        .value_kind:     hidden_remainder_y
      - .offset:         62
        .size:           2
        .value_kind:     hidden_remainder_z
      - .offset:         80
        .size:           8
        .value_kind:     hidden_global_offset_x
      - .offset:         88
        .size:           8
        .value_kind:     hidden_global_offset_y
      - .offset:         96
        .size:           8
        .value_kind:     hidden_global_offset_z
      - .offset:         104
        .size:           2
        .value_kind:     hidden_grid_dims
    .group_segment_fixed_size: 0
    .kernarg_segment_align: 8
    .kernarg_segment_size: 296
    .language:       OpenCL C
    .language_version:
      - 2
      - 0
    .max_flat_workgroup_size: 1024
    .name:           _ZL13mul_mat_vec_qIN3c104HalfELi32ELi4E10block_q5_0Li2EXadL_ZL17vec_dot_q5_0_q8_1PKvPK10block_q8_1RKiEEEvS4_S4_PT_iii
    .private_segment_fixed_size: 0
    .sgpr_count:     22
    .sgpr_spill_count: 0
    .symbol:         _ZL13mul_mat_vec_qIN3c104HalfELi32ELi4E10block_q5_0Li2EXadL_ZL17vec_dot_q5_0_q8_1PKvPK10block_q8_1RKiEEEvS4_S4_PT_iii.kd
    .uniform_work_group_size: 1
    .uses_dynamic_stack: false
    .vgpr_count:     36
    .vgpr_spill_count: 0
    .wavefront_size: 64
  - .agpr_count:     0
    .args:
      - .actual_access:  read_only
        .address_space:  global
        .offset:         0
        .size:           8
        .value_kind:     global_buffer
      - .actual_access:  read_only
        .address_space:  global
        .offset:         8
        .size:           8
        .value_kind:     global_buffer
      - .actual_access:  write_only
        .address_space:  global
        .offset:         16
        .size:           8
        .value_kind:     global_buffer
      - .offset:         24
        .size:           4
        .value_kind:     by_value
      - .offset:         28
        .size:           4
        .value_kind:     by_value
      - .offset:         32
        .size:           4
        .value_kind:     by_value
      - .offset:         40
        .size:           4
        .value_kind:     hidden_block_count_x
      - .offset:         44
        .size:           4
        .value_kind:     hidden_block_count_y
      - .offset:         48
        .size:           4
        .value_kind:     hidden_block_count_z
      - .offset:         52
        .size:           2
        .value_kind:     hidden_group_size_x
      - .offset:         54
        .size:           2
        .value_kind:     hidden_group_size_y
      - .offset:         56
        .size:           2
        .value_kind:     hidden_group_size_z
      - .offset:         58
        .size:           2
        .value_kind:     hidden_remainder_x
      - .offset:         60
        .size:           2
        .value_kind:     hidden_remainder_y
      - .offset:         62
        .size:           2
        .value_kind:     hidden_remainder_z
      - .offset:         80
        .size:           8
        .value_kind:     hidden_global_offset_x
      - .offset:         88
        .size:           8
        .value_kind:     hidden_global_offset_y
      - .offset:         96
        .size:           8
        .value_kind:     hidden_global_offset_z
      - .offset:         104
        .size:           2
        .value_kind:     hidden_grid_dims
    .group_segment_fixed_size: 0
    .kernarg_segment_align: 8
    .kernarg_segment_size: 296
    .language:       OpenCL C
    .language_version:
      - 2
      - 0
    .max_flat_workgroup_size: 1024
    .name:           _ZL13mul_mat_vec_qIN3c104HalfELi32ELi4E10block_q5_1Li2EXadL_ZL17vec_dot_q5_1_q8_1PKvPK10block_q8_1RKiEEEvS4_S4_PT_iii
    .private_segment_fixed_size: 0
    .sgpr_count:     22
    .sgpr_spill_count: 0
    .symbol:         _ZL13mul_mat_vec_qIN3c104HalfELi32ELi4E10block_q5_1Li2EXadL_ZL17vec_dot_q5_1_q8_1PKvPK10block_q8_1RKiEEEvS4_S4_PT_iii.kd
    .uniform_work_group_size: 1
    .uses_dynamic_stack: false
    .vgpr_count:     34
    .vgpr_spill_count: 0
    .wavefront_size: 64
  - .agpr_count:     0
    .args:
      - .actual_access:  read_only
        .address_space:  global
        .offset:         0
        .size:           8
        .value_kind:     global_buffer
      - .actual_access:  read_only
        .address_space:  global
        .offset:         8
        .size:           8
        .value_kind:     global_buffer
      - .actual_access:  write_only
        .address_space:  global
        .offset:         16
        .size:           8
        .value_kind:     global_buffer
      - .offset:         24
        .size:           4
        .value_kind:     by_value
      - .offset:         28
        .size:           4
        .value_kind:     by_value
      - .offset:         32
        .size:           4
        .value_kind:     by_value
      - .offset:         40
        .size:           4
        .value_kind:     hidden_block_count_x
      - .offset:         44
        .size:           4
        .value_kind:     hidden_block_count_y
      - .offset:         48
        .size:           4
        .value_kind:     hidden_block_count_z
      - .offset:         52
        .size:           2
        .value_kind:     hidden_group_size_x
      - .offset:         54
        .size:           2
        .value_kind:     hidden_group_size_y
      - .offset:         56
        .size:           2
        .value_kind:     hidden_group_size_z
      - .offset:         58
        .size:           2
        .value_kind:     hidden_remainder_x
      - .offset:         60
        .size:           2
        .value_kind:     hidden_remainder_y
      - .offset:         62
        .size:           2
        .value_kind:     hidden_remainder_z
      - .offset:         80
        .size:           8
        .value_kind:     hidden_global_offset_x
      - .offset:         88
        .size:           8
        .value_kind:     hidden_global_offset_y
      - .offset:         96
        .size:           8
        .value_kind:     hidden_global_offset_z
      - .offset:         104
        .size:           2
        .value_kind:     hidden_grid_dims
    .group_segment_fixed_size: 0
    .kernarg_segment_align: 8
    .kernarg_segment_size: 296
    .language:       OpenCL C
    .language_version:
      - 2
      - 0
    .max_flat_workgroup_size: 1024
    .name:           _ZL13mul_mat_vec_qIN3c104HalfELi32ELi8E10block_q8_0Li2EXadL_ZL17vec_dot_q8_0_q8_1PKvPK10block_q8_1RKiEEEvS4_S4_PT_iii
    .private_segment_fixed_size: 0
    .sgpr_count:     20
    .sgpr_spill_count: 0
    .symbol:         _ZL13mul_mat_vec_qIN3c104HalfELi32ELi8E10block_q8_0Li2EXadL_ZL17vec_dot_q8_0_q8_1PKvPK10block_q8_1RKiEEEvS4_S4_PT_iii.kd
    .uniform_work_group_size: 1
    .uses_dynamic_stack: false
    .vgpr_count:     20
    .vgpr_spill_count: 0
    .wavefront_size: 64
  - .agpr_count:     0
    .args:
      - .actual_access:  read_only
        .address_space:  global
        .offset:         0
        .size:           8
        .value_kind:     global_buffer
      - .actual_access:  read_only
        .address_space:  global
        .offset:         8
        .size:           8
        .value_kind:     global_buffer
      - .actual_access:  write_only
        .address_space:  global
        .offset:         16
        .size:           8
        .value_kind:     global_buffer
      - .offset:         24
        .size:           4
        .value_kind:     by_value
      - .offset:         28
        .size:           4
        .value_kind:     by_value
      - .offset:         32
        .size:           4
        .value_kind:     by_value
      - .offset:         40
        .size:           4
        .value_kind:     hidden_block_count_x
      - .offset:         44
        .size:           4
        .value_kind:     hidden_block_count_y
      - .offset:         48
        .size:           4
        .value_kind:     hidden_block_count_z
      - .offset:         52
        .size:           2
        .value_kind:     hidden_group_size_x
      - .offset:         54
        .size:           2
        .value_kind:     hidden_group_size_y
      - .offset:         56
        .size:           2
        .value_kind:     hidden_group_size_z
      - .offset:         58
        .size:           2
        .value_kind:     hidden_remainder_x
      - .offset:         60
        .size:           2
        .value_kind:     hidden_remainder_y
      - .offset:         62
        .size:           2
        .value_kind:     hidden_remainder_z
      - .offset:         80
        .size:           8
        .value_kind:     hidden_global_offset_x
      - .offset:         88
        .size:           8
        .value_kind:     hidden_global_offset_y
      - .offset:         96
        .size:           8
        .value_kind:     hidden_global_offset_z
      - .offset:         104
        .size:           2
        .value_kind:     hidden_grid_dims
    .group_segment_fixed_size: 0
    .kernarg_segment_align: 8
    .kernarg_segment_size: 296
    .language:       OpenCL C
    .language_version:
      - 2
      - 0
    .max_flat_workgroup_size: 1024
    .name:           _ZL13mul_mat_vec_qIN3c104HalfELi256ELi16E10block_q2_KLi1EXadL_ZL17vec_dot_q2_K_q8_1PKvPK10block_q8_1RKiEEEvS4_S4_PT_iii
    .private_segment_fixed_size: 0
    .sgpr_count:     20
    .sgpr_spill_count: 0
    .symbol:         _ZL13mul_mat_vec_qIN3c104HalfELi256ELi16E10block_q2_KLi1EXadL_ZL17vec_dot_q2_K_q8_1PKvPK10block_q8_1RKiEEEvS4_S4_PT_iii.kd
    .uniform_work_group_size: 1
    .uses_dynamic_stack: false
    .vgpr_count:     46
    .vgpr_spill_count: 0
    .wavefront_size: 64
  - .agpr_count:     0
    .args:
      - .actual_access:  read_only
        .address_space:  global
        .offset:         0
        .size:           8
        .value_kind:     global_buffer
      - .actual_access:  read_only
        .address_space:  global
        .offset:         8
        .size:           8
        .value_kind:     global_buffer
      - .actual_access:  write_only
        .address_space:  global
        .offset:         16
        .size:           8
        .value_kind:     global_buffer
      - .offset:         24
        .size:           4
        .value_kind:     by_value
      - .offset:         28
        .size:           4
        .value_kind:     by_value
      - .offset:         32
        .size:           4
        .value_kind:     by_value
      - .offset:         40
        .size:           4
        .value_kind:     hidden_block_count_x
      - .offset:         44
        .size:           4
        .value_kind:     hidden_block_count_y
      - .offset:         48
        .size:           4
        .value_kind:     hidden_block_count_z
      - .offset:         52
        .size:           2
        .value_kind:     hidden_group_size_x
      - .offset:         54
        .size:           2
        .value_kind:     hidden_group_size_y
      - .offset:         56
        .size:           2
        .value_kind:     hidden_group_size_z
      - .offset:         58
        .size:           2
        .value_kind:     hidden_remainder_x
      - .offset:         60
        .size:           2
        .value_kind:     hidden_remainder_y
      - .offset:         62
        .size:           2
        .value_kind:     hidden_remainder_z
      - .offset:         80
        .size:           8
        .value_kind:     hidden_global_offset_x
      - .offset:         88
        .size:           8
        .value_kind:     hidden_global_offset_y
      - .offset:         96
        .size:           8
        .value_kind:     hidden_global_offset_z
      - .offset:         104
        .size:           2
        .value_kind:     hidden_grid_dims
    .group_segment_fixed_size: 0
    .kernarg_segment_align: 8
    .kernarg_segment_size: 296
    .language:       OpenCL C
    .language_version:
      - 2
      - 0
    .max_flat_workgroup_size: 1024
    .name:           _ZL13mul_mat_vec_qIN3c104HalfELi256ELi16E10block_q3_KLi1EXadL_ZL17vec_dot_q3_K_q8_1PKvPK10block_q8_1RKiEEEvS4_S4_PT_iii
    .private_segment_fixed_size: 0
    .sgpr_count:     20
    .sgpr_spill_count: 0
    .symbol:         _ZL13mul_mat_vec_qIN3c104HalfELi256ELi16E10block_q3_KLi1EXadL_ZL17vec_dot_q3_K_q8_1PKvPK10block_q8_1RKiEEEvS4_S4_PT_iii.kd
    .uniform_work_group_size: 1
    .uses_dynamic_stack: false
    .vgpr_count:     64
    .vgpr_spill_count: 0
    .wavefront_size: 64
  - .agpr_count:     0
    .args:
      - .actual_access:  read_only
        .address_space:  global
        .offset:         0
        .size:           8
        .value_kind:     global_buffer
      - .actual_access:  read_only
        .address_space:  global
        .offset:         8
        .size:           8
        .value_kind:     global_buffer
      - .actual_access:  write_only
        .address_space:  global
        .offset:         16
        .size:           8
        .value_kind:     global_buffer
      - .offset:         24
        .size:           4
        .value_kind:     by_value
      - .offset:         28
        .size:           4
        .value_kind:     by_value
      - .offset:         32
        .size:           4
        .value_kind:     by_value
      - .offset:         40
        .size:           4
        .value_kind:     hidden_block_count_x
      - .offset:         44
        .size:           4
        .value_kind:     hidden_block_count_y
      - .offset:         48
        .size:           4
        .value_kind:     hidden_block_count_z
      - .offset:         52
        .size:           2
        .value_kind:     hidden_group_size_x
      - .offset:         54
        .size:           2
        .value_kind:     hidden_group_size_y
      - .offset:         56
        .size:           2
        .value_kind:     hidden_group_size_z
      - .offset:         58
        .size:           2
        .value_kind:     hidden_remainder_x
      - .offset:         60
        .size:           2
        .value_kind:     hidden_remainder_y
      - .offset:         62
        .size:           2
        .value_kind:     hidden_remainder_z
      - .offset:         80
        .size:           8
        .value_kind:     hidden_global_offset_x
      - .offset:         88
        .size:           8
        .value_kind:     hidden_global_offset_y
      - .offset:         96
        .size:           8
        .value_kind:     hidden_global_offset_z
      - .offset:         104
        .size:           2
        .value_kind:     hidden_grid_dims
    .group_segment_fixed_size: 0
    .kernarg_segment_align: 8
    .kernarg_segment_size: 296
    .language:       OpenCL C
    .language_version:
      - 2
      - 0
    .max_flat_workgroup_size: 1024
    .name:           _ZL13mul_mat_vec_qIN3c104HalfELi256ELi32E10block_q4_KLi2EXadL_ZL17vec_dot_q4_K_q8_1PKvPK10block_q8_1RKiEEEvS4_S4_PT_iii
    .private_segment_fixed_size: 0
    .sgpr_count:     20
    .sgpr_spill_count: 0
    .symbol:         _ZL13mul_mat_vec_qIN3c104HalfELi256ELi32E10block_q4_KLi2EXadL_ZL17vec_dot_q4_K_q8_1PKvPK10block_q8_1RKiEEEvS4_S4_PT_iii.kd
    .uniform_work_group_size: 1
    .uses_dynamic_stack: false
    .vgpr_count:     36
    .vgpr_spill_count: 0
    .wavefront_size: 64
  - .agpr_count:     0
    .args:
      - .actual_access:  read_only
        .address_space:  global
        .offset:         0
        .size:           8
        .value_kind:     global_buffer
      - .actual_access:  read_only
        .address_space:  global
        .offset:         8
        .size:           8
        .value_kind:     global_buffer
      - .actual_access:  write_only
        .address_space:  global
        .offset:         16
        .size:           8
        .value_kind:     global_buffer
      - .offset:         24
        .size:           4
        .value_kind:     by_value
      - .offset:         28
        .size:           4
        .value_kind:     by_value
      - .offset:         32
        .size:           4
        .value_kind:     by_value
      - .offset:         40
        .size:           4
        .value_kind:     hidden_block_count_x
      - .offset:         44
        .size:           4
        .value_kind:     hidden_block_count_y
      - .offset:         48
        .size:           4
        .value_kind:     hidden_block_count_z
      - .offset:         52
        .size:           2
        .value_kind:     hidden_group_size_x
      - .offset:         54
        .size:           2
        .value_kind:     hidden_group_size_y
      - .offset:         56
        .size:           2
        .value_kind:     hidden_group_size_z
      - .offset:         58
        .size:           2
        .value_kind:     hidden_remainder_x
      - .offset:         60
        .size:           2
        .value_kind:     hidden_remainder_y
      - .offset:         62
        .size:           2
        .value_kind:     hidden_remainder_z
      - .offset:         80
        .size:           8
        .value_kind:     hidden_global_offset_x
      - .offset:         88
        .size:           8
        .value_kind:     hidden_global_offset_y
      - .offset:         96
        .size:           8
        .value_kind:     hidden_global_offset_z
      - .offset:         104
        .size:           2
        .value_kind:     hidden_grid_dims
    .group_segment_fixed_size: 0
    .kernarg_segment_align: 8
    .kernarg_segment_size: 296
    .language:       OpenCL C
    .language_version:
      - 2
      - 0
    .max_flat_workgroup_size: 1024
    .name:           _ZL13mul_mat_vec_qIN3c104HalfELi256ELi32E10block_q5_KLi2EXadL_ZL17vec_dot_q5_K_q8_1PKvPK10block_q8_1RKiEEEvS4_S4_PT_iii
    .private_segment_fixed_size: 0
    .sgpr_count:     20
    .sgpr_spill_count: 0
    .symbol:         _ZL13mul_mat_vec_qIN3c104HalfELi256ELi32E10block_q5_KLi2EXadL_ZL17vec_dot_q5_K_q8_1PKvPK10block_q8_1RKiEEEvS4_S4_PT_iii.kd
    .uniform_work_group_size: 1
    .uses_dynamic_stack: false
    .vgpr_count:     38
    .vgpr_spill_count: 0
    .wavefront_size: 64
  - .agpr_count:     0
    .args:
      - .actual_access:  read_only
        .address_space:  global
        .offset:         0
        .size:           8
        .value_kind:     global_buffer
      - .actual_access:  read_only
        .address_space:  global
        .offset:         8
        .size:           8
        .value_kind:     global_buffer
      - .actual_access:  write_only
        .address_space:  global
        .offset:         16
        .size:           8
        .value_kind:     global_buffer
      - .offset:         24
        .size:           4
        .value_kind:     by_value
      - .offset:         28
        .size:           4
        .value_kind:     by_value
      - .offset:         32
        .size:           4
        .value_kind:     by_value
      - .offset:         40
        .size:           4
        .value_kind:     hidden_block_count_x
      - .offset:         44
        .size:           4
        .value_kind:     hidden_block_count_y
      - .offset:         48
        .size:           4
        .value_kind:     hidden_block_count_z
      - .offset:         52
        .size:           2
        .value_kind:     hidden_group_size_x
      - .offset:         54
        .size:           2
        .value_kind:     hidden_group_size_y
      - .offset:         56
        .size:           2
        .value_kind:     hidden_group_size_z
      - .offset:         58
        .size:           2
        .value_kind:     hidden_remainder_x
      - .offset:         60
        .size:           2
        .value_kind:     hidden_remainder_y
      - .offset:         62
        .size:           2
        .value_kind:     hidden_remainder_z
      - .offset:         80
        .size:           8
        .value_kind:     hidden_global_offset_x
      - .offset:         88
        .size:           8
        .value_kind:     hidden_global_offset_y
      - .offset:         96
        .size:           8
        .value_kind:     hidden_global_offset_z
      - .offset:         104
        .size:           2
        .value_kind:     hidden_grid_dims
    .group_segment_fixed_size: 0
    .kernarg_segment_align: 8
    .kernarg_segment_size: 296
    .language:       OpenCL C
    .language_version:
      - 2
      - 0
    .max_flat_workgroup_size: 1024
    .name:           _ZL13mul_mat_vec_qIN3c104HalfELi256ELi32E10block_q6_KLi1EXadL_ZL17vec_dot_q6_K_q8_1PKvPK10block_q8_1RKiEEEvS4_S4_PT_iii
    .private_segment_fixed_size: 0
    .sgpr_count:     20
    .sgpr_spill_count: 0
    .symbol:         _ZL13mul_mat_vec_qIN3c104HalfELi256ELi32E10block_q6_KLi1EXadL_ZL17vec_dot_q6_K_q8_1PKvPK10block_q8_1RKiEEEvS4_S4_PT_iii.kd
    .uniform_work_group_size: 1
    .uses_dynamic_stack: false
    .vgpr_count:     33
    .vgpr_spill_count: 0
    .wavefront_size: 64
  - .agpr_count:     0
    .args:
      - .actual_access:  read_only
        .address_space:  global
        .offset:         0
        .size:           8
        .value_kind:     global_buffer
      - .actual_access:  read_only
        .address_space:  global
        .offset:         8
        .size:           8
        .value_kind:     global_buffer
      - .actual_access:  write_only
        .address_space:  global
        .offset:         16
        .size:           8
        .value_kind:     global_buffer
      - .offset:         24
        .size:           4
        .value_kind:     by_value
      - .offset:         28
        .size:           4
        .value_kind:     by_value
      - .offset:         32
        .size:           4
        .value_kind:     by_value
      - .offset:         40
        .size:           4
        .value_kind:     hidden_block_count_x
      - .offset:         44
        .size:           4
        .value_kind:     hidden_block_count_y
      - .offset:         48
        .size:           4
        .value_kind:     hidden_block_count_z
      - .offset:         52
        .size:           2
        .value_kind:     hidden_group_size_x
      - .offset:         54
        .size:           2
        .value_kind:     hidden_group_size_y
      - .offset:         56
        .size:           2
        .value_kind:     hidden_group_size_z
      - .offset:         58
        .size:           2
        .value_kind:     hidden_remainder_x
      - .offset:         60
        .size:           2
        .value_kind:     hidden_remainder_y
      - .offset:         62
        .size:           2
        .value_kind:     hidden_remainder_z
      - .offset:         80
        .size:           8
        .value_kind:     hidden_global_offset_x
      - .offset:         88
        .size:           8
        .value_kind:     hidden_global_offset_y
      - .offset:         96
        .size:           8
        .value_kind:     hidden_global_offset_z
      - .offset:         104
        .size:           2
        .value_kind:     hidden_grid_dims
    .group_segment_fixed_size: 0
    .kernarg_segment_align: 8
    .kernarg_segment_size: 296
    .language:       OpenCL C
    .language_version:
      - 2
      - 0
    .max_flat_workgroup_size: 1024
    .name:           _ZL13mul_mat_vec_qIN3c104HalfELi256ELi8E13block_iq2_xxsLi1EXadL_ZL20vec_dot_iq2_xxs_q8_1PKvPK10block_q8_1RKiEEEvS4_S4_PT_iii
    .private_segment_fixed_size: 0
    .sgpr_count:     20
    .sgpr_spill_count: 0
    .symbol:         _ZL13mul_mat_vec_qIN3c104HalfELi256ELi8E13block_iq2_xxsLi1EXadL_ZL20vec_dot_iq2_xxs_q8_1PKvPK10block_q8_1RKiEEEvS4_S4_PT_iii.kd
    .uniform_work_group_size: 1
    .uses_dynamic_stack: false
    .vgpr_count:     30
    .vgpr_spill_count: 0
    .wavefront_size: 64
  - .agpr_count:     0
    .args:
      - .actual_access:  read_only
        .address_space:  global
        .offset:         0
        .size:           8
        .value_kind:     global_buffer
      - .actual_access:  read_only
        .address_space:  global
        .offset:         8
        .size:           8
        .value_kind:     global_buffer
      - .actual_access:  write_only
        .address_space:  global
        .offset:         16
        .size:           8
        .value_kind:     global_buffer
      - .offset:         24
        .size:           4
        .value_kind:     by_value
      - .offset:         28
        .size:           4
        .value_kind:     by_value
      - .offset:         32
        .size:           4
        .value_kind:     by_value
      - .offset:         40
        .size:           4
        .value_kind:     hidden_block_count_x
      - .offset:         44
        .size:           4
        .value_kind:     hidden_block_count_y
      - .offset:         48
        .size:           4
        .value_kind:     hidden_block_count_z
      - .offset:         52
        .size:           2
        .value_kind:     hidden_group_size_x
      - .offset:         54
        .size:           2
        .value_kind:     hidden_group_size_y
      - .offset:         56
        .size:           2
        .value_kind:     hidden_group_size_z
      - .offset:         58
        .size:           2
        .value_kind:     hidden_remainder_x
      - .offset:         60
        .size:           2
        .value_kind:     hidden_remainder_y
      - .offset:         62
        .size:           2
        .value_kind:     hidden_remainder_z
      - .offset:         80
        .size:           8
        .value_kind:     hidden_global_offset_x
      - .offset:         88
        .size:           8
        .value_kind:     hidden_global_offset_y
      - .offset:         96
        .size:           8
        .value_kind:     hidden_global_offset_z
      - .offset:         104
        .size:           2
        .value_kind:     hidden_grid_dims
    .group_segment_fixed_size: 0
    .kernarg_segment_align: 8
    .kernarg_segment_size: 296
    .language:       OpenCL C
    .language_version:
      - 2
      - 0
    .max_flat_workgroup_size: 1024
    .name:           _ZL13mul_mat_vec_qIN3c104HalfELi256ELi8E12block_iq2_xsLi1EXadL_ZL19vec_dot_iq2_xs_q8_1PKvPK10block_q8_1RKiEEEvS4_S4_PT_iii
    .private_segment_fixed_size: 0
    .sgpr_count:     20
    .sgpr_spill_count: 0
    .symbol:         _ZL13mul_mat_vec_qIN3c104HalfELi256ELi8E12block_iq2_xsLi1EXadL_ZL19vec_dot_iq2_xs_q8_1PKvPK10block_q8_1RKiEEEvS4_S4_PT_iii.kd
    .uniform_work_group_size: 1
    .uses_dynamic_stack: false
    .vgpr_count:     38
    .vgpr_spill_count: 0
    .wavefront_size: 64
  - .agpr_count:     0
    .args:
      - .actual_access:  read_only
        .address_space:  global
        .offset:         0
        .size:           8
        .value_kind:     global_buffer
      - .actual_access:  read_only
        .address_space:  global
        .offset:         8
        .size:           8
        .value_kind:     global_buffer
      - .actual_access:  write_only
        .address_space:  global
        .offset:         16
        .size:           8
        .value_kind:     global_buffer
      - .offset:         24
        .size:           4
        .value_kind:     by_value
      - .offset:         28
        .size:           4
        .value_kind:     by_value
      - .offset:         32
        .size:           4
        .value_kind:     by_value
      - .offset:         40
        .size:           4
        .value_kind:     hidden_block_count_x
      - .offset:         44
        .size:           4
        .value_kind:     hidden_block_count_y
      - .offset:         48
        .size:           4
        .value_kind:     hidden_block_count_z
      - .offset:         52
        .size:           2
        .value_kind:     hidden_group_size_x
      - .offset:         54
        .size:           2
        .value_kind:     hidden_group_size_y
      - .offset:         56
        .size:           2
        .value_kind:     hidden_group_size_z
      - .offset:         58
        .size:           2
        .value_kind:     hidden_remainder_x
      - .offset:         60
        .size:           2
        .value_kind:     hidden_remainder_y
      - .offset:         62
        .size:           2
        .value_kind:     hidden_remainder_z
      - .offset:         80
        .size:           8
        .value_kind:     hidden_global_offset_x
      - .offset:         88
        .size:           8
        .value_kind:     hidden_global_offset_y
      - .offset:         96
        .size:           8
        .value_kind:     hidden_global_offset_z
      - .offset:         104
        .size:           2
        .value_kind:     hidden_grid_dims
    .group_segment_fixed_size: 0
    .kernarg_segment_align: 8
    .kernarg_segment_size: 296
    .language:       OpenCL C
    .language_version:
      - 2
      - 0
    .max_flat_workgroup_size: 1024
    .name:           _ZL13mul_mat_vec_qIN3c104HalfELi256ELi8E13block_iq3_xxsLi1EXadL_ZL20vec_dot_iq3_xxs_q8_1PKvPK10block_q8_1RKiEEEvS4_S4_PT_iii
    .private_segment_fixed_size: 0
    .sgpr_count:     22
    .sgpr_spill_count: 0
    .symbol:         _ZL13mul_mat_vec_qIN3c104HalfELi256ELi8E13block_iq3_xxsLi1EXadL_ZL20vec_dot_iq3_xxs_q8_1PKvPK10block_q8_1RKiEEEvS4_S4_PT_iii.kd
    .uniform_work_group_size: 1
    .uses_dynamic_stack: false
    .vgpr_count:     59
    .vgpr_spill_count: 0
    .wavefront_size: 64
  - .agpr_count:     0
    .args:
      - .actual_access:  read_only
        .address_space:  global
        .offset:         0
        .size:           8
        .value_kind:     global_buffer
      - .actual_access:  read_only
        .address_space:  global
        .offset:         8
        .size:           8
        .value_kind:     global_buffer
      - .actual_access:  write_only
        .address_space:  global
        .offset:         16
        .size:           8
        .value_kind:     global_buffer
      - .offset:         24
        .size:           4
        .value_kind:     by_value
      - .offset:         28
        .size:           4
        .value_kind:     by_value
      - .offset:         32
        .size:           4
        .value_kind:     by_value
      - .offset:         40
        .size:           4
        .value_kind:     hidden_block_count_x
      - .offset:         44
        .size:           4
        .value_kind:     hidden_block_count_y
      - .offset:         48
        .size:           4
        .value_kind:     hidden_block_count_z
      - .offset:         52
        .size:           2
        .value_kind:     hidden_group_size_x
      - .offset:         54
        .size:           2
        .value_kind:     hidden_group_size_y
      - .offset:         56
        .size:           2
        .value_kind:     hidden_group_size_z
      - .offset:         58
        .size:           2
        .value_kind:     hidden_remainder_x
      - .offset:         60
        .size:           2
        .value_kind:     hidden_remainder_y
      - .offset:         62
        .size:           2
        .value_kind:     hidden_remainder_z
      - .offset:         80
        .size:           8
        .value_kind:     hidden_global_offset_x
      - .offset:         88
        .size:           8
        .value_kind:     hidden_global_offset_y
      - .offset:         96
        .size:           8
        .value_kind:     hidden_global_offset_z
      - .offset:         104
        .size:           2
        .value_kind:     hidden_grid_dims
    .group_segment_fixed_size: 0
    .kernarg_segment_align: 8
    .kernarg_segment_size: 296
    .language:       OpenCL C
    .language_version:
      - 2
      - 0
    .max_flat_workgroup_size: 1024
    .name:           _ZL13mul_mat_vec_qIN3c104HalfELi256ELi8E11block_iq1_sLi1EXadL_ZL18vec_dot_iq1_s_q8_1PKvPK10block_q8_1RKiEEEvS4_S4_PT_iii
    .private_segment_fixed_size: 0
    .sgpr_count:     22
    .sgpr_spill_count: 0
    .symbol:         _ZL13mul_mat_vec_qIN3c104HalfELi256ELi8E11block_iq1_sLi1EXadL_ZL18vec_dot_iq1_s_q8_1PKvPK10block_q8_1RKiEEEvS4_S4_PT_iii.kd
    .uniform_work_group_size: 1
    .uses_dynamic_stack: false
    .vgpr_count:     32
    .vgpr_spill_count: 0
    .wavefront_size: 64
  - .agpr_count:     0
    .args:
      - .actual_access:  read_only
        .address_space:  global
        .offset:         0
        .size:           8
        .value_kind:     global_buffer
      - .actual_access:  read_only
        .address_space:  global
        .offset:         8
        .size:           8
        .value_kind:     global_buffer
      - .actual_access:  write_only
        .address_space:  global
        .offset:         16
        .size:           8
        .value_kind:     global_buffer
      - .offset:         24
        .size:           4
        .value_kind:     by_value
      - .offset:         28
        .size:           4
        .value_kind:     by_value
      - .offset:         32
        .size:           4
        .value_kind:     by_value
      - .offset:         40
        .size:           4
        .value_kind:     hidden_block_count_x
      - .offset:         44
        .size:           4
        .value_kind:     hidden_block_count_y
      - .offset:         48
        .size:           4
        .value_kind:     hidden_block_count_z
      - .offset:         52
        .size:           2
        .value_kind:     hidden_group_size_x
      - .offset:         54
        .size:           2
        .value_kind:     hidden_group_size_y
      - .offset:         56
        .size:           2
        .value_kind:     hidden_group_size_z
      - .offset:         58
        .size:           2
        .value_kind:     hidden_remainder_x
      - .offset:         60
        .size:           2
        .value_kind:     hidden_remainder_y
      - .offset:         62
        .size:           2
        .value_kind:     hidden_remainder_z
      - .offset:         80
        .size:           8
        .value_kind:     hidden_global_offset_x
      - .offset:         88
        .size:           8
        .value_kind:     hidden_global_offset_y
      - .offset:         96
        .size:           8
        .value_kind:     hidden_global_offset_z
      - .offset:         104
        .size:           2
        .value_kind:     hidden_grid_dims
    .group_segment_fixed_size: 0
    .kernarg_segment_align: 8
    .kernarg_segment_size: 296
    .language:       OpenCL C
    .language_version:
      - 2
      - 0
    .max_flat_workgroup_size: 1024
    .name:           _ZL13mul_mat_vec_qIN3c104HalfELi32ELi4E12block_iq4_nlLi2EXadL_ZL19vec_dot_iq4_nl_q8_1PKvPK10block_q8_1RKiEEEvS4_S4_PT_iii
    .private_segment_fixed_size: 0
    .sgpr_count:     22
    .sgpr_spill_count: 0
    .symbol:         _ZL13mul_mat_vec_qIN3c104HalfELi32ELi4E12block_iq4_nlLi2EXadL_ZL19vec_dot_iq4_nl_q8_1PKvPK10block_q8_1RKiEEEvS4_S4_PT_iii.kd
    .uniform_work_group_size: 1
    .uses_dynamic_stack: false
    .vgpr_count:     45
    .vgpr_spill_count: 0
    .wavefront_size: 64
  - .agpr_count:     0
    .args:
      - .actual_access:  read_only
        .address_space:  global
        .offset:         0
        .size:           8
        .value_kind:     global_buffer
      - .actual_access:  read_only
        .address_space:  global
        .offset:         8
        .size:           8
        .value_kind:     global_buffer
      - .actual_access:  write_only
        .address_space:  global
        .offset:         16
        .size:           8
        .value_kind:     global_buffer
      - .offset:         24
        .size:           4
        .value_kind:     by_value
      - .offset:         28
        .size:           4
        .value_kind:     by_value
      - .offset:         32
        .size:           4
        .value_kind:     by_value
      - .offset:         40
        .size:           4
        .value_kind:     hidden_block_count_x
      - .offset:         44
        .size:           4
        .value_kind:     hidden_block_count_y
      - .offset:         48
        .size:           4
        .value_kind:     hidden_block_count_z
      - .offset:         52
        .size:           2
        .value_kind:     hidden_group_size_x
      - .offset:         54
        .size:           2
        .value_kind:     hidden_group_size_y
      - .offset:         56
        .size:           2
        .value_kind:     hidden_group_size_z
      - .offset:         58
        .size:           2
        .value_kind:     hidden_remainder_x
      - .offset:         60
        .size:           2
        .value_kind:     hidden_remainder_y
      - .offset:         62
        .size:           2
        .value_kind:     hidden_remainder_z
      - .offset:         80
        .size:           8
        .value_kind:     hidden_global_offset_x
      - .offset:         88
        .size:           8
        .value_kind:     hidden_global_offset_y
      - .offset:         96
        .size:           8
        .value_kind:     hidden_global_offset_z
      - .offset:         104
        .size:           2
        .value_kind:     hidden_grid_dims
    .group_segment_fixed_size: 0
    .kernarg_segment_align: 8
    .kernarg_segment_size: 296
    .language:       OpenCL C
    .language_version:
      - 2
      - 0
    .max_flat_workgroup_size: 1024
    .name:           _ZL13mul_mat_vec_qIN3c104HalfELi256ELi8E11block_iq3_sLi1EXadL_ZL18vec_dot_iq3_s_q8_1PKvPK10block_q8_1RKiEEEvS4_S4_PT_iii
    .private_segment_fixed_size: 0
    .sgpr_count:     23
    .sgpr_spill_count: 0
    .symbol:         _ZL13mul_mat_vec_qIN3c104HalfELi256ELi8E11block_iq3_sLi1EXadL_ZL18vec_dot_iq3_s_q8_1PKvPK10block_q8_1RKiEEEvS4_S4_PT_iii.kd
    .uniform_work_group_size: 1
    .uses_dynamic_stack: false
    .vgpr_count:     46
    .vgpr_spill_count: 0
    .wavefront_size: 64
  - .agpr_count:     0
    .args:
      - .actual_access:  read_only
        .address_space:  global
        .offset:         0
        .size:           8
        .value_kind:     global_buffer
      - .actual_access:  read_only
        .address_space:  global
        .offset:         8
        .size:           8
        .value_kind:     global_buffer
      - .actual_access:  write_only
        .address_space:  global
        .offset:         16
        .size:           8
        .value_kind:     global_buffer
      - .offset:         24
        .size:           4
        .value_kind:     by_value
      - .offset:         28
        .size:           4
        .value_kind:     by_value
      - .offset:         32
        .size:           4
        .value_kind:     by_value
      - .offset:         40
        .size:           4
        .value_kind:     hidden_block_count_x
      - .offset:         44
        .size:           4
        .value_kind:     hidden_block_count_y
      - .offset:         48
        .size:           4
        .value_kind:     hidden_block_count_z
      - .offset:         52
        .size:           2
        .value_kind:     hidden_group_size_x
      - .offset:         54
        .size:           2
        .value_kind:     hidden_group_size_y
      - .offset:         56
        .size:           2
        .value_kind:     hidden_group_size_z
      - .offset:         58
        .size:           2
        .value_kind:     hidden_remainder_x
      - .offset:         60
        .size:           2
        .value_kind:     hidden_remainder_y
      - .offset:         62
        .size:           2
        .value_kind:     hidden_remainder_z
      - .offset:         80
        .size:           8
        .value_kind:     hidden_global_offset_x
      - .offset:         88
        .size:           8
        .value_kind:     hidden_global_offset_y
      - .offset:         96
        .size:           8
        .value_kind:     hidden_global_offset_z
      - .offset:         104
        .size:           2
        .value_kind:     hidden_grid_dims
    .group_segment_fixed_size: 0
    .kernarg_segment_align: 8
    .kernarg_segment_size: 296
    .language:       OpenCL C
    .language_version:
      - 2
      - 0
    .max_flat_workgroup_size: 1024
    .name:           _ZL13mul_mat_vec_qIN3c104HalfELi256ELi8E11block_iq2_sLi1EXadL_ZL18vec_dot_iq2_s_q8_1PKvPK10block_q8_1RKiEEEvS4_S4_PT_iii
    .private_segment_fixed_size: 0
    .sgpr_count:     22
    .sgpr_spill_count: 0
    .symbol:         _ZL13mul_mat_vec_qIN3c104HalfELi256ELi8E11block_iq2_sLi1EXadL_ZL18vec_dot_iq2_s_q8_1PKvPK10block_q8_1RKiEEEvS4_S4_PT_iii.kd
    .uniform_work_group_size: 1
    .uses_dynamic_stack: false
    .vgpr_count:     63
    .vgpr_spill_count: 0
    .wavefront_size: 64
  - .agpr_count:     0
    .args:
      - .actual_access:  read_only
        .address_space:  global
        .offset:         0
        .size:           8
        .value_kind:     global_buffer
      - .actual_access:  read_only
        .address_space:  global
        .offset:         8
        .size:           8
        .value_kind:     global_buffer
      - .actual_access:  write_only
        .address_space:  global
        .offset:         16
        .size:           8
        .value_kind:     global_buffer
      - .offset:         24
        .size:           4
        .value_kind:     by_value
      - .offset:         28
        .size:           4
        .value_kind:     by_value
      - .offset:         32
        .size:           4
        .value_kind:     by_value
      - .offset:         40
        .size:           4
        .value_kind:     hidden_block_count_x
      - .offset:         44
        .size:           4
        .value_kind:     hidden_block_count_y
      - .offset:         48
        .size:           4
        .value_kind:     hidden_block_count_z
      - .offset:         52
        .size:           2
        .value_kind:     hidden_group_size_x
      - .offset:         54
        .size:           2
        .value_kind:     hidden_group_size_y
      - .offset:         56
        .size:           2
        .value_kind:     hidden_group_size_z
      - .offset:         58
        .size:           2
        .value_kind:     hidden_remainder_x
      - .offset:         60
        .size:           2
        .value_kind:     hidden_remainder_y
      - .offset:         62
        .size:           2
        .value_kind:     hidden_remainder_z
      - .offset:         80
        .size:           8
        .value_kind:     hidden_global_offset_x
      - .offset:         88
        .size:           8
        .value_kind:     hidden_global_offset_y
      - .offset:         96
        .size:           8
        .value_kind:     hidden_global_offset_z
      - .offset:         104
        .size:           2
        .value_kind:     hidden_grid_dims
    .group_segment_fixed_size: 0
    .kernarg_segment_align: 8
    .kernarg_segment_size: 296
    .language:       OpenCL C
    .language_version:
      - 2
      - 0
    .max_flat_workgroup_size: 1024
    .name:           _ZL13mul_mat_vec_qIN3c104HalfELi256ELi8E12block_iq4_xsLi1EXadL_ZL19vec_dot_iq4_xs_q8_1PKvPK10block_q8_1RKiEEEvS4_S4_PT_iii
    .private_segment_fixed_size: 0
    .sgpr_count:     20
    .sgpr_spill_count: 0
    .symbol:         _ZL13mul_mat_vec_qIN3c104HalfELi256ELi8E12block_iq4_xsLi1EXadL_ZL19vec_dot_iq4_xs_q8_1PKvPK10block_q8_1RKiEEEvS4_S4_PT_iii.kd
    .uniform_work_group_size: 1
    .uses_dynamic_stack: false
    .vgpr_count:     64
    .vgpr_spill_count: 0
    .wavefront_size: 64
  - .agpr_count:     0
    .args:
      - .actual_access:  read_only
        .address_space:  global
        .offset:         0
        .size:           8
        .value_kind:     global_buffer
      - .actual_access:  read_only
        .address_space:  global
        .offset:         8
        .size:           8
        .value_kind:     global_buffer
      - .actual_access:  write_only
        .address_space:  global
        .offset:         16
        .size:           8
        .value_kind:     global_buffer
      - .offset:         24
        .size:           4
        .value_kind:     by_value
      - .offset:         28
        .size:           4
        .value_kind:     by_value
      - .offset:         32
        .size:           4
        .value_kind:     by_value
      - .offset:         40
        .size:           4
        .value_kind:     hidden_block_count_x
      - .offset:         44
        .size:           4
        .value_kind:     hidden_block_count_y
      - .offset:         48
        .size:           4
        .value_kind:     hidden_block_count_z
      - .offset:         52
        .size:           2
        .value_kind:     hidden_group_size_x
      - .offset:         54
        .size:           2
        .value_kind:     hidden_group_size_y
      - .offset:         56
        .size:           2
        .value_kind:     hidden_group_size_z
      - .offset:         58
        .size:           2
        .value_kind:     hidden_remainder_x
      - .offset:         60
        .size:           2
        .value_kind:     hidden_remainder_y
      - .offset:         62
        .size:           2
        .value_kind:     hidden_remainder_z
      - .offset:         80
        .size:           8
        .value_kind:     hidden_global_offset_x
      - .offset:         88
        .size:           8
        .value_kind:     hidden_global_offset_y
      - .offset:         96
        .size:           8
        .value_kind:     hidden_global_offset_z
      - .offset:         104
        .size:           2
        .value_kind:     hidden_grid_dims
    .group_segment_fixed_size: 0
    .kernarg_segment_align: 8
    .kernarg_segment_size: 296
    .language:       OpenCL C
    .language_version:
      - 2
      - 0
    .max_flat_workgroup_size: 1024
    .name:           _ZL13mul_mat_vec_qIN3c104HalfELi256ELi8E11block_iq1_mLi1EXadL_ZL18vec_dot_iq1_m_q8_1PKvPK10block_q8_1RKiEEEvS4_S4_PT_iii
    .private_segment_fixed_size: 0
    .sgpr_count:     26
    .sgpr_spill_count: 0
    .symbol:         _ZL13mul_mat_vec_qIN3c104HalfELi256ELi8E11block_iq1_mLi1EXadL_ZL18vec_dot_iq1_m_q8_1PKvPK10block_q8_1RKiEEEvS4_S4_PT_iii.kd
    .uniform_work_group_size: 1
    .uses_dynamic_stack: false
    .vgpr_count:     44
    .vgpr_spill_count: 0
    .wavefront_size: 64
  - .agpr_count:     0
    .args:
      - .actual_access:  read_only
        .address_space:  global
        .offset:         0
        .size:           8
        .value_kind:     global_buffer
      - .actual_access:  write_only
        .address_space:  global
        .offset:         8
        .size:           8
        .value_kind:     global_buffer
      - .offset:         16
        .size:           4
        .value_kind:     by_value
      - .offset:         20
        .size:           4
        .value_kind:     by_value
      - .offset:         24
        .size:           4
        .value_kind:     hidden_block_count_x
      - .offset:         28
        .size:           4
        .value_kind:     hidden_block_count_y
      - .offset:         32
        .size:           4
        .value_kind:     hidden_block_count_z
      - .offset:         36
        .size:           2
        .value_kind:     hidden_group_size_x
      - .offset:         38
        .size:           2
        .value_kind:     hidden_group_size_y
      - .offset:         40
        .size:           2
        .value_kind:     hidden_group_size_z
      - .offset:         42
        .size:           2
        .value_kind:     hidden_remainder_x
      - .offset:         44
        .size:           2
        .value_kind:     hidden_remainder_y
      - .offset:         46
        .size:           2
        .value_kind:     hidden_remainder_z
      - .offset:         64
        .size:           8
        .value_kind:     hidden_global_offset_x
      - .offset:         72
        .size:           8
        .value_kind:     hidden_global_offset_y
      - .offset:         80
        .size:           8
        .value_kind:     hidden_global_offset_z
      - .offset:         88
        .size:           2
        .value_kind:     hidden_grid_dims
    .group_segment_fixed_size: 0
    .kernarg_segment_align: 8
    .kernarg_segment_size: 280
    .language:       OpenCL C
    .language_version:
      - 2
      - 0
    .max_flat_workgroup_size: 1024
    .name:           _ZL13quantize_q8_1IN3c108BFloat16EEvPKT_Pvii
    .private_segment_fixed_size: 0
    .sgpr_count:     14
    .sgpr_spill_count: 0
    .symbol:         _ZL13quantize_q8_1IN3c108BFloat16EEvPKT_Pvii.kd
    .uniform_work_group_size: 1
    .uses_dynamic_stack: false
    .vgpr_count:     12
    .vgpr_spill_count: 0
    .wavefront_size: 64
  - .agpr_count:     0
    .args:
      - .actual_access:  read_only
        .address_space:  global
        .offset:         0
        .size:           8
        .value_kind:     global_buffer
      - .actual_access:  read_only
        .address_space:  global
        .offset:         8
        .size:           8
        .value_kind:     global_buffer
      - .actual_access:  write_only
        .address_space:  global
        .offset:         16
        .size:           8
        .value_kind:     global_buffer
      - .offset:         24
        .size:           4
        .value_kind:     by_value
      - .offset:         28
        .size:           4
        .value_kind:     by_value
      - .offset:         32
        .size:           4
        .value_kind:     by_value
      - .offset:         40
        .size:           4
        .value_kind:     hidden_block_count_x
      - .offset:         44
        .size:           4
        .value_kind:     hidden_block_count_y
      - .offset:         48
        .size:           4
        .value_kind:     hidden_block_count_z
      - .offset:         52
        .size:           2
        .value_kind:     hidden_group_size_x
      - .offset:         54
        .size:           2
        .value_kind:     hidden_group_size_y
      - .offset:         56
        .size:           2
        .value_kind:     hidden_group_size_z
      - .offset:         58
        .size:           2
        .value_kind:     hidden_remainder_x
      - .offset:         60
        .size:           2
        .value_kind:     hidden_remainder_y
      - .offset:         62
        .size:           2
        .value_kind:     hidden_remainder_z
      - .offset:         80
        .size:           8
        .value_kind:     hidden_global_offset_x
      - .offset:         88
        .size:           8
        .value_kind:     hidden_global_offset_y
      - .offset:         96
        .size:           8
        .value_kind:     hidden_global_offset_z
      - .offset:         104
        .size:           2
        .value_kind:     hidden_grid_dims
    .group_segment_fixed_size: 0
    .kernarg_segment_align: 8
    .kernarg_segment_size: 296
    .language:       OpenCL C
    .language_version:
      - 2
      - 0
    .max_flat_workgroup_size: 1024
    .name:           _ZL13mul_mat_vec_qIN3c108BFloat16ELi32ELi4E10block_q4_0Li2EXadL_ZL17vec_dot_q4_0_q8_1PKvPK10block_q8_1RKiEEEvS4_S4_PT_iii
    .private_segment_fixed_size: 0
    .sgpr_count:     20
    .sgpr_spill_count: 0
    .symbol:         _ZL13mul_mat_vec_qIN3c108BFloat16ELi32ELi4E10block_q4_0Li2EXadL_ZL17vec_dot_q4_0_q8_1PKvPK10block_q8_1RKiEEEvS4_S4_PT_iii.kd
    .uniform_work_group_size: 1
    .uses_dynamic_stack: false
    .vgpr_count:     23
    .vgpr_spill_count: 0
    .wavefront_size: 64
  - .agpr_count:     0
    .args:
      - .actual_access:  read_only
        .address_space:  global
        .offset:         0
        .size:           8
        .value_kind:     global_buffer
      - .actual_access:  read_only
        .address_space:  global
        .offset:         8
        .size:           8
        .value_kind:     global_buffer
      - .actual_access:  write_only
        .address_space:  global
        .offset:         16
        .size:           8
        .value_kind:     global_buffer
      - .offset:         24
        .size:           4
        .value_kind:     by_value
      - .offset:         28
        .size:           4
        .value_kind:     by_value
      - .offset:         32
        .size:           4
        .value_kind:     by_value
      - .offset:         40
        .size:           4
        .value_kind:     hidden_block_count_x
      - .offset:         44
        .size:           4
        .value_kind:     hidden_block_count_y
      - .offset:         48
        .size:           4
        .value_kind:     hidden_block_count_z
      - .offset:         52
        .size:           2
        .value_kind:     hidden_group_size_x
      - .offset:         54
        .size:           2
        .value_kind:     hidden_group_size_y
      - .offset:         56
        .size:           2
        .value_kind:     hidden_group_size_z
      - .offset:         58
        .size:           2
        .value_kind:     hidden_remainder_x
      - .offset:         60
        .size:           2
        .value_kind:     hidden_remainder_y
      - .offset:         62
        .size:           2
        .value_kind:     hidden_remainder_z
      - .offset:         80
        .size:           8
        .value_kind:     hidden_global_offset_x
      - .offset:         88
        .size:           8
        .value_kind:     hidden_global_offset_y
      - .offset:         96
        .size:           8
        .value_kind:     hidden_global_offset_z
      - .offset:         104
        .size:           2
        .value_kind:     hidden_grid_dims
    .group_segment_fixed_size: 0
    .kernarg_segment_align: 8
    .kernarg_segment_size: 296
    .language:       OpenCL C
    .language_version:
      - 2
      - 0
    .max_flat_workgroup_size: 1024
    .name:           _ZL13mul_mat_vec_qIN3c108BFloat16ELi32ELi4E10block_q4_1Li2EXadL_ZL17vec_dot_q4_1_q8_1PKvPK10block_q8_1RKiEEEvS4_S4_PT_iii
    .private_segment_fixed_size: 0
    .sgpr_count:     22
    .sgpr_spill_count: 0
    .symbol:         _ZL13mul_mat_vec_qIN3c108BFloat16ELi32ELi4E10block_q4_1Li2EXadL_ZL17vec_dot_q4_1_q8_1PKvPK10block_q8_1RKiEEEvS4_S4_PT_iii.kd
    .uniform_work_group_size: 1
    .uses_dynamic_stack: false
    .vgpr_count:     22
    .vgpr_spill_count: 0
    .wavefront_size: 64
  - .agpr_count:     0
    .args:
      - .actual_access:  read_only
        .address_space:  global
        .offset:         0
        .size:           8
        .value_kind:     global_buffer
      - .actual_access:  read_only
        .address_space:  global
        .offset:         8
        .size:           8
        .value_kind:     global_buffer
      - .actual_access:  write_only
        .address_space:  global
        .offset:         16
        .size:           8
        .value_kind:     global_buffer
      - .offset:         24
        .size:           4
        .value_kind:     by_value
      - .offset:         28
        .size:           4
        .value_kind:     by_value
      - .offset:         32
        .size:           4
        .value_kind:     by_value
      - .offset:         40
        .size:           4
        .value_kind:     hidden_block_count_x
      - .offset:         44
        .size:           4
        .value_kind:     hidden_block_count_y
      - .offset:         48
        .size:           4
        .value_kind:     hidden_block_count_z
      - .offset:         52
        .size:           2
        .value_kind:     hidden_group_size_x
      - .offset:         54
        .size:           2
        .value_kind:     hidden_group_size_y
      - .offset:         56
        .size:           2
        .value_kind:     hidden_group_size_z
      - .offset:         58
        .size:           2
        .value_kind:     hidden_remainder_x
      - .offset:         60
        .size:           2
        .value_kind:     hidden_remainder_y
      - .offset:         62
        .size:           2
        .value_kind:     hidden_remainder_z
      - .offset:         80
        .size:           8
        .value_kind:     hidden_global_offset_x
      - .offset:         88
        .size:           8
        .value_kind:     hidden_global_offset_y
      - .offset:         96
        .size:           8
        .value_kind:     hidden_global_offset_z
      - .offset:         104
        .size:           2
        .value_kind:     hidden_grid_dims
    .group_segment_fixed_size: 0
    .kernarg_segment_align: 8
    .kernarg_segment_size: 296
    .language:       OpenCL C
    .language_version:
      - 2
      - 0
    .max_flat_workgroup_size: 1024
    .name:           _ZL13mul_mat_vec_qIN3c108BFloat16ELi32ELi4E10block_q5_0Li2EXadL_ZL17vec_dot_q5_0_q8_1PKvPK10block_q8_1RKiEEEvS4_S4_PT_iii
    .private_segment_fixed_size: 0
    .sgpr_count:     22
    .sgpr_spill_count: 0
    .symbol:         _ZL13mul_mat_vec_qIN3c108BFloat16ELi32ELi4E10block_q5_0Li2EXadL_ZL17vec_dot_q5_0_q8_1PKvPK10block_q8_1RKiEEEvS4_S4_PT_iii.kd
    .uniform_work_group_size: 1
    .uses_dynamic_stack: false
    .vgpr_count:     36
    .vgpr_spill_count: 0
    .wavefront_size: 64
  - .agpr_count:     0
    .args:
      - .actual_access:  read_only
        .address_space:  global
        .offset:         0
        .size:           8
        .value_kind:     global_buffer
      - .actual_access:  read_only
        .address_space:  global
        .offset:         8
        .size:           8
        .value_kind:     global_buffer
      - .actual_access:  write_only
        .address_space:  global
        .offset:         16
        .size:           8
        .value_kind:     global_buffer
      - .offset:         24
        .size:           4
        .value_kind:     by_value
      - .offset:         28
        .size:           4
        .value_kind:     by_value
      - .offset:         32
        .size:           4
        .value_kind:     by_value
      - .offset:         40
        .size:           4
        .value_kind:     hidden_block_count_x
      - .offset:         44
        .size:           4
        .value_kind:     hidden_block_count_y
      - .offset:         48
        .size:           4
        .value_kind:     hidden_block_count_z
      - .offset:         52
        .size:           2
        .value_kind:     hidden_group_size_x
      - .offset:         54
        .size:           2
        .value_kind:     hidden_group_size_y
      - .offset:         56
        .size:           2
        .value_kind:     hidden_group_size_z
      - .offset:         58
        .size:           2
        .value_kind:     hidden_remainder_x
      - .offset:         60
        .size:           2
        .value_kind:     hidden_remainder_y
      - .offset:         62
        .size:           2
        .value_kind:     hidden_remainder_z
      - .offset:         80
        .size:           8
        .value_kind:     hidden_global_offset_x
      - .offset:         88
        .size:           8
        .value_kind:     hidden_global_offset_y
      - .offset:         96
        .size:           8
        .value_kind:     hidden_global_offset_z
      - .offset:         104
        .size:           2
        .value_kind:     hidden_grid_dims
    .group_segment_fixed_size: 0
    .kernarg_segment_align: 8
    .kernarg_segment_size: 296
    .language:       OpenCL C
    .language_version:
      - 2
      - 0
    .max_flat_workgroup_size: 1024
    .name:           _ZL13mul_mat_vec_qIN3c108BFloat16ELi32ELi4E10block_q5_1Li2EXadL_ZL17vec_dot_q5_1_q8_1PKvPK10block_q8_1RKiEEEvS4_S4_PT_iii
    .private_segment_fixed_size: 0
    .sgpr_count:     22
    .sgpr_spill_count: 0
    .symbol:         _ZL13mul_mat_vec_qIN3c108BFloat16ELi32ELi4E10block_q5_1Li2EXadL_ZL17vec_dot_q5_1_q8_1PKvPK10block_q8_1RKiEEEvS4_S4_PT_iii.kd
    .uniform_work_group_size: 1
    .uses_dynamic_stack: false
    .vgpr_count:     34
    .vgpr_spill_count: 0
    .wavefront_size: 64
  - .agpr_count:     0
    .args:
      - .actual_access:  read_only
        .address_space:  global
        .offset:         0
        .size:           8
        .value_kind:     global_buffer
      - .actual_access:  read_only
        .address_space:  global
        .offset:         8
        .size:           8
        .value_kind:     global_buffer
      - .actual_access:  write_only
        .address_space:  global
        .offset:         16
        .size:           8
        .value_kind:     global_buffer
      - .offset:         24
        .size:           4
        .value_kind:     by_value
      - .offset:         28
        .size:           4
        .value_kind:     by_value
      - .offset:         32
        .size:           4
        .value_kind:     by_value
      - .offset:         40
        .size:           4
        .value_kind:     hidden_block_count_x
      - .offset:         44
        .size:           4
        .value_kind:     hidden_block_count_y
      - .offset:         48
        .size:           4
        .value_kind:     hidden_block_count_z
      - .offset:         52
        .size:           2
        .value_kind:     hidden_group_size_x
      - .offset:         54
        .size:           2
        .value_kind:     hidden_group_size_y
      - .offset:         56
        .size:           2
        .value_kind:     hidden_group_size_z
      - .offset:         58
        .size:           2
        .value_kind:     hidden_remainder_x
      - .offset:         60
        .size:           2
        .value_kind:     hidden_remainder_y
      - .offset:         62
        .size:           2
        .value_kind:     hidden_remainder_z
      - .offset:         80
        .size:           8
        .value_kind:     hidden_global_offset_x
      - .offset:         88
        .size:           8
        .value_kind:     hidden_global_offset_y
      - .offset:         96
        .size:           8
        .value_kind:     hidden_global_offset_z
      - .offset:         104
        .size:           2
        .value_kind:     hidden_grid_dims
    .group_segment_fixed_size: 0
    .kernarg_segment_align: 8
    .kernarg_segment_size: 296
    .language:       OpenCL C
    .language_version:
      - 2
      - 0
    .max_flat_workgroup_size: 1024
    .name:           _ZL13mul_mat_vec_qIN3c108BFloat16ELi32ELi8E10block_q8_0Li2EXadL_ZL17vec_dot_q8_0_q8_1PKvPK10block_q8_1RKiEEEvS4_S4_PT_iii
    .private_segment_fixed_size: 0
    .sgpr_count:     20
    .sgpr_spill_count: 0
    .symbol:         _ZL13mul_mat_vec_qIN3c108BFloat16ELi32ELi8E10block_q8_0Li2EXadL_ZL17vec_dot_q8_0_q8_1PKvPK10block_q8_1RKiEEEvS4_S4_PT_iii.kd
    .uniform_work_group_size: 1
    .uses_dynamic_stack: false
    .vgpr_count:     20
    .vgpr_spill_count: 0
    .wavefront_size: 64
  - .agpr_count:     0
    .args:
      - .actual_access:  read_only
        .address_space:  global
        .offset:         0
        .size:           8
        .value_kind:     global_buffer
      - .actual_access:  read_only
        .address_space:  global
        .offset:         8
        .size:           8
        .value_kind:     global_buffer
      - .actual_access:  write_only
        .address_space:  global
        .offset:         16
        .size:           8
        .value_kind:     global_buffer
      - .offset:         24
        .size:           4
        .value_kind:     by_value
      - .offset:         28
        .size:           4
        .value_kind:     by_value
      - .offset:         32
        .size:           4
        .value_kind:     by_value
      - .offset:         40
        .size:           4
        .value_kind:     hidden_block_count_x
      - .offset:         44
        .size:           4
        .value_kind:     hidden_block_count_y
      - .offset:         48
        .size:           4
        .value_kind:     hidden_block_count_z
      - .offset:         52
        .size:           2
        .value_kind:     hidden_group_size_x
      - .offset:         54
        .size:           2
        .value_kind:     hidden_group_size_y
      - .offset:         56
        .size:           2
        .value_kind:     hidden_group_size_z
      - .offset:         58
        .size:           2
        .value_kind:     hidden_remainder_x
      - .offset:         60
        .size:           2
        .value_kind:     hidden_remainder_y
      - .offset:         62
        .size:           2
        .value_kind:     hidden_remainder_z
      - .offset:         80
        .size:           8
        .value_kind:     hidden_global_offset_x
      - .offset:         88
        .size:           8
        .value_kind:     hidden_global_offset_y
      - .offset:         96
        .size:           8
        .value_kind:     hidden_global_offset_z
      - .offset:         104
        .size:           2
        .value_kind:     hidden_grid_dims
    .group_segment_fixed_size: 0
    .kernarg_segment_align: 8
    .kernarg_segment_size: 296
    .language:       OpenCL C
    .language_version:
      - 2
      - 0
    .max_flat_workgroup_size: 1024
    .name:           _ZL13mul_mat_vec_qIN3c108BFloat16ELi256ELi16E10block_q2_KLi1EXadL_ZL17vec_dot_q2_K_q8_1PKvPK10block_q8_1RKiEEEvS4_S4_PT_iii
    .private_segment_fixed_size: 0
    .sgpr_count:     20
    .sgpr_spill_count: 0
    .symbol:         _ZL13mul_mat_vec_qIN3c108BFloat16ELi256ELi16E10block_q2_KLi1EXadL_ZL17vec_dot_q2_K_q8_1PKvPK10block_q8_1RKiEEEvS4_S4_PT_iii.kd
    .uniform_work_group_size: 1
    .uses_dynamic_stack: false
    .vgpr_count:     46
    .vgpr_spill_count: 0
    .wavefront_size: 64
  - .agpr_count:     0
    .args:
      - .actual_access:  read_only
        .address_space:  global
        .offset:         0
        .size:           8
        .value_kind:     global_buffer
      - .actual_access:  read_only
        .address_space:  global
        .offset:         8
        .size:           8
        .value_kind:     global_buffer
      - .actual_access:  write_only
        .address_space:  global
        .offset:         16
        .size:           8
        .value_kind:     global_buffer
      - .offset:         24
        .size:           4
        .value_kind:     by_value
      - .offset:         28
        .size:           4
        .value_kind:     by_value
      - .offset:         32
        .size:           4
        .value_kind:     by_value
      - .offset:         40
        .size:           4
        .value_kind:     hidden_block_count_x
      - .offset:         44
        .size:           4
        .value_kind:     hidden_block_count_y
      - .offset:         48
        .size:           4
        .value_kind:     hidden_block_count_z
      - .offset:         52
        .size:           2
        .value_kind:     hidden_group_size_x
      - .offset:         54
        .size:           2
        .value_kind:     hidden_group_size_y
      - .offset:         56
        .size:           2
        .value_kind:     hidden_group_size_z
      - .offset:         58
        .size:           2
        .value_kind:     hidden_remainder_x
      - .offset:         60
        .size:           2
        .value_kind:     hidden_remainder_y
      - .offset:         62
        .size:           2
        .value_kind:     hidden_remainder_z
      - .offset:         80
        .size:           8
        .value_kind:     hidden_global_offset_x
      - .offset:         88
        .size:           8
        .value_kind:     hidden_global_offset_y
      - .offset:         96
        .size:           8
        .value_kind:     hidden_global_offset_z
      - .offset:         104
        .size:           2
        .value_kind:     hidden_grid_dims
    .group_segment_fixed_size: 0
    .kernarg_segment_align: 8
    .kernarg_segment_size: 296
    .language:       OpenCL C
    .language_version:
      - 2
      - 0
    .max_flat_workgroup_size: 1024
    .name:           _ZL13mul_mat_vec_qIN3c108BFloat16ELi256ELi16E10block_q3_KLi1EXadL_ZL17vec_dot_q3_K_q8_1PKvPK10block_q8_1RKiEEEvS4_S4_PT_iii
    .private_segment_fixed_size: 0
    .sgpr_count:     20
    .sgpr_spill_count: 0
    .symbol:         _ZL13mul_mat_vec_qIN3c108BFloat16ELi256ELi16E10block_q3_KLi1EXadL_ZL17vec_dot_q3_K_q8_1PKvPK10block_q8_1RKiEEEvS4_S4_PT_iii.kd
    .uniform_work_group_size: 1
    .uses_dynamic_stack: false
    .vgpr_count:     64
    .vgpr_spill_count: 0
    .wavefront_size: 64
  - .agpr_count:     0
    .args:
      - .actual_access:  read_only
        .address_space:  global
        .offset:         0
        .size:           8
        .value_kind:     global_buffer
      - .actual_access:  read_only
        .address_space:  global
        .offset:         8
        .size:           8
        .value_kind:     global_buffer
      - .actual_access:  write_only
        .address_space:  global
        .offset:         16
        .size:           8
        .value_kind:     global_buffer
      - .offset:         24
        .size:           4
        .value_kind:     by_value
      - .offset:         28
        .size:           4
        .value_kind:     by_value
      - .offset:         32
        .size:           4
        .value_kind:     by_value
      - .offset:         40
        .size:           4
        .value_kind:     hidden_block_count_x
      - .offset:         44
        .size:           4
        .value_kind:     hidden_block_count_y
      - .offset:         48
        .size:           4
        .value_kind:     hidden_block_count_z
      - .offset:         52
        .size:           2
        .value_kind:     hidden_group_size_x
      - .offset:         54
        .size:           2
        .value_kind:     hidden_group_size_y
      - .offset:         56
        .size:           2
        .value_kind:     hidden_group_size_z
      - .offset:         58
        .size:           2
        .value_kind:     hidden_remainder_x
      - .offset:         60
        .size:           2
        .value_kind:     hidden_remainder_y
      - .offset:         62
        .size:           2
        .value_kind:     hidden_remainder_z
      - .offset:         80
        .size:           8
        .value_kind:     hidden_global_offset_x
      - .offset:         88
        .size:           8
        .value_kind:     hidden_global_offset_y
      - .offset:         96
        .size:           8
        .value_kind:     hidden_global_offset_z
      - .offset:         104
        .size:           2
        .value_kind:     hidden_grid_dims
    .group_segment_fixed_size: 0
    .kernarg_segment_align: 8
    .kernarg_segment_size: 296
    .language:       OpenCL C
    .language_version:
      - 2
      - 0
    .max_flat_workgroup_size: 1024
    .name:           _ZL13mul_mat_vec_qIN3c108BFloat16ELi256ELi32E10block_q4_KLi2EXadL_ZL17vec_dot_q4_K_q8_1PKvPK10block_q8_1RKiEEEvS4_S4_PT_iii
    .private_segment_fixed_size: 0
    .sgpr_count:     20
    .sgpr_spill_count: 0
    .symbol:         _ZL13mul_mat_vec_qIN3c108BFloat16ELi256ELi32E10block_q4_KLi2EXadL_ZL17vec_dot_q4_K_q8_1PKvPK10block_q8_1RKiEEEvS4_S4_PT_iii.kd
    .uniform_work_group_size: 1
    .uses_dynamic_stack: false
    .vgpr_count:     36
    .vgpr_spill_count: 0
    .wavefront_size: 64
  - .agpr_count:     0
    .args:
      - .actual_access:  read_only
        .address_space:  global
        .offset:         0
        .size:           8
        .value_kind:     global_buffer
      - .actual_access:  read_only
        .address_space:  global
        .offset:         8
        .size:           8
        .value_kind:     global_buffer
      - .actual_access:  write_only
        .address_space:  global
        .offset:         16
        .size:           8
        .value_kind:     global_buffer
      - .offset:         24
        .size:           4
        .value_kind:     by_value
      - .offset:         28
        .size:           4
        .value_kind:     by_value
      - .offset:         32
        .size:           4
        .value_kind:     by_value
      - .offset:         40
        .size:           4
        .value_kind:     hidden_block_count_x
      - .offset:         44
        .size:           4
        .value_kind:     hidden_block_count_y
      - .offset:         48
        .size:           4
        .value_kind:     hidden_block_count_z
      - .offset:         52
        .size:           2
        .value_kind:     hidden_group_size_x
      - .offset:         54
        .size:           2
        .value_kind:     hidden_group_size_y
      - .offset:         56
        .size:           2
        .value_kind:     hidden_group_size_z
      - .offset:         58
        .size:           2
        .value_kind:     hidden_remainder_x
      - .offset:         60
        .size:           2
        .value_kind:     hidden_remainder_y
      - .offset:         62
        .size:           2
        .value_kind:     hidden_remainder_z
      - .offset:         80
        .size:           8
        .value_kind:     hidden_global_offset_x
      - .offset:         88
        .size:           8
        .value_kind:     hidden_global_offset_y
      - .offset:         96
        .size:           8
        .value_kind:     hidden_global_offset_z
      - .offset:         104
        .size:           2
        .value_kind:     hidden_grid_dims
    .group_segment_fixed_size: 0
    .kernarg_segment_align: 8
    .kernarg_segment_size: 296
    .language:       OpenCL C
    .language_version:
      - 2
      - 0
    .max_flat_workgroup_size: 1024
    .name:           _ZL13mul_mat_vec_qIN3c108BFloat16ELi256ELi32E10block_q5_KLi2EXadL_ZL17vec_dot_q5_K_q8_1PKvPK10block_q8_1RKiEEEvS4_S4_PT_iii
    .private_segment_fixed_size: 0
    .sgpr_count:     20
    .sgpr_spill_count: 0
    .symbol:         _ZL13mul_mat_vec_qIN3c108BFloat16ELi256ELi32E10block_q5_KLi2EXadL_ZL17vec_dot_q5_K_q8_1PKvPK10block_q8_1RKiEEEvS4_S4_PT_iii.kd
    .uniform_work_group_size: 1
    .uses_dynamic_stack: false
    .vgpr_count:     38
    .vgpr_spill_count: 0
    .wavefront_size: 64
  - .agpr_count:     0
    .args:
      - .actual_access:  read_only
        .address_space:  global
        .offset:         0
        .size:           8
        .value_kind:     global_buffer
      - .actual_access:  read_only
        .address_space:  global
        .offset:         8
        .size:           8
        .value_kind:     global_buffer
      - .actual_access:  write_only
        .address_space:  global
        .offset:         16
        .size:           8
        .value_kind:     global_buffer
      - .offset:         24
        .size:           4
        .value_kind:     by_value
      - .offset:         28
        .size:           4
        .value_kind:     by_value
      - .offset:         32
        .size:           4
        .value_kind:     by_value
      - .offset:         40
        .size:           4
        .value_kind:     hidden_block_count_x
      - .offset:         44
        .size:           4
        .value_kind:     hidden_block_count_y
      - .offset:         48
        .size:           4
        .value_kind:     hidden_block_count_z
      - .offset:         52
        .size:           2
        .value_kind:     hidden_group_size_x
      - .offset:         54
        .size:           2
        .value_kind:     hidden_group_size_y
      - .offset:         56
        .size:           2
        .value_kind:     hidden_group_size_z
      - .offset:         58
        .size:           2
        .value_kind:     hidden_remainder_x
      - .offset:         60
        .size:           2
        .value_kind:     hidden_remainder_y
      - .offset:         62
        .size:           2
        .value_kind:     hidden_remainder_z
      - .offset:         80
        .size:           8
        .value_kind:     hidden_global_offset_x
      - .offset:         88
        .size:           8
        .value_kind:     hidden_global_offset_y
      - .offset:         96
        .size:           8
        .value_kind:     hidden_global_offset_z
      - .offset:         104
        .size:           2
        .value_kind:     hidden_grid_dims
    .group_segment_fixed_size: 0
    .kernarg_segment_align: 8
    .kernarg_segment_size: 296
    .language:       OpenCL C
    .language_version:
      - 2
      - 0
    .max_flat_workgroup_size: 1024
    .name:           _ZL13mul_mat_vec_qIN3c108BFloat16ELi256ELi32E10block_q6_KLi1EXadL_ZL17vec_dot_q6_K_q8_1PKvPK10block_q8_1RKiEEEvS4_S4_PT_iii
    .private_segment_fixed_size: 0
    .sgpr_count:     20
    .sgpr_spill_count: 0
    .symbol:         _ZL13mul_mat_vec_qIN3c108BFloat16ELi256ELi32E10block_q6_KLi1EXadL_ZL17vec_dot_q6_K_q8_1PKvPK10block_q8_1RKiEEEvS4_S4_PT_iii.kd
    .uniform_work_group_size: 1
    .uses_dynamic_stack: false
    .vgpr_count:     33
    .vgpr_spill_count: 0
    .wavefront_size: 64
  - .agpr_count:     0
    .args:
      - .actual_access:  read_only
        .address_space:  global
        .offset:         0
        .size:           8
        .value_kind:     global_buffer
      - .actual_access:  read_only
        .address_space:  global
        .offset:         8
        .size:           8
        .value_kind:     global_buffer
      - .actual_access:  write_only
        .address_space:  global
        .offset:         16
        .size:           8
        .value_kind:     global_buffer
      - .offset:         24
        .size:           4
        .value_kind:     by_value
      - .offset:         28
        .size:           4
        .value_kind:     by_value
      - .offset:         32
        .size:           4
        .value_kind:     by_value
      - .offset:         40
        .size:           4
        .value_kind:     hidden_block_count_x
      - .offset:         44
        .size:           4
        .value_kind:     hidden_block_count_y
      - .offset:         48
        .size:           4
        .value_kind:     hidden_block_count_z
      - .offset:         52
        .size:           2
        .value_kind:     hidden_group_size_x
      - .offset:         54
        .size:           2
        .value_kind:     hidden_group_size_y
      - .offset:         56
        .size:           2
        .value_kind:     hidden_group_size_z
      - .offset:         58
        .size:           2
        .value_kind:     hidden_remainder_x
      - .offset:         60
        .size:           2
        .value_kind:     hidden_remainder_y
      - .offset:         62
        .size:           2
        .value_kind:     hidden_remainder_z
      - .offset:         80
        .size:           8
        .value_kind:     hidden_global_offset_x
      - .offset:         88
        .size:           8
        .value_kind:     hidden_global_offset_y
      - .offset:         96
        .size:           8
        .value_kind:     hidden_global_offset_z
      - .offset:         104
        .size:           2
        .value_kind:     hidden_grid_dims
    .group_segment_fixed_size: 0
    .kernarg_segment_align: 8
    .kernarg_segment_size: 296
    .language:       OpenCL C
    .language_version:
      - 2
      - 0
    .max_flat_workgroup_size: 1024
    .name:           _ZL13mul_mat_vec_qIN3c108BFloat16ELi256ELi8E13block_iq2_xxsLi1EXadL_ZL20vec_dot_iq2_xxs_q8_1PKvPK10block_q8_1RKiEEEvS4_S4_PT_iii
    .private_segment_fixed_size: 0
    .sgpr_count:     20
    .sgpr_spill_count: 0
    .symbol:         _ZL13mul_mat_vec_qIN3c108BFloat16ELi256ELi8E13block_iq2_xxsLi1EXadL_ZL20vec_dot_iq2_xxs_q8_1PKvPK10block_q8_1RKiEEEvS4_S4_PT_iii.kd
    .uniform_work_group_size: 1
    .uses_dynamic_stack: false
    .vgpr_count:     30
    .vgpr_spill_count: 0
    .wavefront_size: 64
  - .agpr_count:     0
    .args:
      - .actual_access:  read_only
        .address_space:  global
        .offset:         0
        .size:           8
        .value_kind:     global_buffer
      - .actual_access:  read_only
        .address_space:  global
        .offset:         8
        .size:           8
        .value_kind:     global_buffer
      - .actual_access:  write_only
        .address_space:  global
        .offset:         16
        .size:           8
        .value_kind:     global_buffer
      - .offset:         24
        .size:           4
        .value_kind:     by_value
      - .offset:         28
        .size:           4
        .value_kind:     by_value
      - .offset:         32
        .size:           4
        .value_kind:     by_value
      - .offset:         40
        .size:           4
        .value_kind:     hidden_block_count_x
      - .offset:         44
        .size:           4
        .value_kind:     hidden_block_count_y
      - .offset:         48
        .size:           4
        .value_kind:     hidden_block_count_z
      - .offset:         52
        .size:           2
        .value_kind:     hidden_group_size_x
      - .offset:         54
        .size:           2
        .value_kind:     hidden_group_size_y
      - .offset:         56
        .size:           2
        .value_kind:     hidden_group_size_z
      - .offset:         58
        .size:           2
        .value_kind:     hidden_remainder_x
      - .offset:         60
        .size:           2
        .value_kind:     hidden_remainder_y
      - .offset:         62
        .size:           2
        .value_kind:     hidden_remainder_z
      - .offset:         80
        .size:           8
        .value_kind:     hidden_global_offset_x
      - .offset:         88
        .size:           8
        .value_kind:     hidden_global_offset_y
      - .offset:         96
        .size:           8
        .value_kind:     hidden_global_offset_z
      - .offset:         104
        .size:           2
        .value_kind:     hidden_grid_dims
    .group_segment_fixed_size: 0
    .kernarg_segment_align: 8
    .kernarg_segment_size: 296
    .language:       OpenCL C
    .language_version:
      - 2
      - 0
    .max_flat_workgroup_size: 1024
    .name:           _ZL13mul_mat_vec_qIN3c108BFloat16ELi256ELi8E12block_iq2_xsLi1EXadL_ZL19vec_dot_iq2_xs_q8_1PKvPK10block_q8_1RKiEEEvS4_S4_PT_iii
    .private_segment_fixed_size: 0
    .sgpr_count:     20
    .sgpr_spill_count: 0
    .symbol:         _ZL13mul_mat_vec_qIN3c108BFloat16ELi256ELi8E12block_iq2_xsLi1EXadL_ZL19vec_dot_iq2_xs_q8_1PKvPK10block_q8_1RKiEEEvS4_S4_PT_iii.kd
    .uniform_work_group_size: 1
    .uses_dynamic_stack: false
    .vgpr_count:     38
    .vgpr_spill_count: 0
    .wavefront_size: 64
  - .agpr_count:     0
    .args:
      - .actual_access:  read_only
        .address_space:  global
        .offset:         0
        .size:           8
        .value_kind:     global_buffer
      - .actual_access:  read_only
        .address_space:  global
        .offset:         8
        .size:           8
        .value_kind:     global_buffer
      - .actual_access:  write_only
        .address_space:  global
        .offset:         16
        .size:           8
        .value_kind:     global_buffer
      - .offset:         24
        .size:           4
        .value_kind:     by_value
      - .offset:         28
        .size:           4
        .value_kind:     by_value
      - .offset:         32
        .size:           4
        .value_kind:     by_value
      - .offset:         40
        .size:           4
        .value_kind:     hidden_block_count_x
      - .offset:         44
        .size:           4
        .value_kind:     hidden_block_count_y
      - .offset:         48
        .size:           4
        .value_kind:     hidden_block_count_z
      - .offset:         52
        .size:           2
        .value_kind:     hidden_group_size_x
      - .offset:         54
        .size:           2
        .value_kind:     hidden_group_size_y
      - .offset:         56
        .size:           2
        .value_kind:     hidden_group_size_z
      - .offset:         58
        .size:           2
        .value_kind:     hidden_remainder_x
      - .offset:         60
        .size:           2
        .value_kind:     hidden_remainder_y
      - .offset:         62
        .size:           2
        .value_kind:     hidden_remainder_z
      - .offset:         80
        .size:           8
        .value_kind:     hidden_global_offset_x
      - .offset:         88
        .size:           8
        .value_kind:     hidden_global_offset_y
      - .offset:         96
        .size:           8
        .value_kind:     hidden_global_offset_z
      - .offset:         104
        .size:           2
        .value_kind:     hidden_grid_dims
    .group_segment_fixed_size: 0
    .kernarg_segment_align: 8
    .kernarg_segment_size: 296
    .language:       OpenCL C
    .language_version:
      - 2
      - 0
    .max_flat_workgroup_size: 1024
    .name:           _ZL13mul_mat_vec_qIN3c108BFloat16ELi256ELi8E13block_iq3_xxsLi1EXadL_ZL20vec_dot_iq3_xxs_q8_1PKvPK10block_q8_1RKiEEEvS4_S4_PT_iii
    .private_segment_fixed_size: 0
    .sgpr_count:     22
    .sgpr_spill_count: 0
    .symbol:         _ZL13mul_mat_vec_qIN3c108BFloat16ELi256ELi8E13block_iq3_xxsLi1EXadL_ZL20vec_dot_iq3_xxs_q8_1PKvPK10block_q8_1RKiEEEvS4_S4_PT_iii.kd
    .uniform_work_group_size: 1
    .uses_dynamic_stack: false
    .vgpr_count:     59
    .vgpr_spill_count: 0
    .wavefront_size: 64
  - .agpr_count:     0
    .args:
      - .actual_access:  read_only
        .address_space:  global
        .offset:         0
        .size:           8
        .value_kind:     global_buffer
      - .actual_access:  read_only
        .address_space:  global
        .offset:         8
        .size:           8
        .value_kind:     global_buffer
      - .actual_access:  write_only
        .address_space:  global
        .offset:         16
        .size:           8
        .value_kind:     global_buffer
      - .offset:         24
        .size:           4
        .value_kind:     by_value
      - .offset:         28
        .size:           4
        .value_kind:     by_value
      - .offset:         32
        .size:           4
        .value_kind:     by_value
      - .offset:         40
        .size:           4
        .value_kind:     hidden_block_count_x
      - .offset:         44
        .size:           4
        .value_kind:     hidden_block_count_y
      - .offset:         48
        .size:           4
        .value_kind:     hidden_block_count_z
      - .offset:         52
        .size:           2
        .value_kind:     hidden_group_size_x
      - .offset:         54
        .size:           2
        .value_kind:     hidden_group_size_y
      - .offset:         56
        .size:           2
        .value_kind:     hidden_group_size_z
      - .offset:         58
        .size:           2
        .value_kind:     hidden_remainder_x
      - .offset:         60
        .size:           2
        .value_kind:     hidden_remainder_y
      - .offset:         62
        .size:           2
        .value_kind:     hidden_remainder_z
      - .offset:         80
        .size:           8
        .value_kind:     hidden_global_offset_x
      - .offset:         88
        .size:           8
        .value_kind:     hidden_global_offset_y
      - .offset:         96
        .size:           8
        .value_kind:     hidden_global_offset_z
      - .offset:         104
        .size:           2
        .value_kind:     hidden_grid_dims
    .group_segment_fixed_size: 0
    .kernarg_segment_align: 8
    .kernarg_segment_size: 296
    .language:       OpenCL C
    .language_version:
      - 2
      - 0
    .max_flat_workgroup_size: 1024
    .name:           _ZL13mul_mat_vec_qIN3c108BFloat16ELi256ELi8E11block_iq1_sLi1EXadL_ZL18vec_dot_iq1_s_q8_1PKvPK10block_q8_1RKiEEEvS4_S4_PT_iii
    .private_segment_fixed_size: 0
    .sgpr_count:     22
    .sgpr_spill_count: 0
    .symbol:         _ZL13mul_mat_vec_qIN3c108BFloat16ELi256ELi8E11block_iq1_sLi1EXadL_ZL18vec_dot_iq1_s_q8_1PKvPK10block_q8_1RKiEEEvS4_S4_PT_iii.kd
    .uniform_work_group_size: 1
    .uses_dynamic_stack: false
    .vgpr_count:     32
    .vgpr_spill_count: 0
    .wavefront_size: 64
  - .agpr_count:     0
    .args:
      - .actual_access:  read_only
        .address_space:  global
        .offset:         0
        .size:           8
        .value_kind:     global_buffer
      - .actual_access:  read_only
        .address_space:  global
        .offset:         8
        .size:           8
        .value_kind:     global_buffer
      - .actual_access:  write_only
        .address_space:  global
        .offset:         16
        .size:           8
        .value_kind:     global_buffer
      - .offset:         24
        .size:           4
        .value_kind:     by_value
      - .offset:         28
        .size:           4
        .value_kind:     by_value
      - .offset:         32
        .size:           4
        .value_kind:     by_value
      - .offset:         40
        .size:           4
        .value_kind:     hidden_block_count_x
      - .offset:         44
        .size:           4
        .value_kind:     hidden_block_count_y
      - .offset:         48
        .size:           4
        .value_kind:     hidden_block_count_z
      - .offset:         52
        .size:           2
        .value_kind:     hidden_group_size_x
      - .offset:         54
        .size:           2
        .value_kind:     hidden_group_size_y
      - .offset:         56
        .size:           2
        .value_kind:     hidden_group_size_z
      - .offset:         58
        .size:           2
        .value_kind:     hidden_remainder_x
      - .offset:         60
        .size:           2
        .value_kind:     hidden_remainder_y
      - .offset:         62
        .size:           2
        .value_kind:     hidden_remainder_z
      - .offset:         80
        .size:           8
        .value_kind:     hidden_global_offset_x
      - .offset:         88
        .size:           8
        .value_kind:     hidden_global_offset_y
      - .offset:         96
        .size:           8
        .value_kind:     hidden_global_offset_z
      - .offset:         104
        .size:           2
        .value_kind:     hidden_grid_dims
    .group_segment_fixed_size: 0
    .kernarg_segment_align: 8
    .kernarg_segment_size: 296
    .language:       OpenCL C
    .language_version:
      - 2
      - 0
    .max_flat_workgroup_size: 1024
    .name:           _ZL13mul_mat_vec_qIN3c108BFloat16ELi32ELi4E12block_iq4_nlLi2EXadL_ZL19vec_dot_iq4_nl_q8_1PKvPK10block_q8_1RKiEEEvS4_S4_PT_iii
    .private_segment_fixed_size: 0
    .sgpr_count:     22
    .sgpr_spill_count: 0
    .symbol:         _ZL13mul_mat_vec_qIN3c108BFloat16ELi32ELi4E12block_iq4_nlLi2EXadL_ZL19vec_dot_iq4_nl_q8_1PKvPK10block_q8_1RKiEEEvS4_S4_PT_iii.kd
    .uniform_work_group_size: 1
    .uses_dynamic_stack: false
    .vgpr_count:     45
    .vgpr_spill_count: 0
    .wavefront_size: 64
  - .agpr_count:     0
    .args:
      - .actual_access:  read_only
        .address_space:  global
        .offset:         0
        .size:           8
        .value_kind:     global_buffer
      - .actual_access:  read_only
        .address_space:  global
        .offset:         8
        .size:           8
        .value_kind:     global_buffer
      - .actual_access:  write_only
        .address_space:  global
        .offset:         16
        .size:           8
        .value_kind:     global_buffer
      - .offset:         24
        .size:           4
        .value_kind:     by_value
      - .offset:         28
        .size:           4
        .value_kind:     by_value
      - .offset:         32
        .size:           4
        .value_kind:     by_value
      - .offset:         40
        .size:           4
        .value_kind:     hidden_block_count_x
      - .offset:         44
        .size:           4
        .value_kind:     hidden_block_count_y
      - .offset:         48
        .size:           4
        .value_kind:     hidden_block_count_z
      - .offset:         52
        .size:           2
        .value_kind:     hidden_group_size_x
      - .offset:         54
        .size:           2
        .value_kind:     hidden_group_size_y
      - .offset:         56
        .size:           2
        .value_kind:     hidden_group_size_z
      - .offset:         58
        .size:           2
        .value_kind:     hidden_remainder_x
      - .offset:         60
        .size:           2
        .value_kind:     hidden_remainder_y
      - .offset:         62
        .size:           2
        .value_kind:     hidden_remainder_z
      - .offset:         80
        .size:           8
        .value_kind:     hidden_global_offset_x
      - .offset:         88
        .size:           8
        .value_kind:     hidden_global_offset_y
      - .offset:         96
        .size:           8
        .value_kind:     hidden_global_offset_z
      - .offset:         104
        .size:           2
        .value_kind:     hidden_grid_dims
    .group_segment_fixed_size: 0
    .kernarg_segment_align: 8
    .kernarg_segment_size: 296
    .language:       OpenCL C
    .language_version:
      - 2
      - 0
    .max_flat_workgroup_size: 1024
    .name:           _ZL13mul_mat_vec_qIN3c108BFloat16ELi256ELi8E11block_iq3_sLi1EXadL_ZL18vec_dot_iq3_s_q8_1PKvPK10block_q8_1RKiEEEvS4_S4_PT_iii
    .private_segment_fixed_size: 0
    .sgpr_count:     23
    .sgpr_spill_count: 0
    .symbol:         _ZL13mul_mat_vec_qIN3c108BFloat16ELi256ELi8E11block_iq3_sLi1EXadL_ZL18vec_dot_iq3_s_q8_1PKvPK10block_q8_1RKiEEEvS4_S4_PT_iii.kd
    .uniform_work_group_size: 1
    .uses_dynamic_stack: false
    .vgpr_count:     46
    .vgpr_spill_count: 0
    .wavefront_size: 64
  - .agpr_count:     0
    .args:
      - .actual_access:  read_only
        .address_space:  global
        .offset:         0
        .size:           8
        .value_kind:     global_buffer
      - .actual_access:  read_only
        .address_space:  global
        .offset:         8
        .size:           8
        .value_kind:     global_buffer
      - .actual_access:  write_only
        .address_space:  global
        .offset:         16
        .size:           8
        .value_kind:     global_buffer
      - .offset:         24
        .size:           4
        .value_kind:     by_value
      - .offset:         28
        .size:           4
        .value_kind:     by_value
      - .offset:         32
        .size:           4
        .value_kind:     by_value
      - .offset:         40
        .size:           4
        .value_kind:     hidden_block_count_x
      - .offset:         44
        .size:           4
        .value_kind:     hidden_block_count_y
      - .offset:         48
        .size:           4
        .value_kind:     hidden_block_count_z
      - .offset:         52
        .size:           2
        .value_kind:     hidden_group_size_x
      - .offset:         54
        .size:           2
        .value_kind:     hidden_group_size_y
      - .offset:         56
        .size:           2
        .value_kind:     hidden_group_size_z
      - .offset:         58
        .size:           2
        .value_kind:     hidden_remainder_x
      - .offset:         60
        .size:           2
        .value_kind:     hidden_remainder_y
      - .offset:         62
        .size:           2
        .value_kind:     hidden_remainder_z
      - .offset:         80
        .size:           8
        .value_kind:     hidden_global_offset_x
      - .offset:         88
        .size:           8
        .value_kind:     hidden_global_offset_y
      - .offset:         96
        .size:           8
        .value_kind:     hidden_global_offset_z
      - .offset:         104
        .size:           2
        .value_kind:     hidden_grid_dims
    .group_segment_fixed_size: 0
    .kernarg_segment_align: 8
    .kernarg_segment_size: 296
    .language:       OpenCL C
    .language_version:
      - 2
      - 0
    .max_flat_workgroup_size: 1024
    .name:           _ZL13mul_mat_vec_qIN3c108BFloat16ELi256ELi8E11block_iq2_sLi1EXadL_ZL18vec_dot_iq2_s_q8_1PKvPK10block_q8_1RKiEEEvS4_S4_PT_iii
    .private_segment_fixed_size: 0
    .sgpr_count:     22
    .sgpr_spill_count: 0
    .symbol:         _ZL13mul_mat_vec_qIN3c108BFloat16ELi256ELi8E11block_iq2_sLi1EXadL_ZL18vec_dot_iq2_s_q8_1PKvPK10block_q8_1RKiEEEvS4_S4_PT_iii.kd
    .uniform_work_group_size: 1
    .uses_dynamic_stack: false
    .vgpr_count:     63
    .vgpr_spill_count: 0
    .wavefront_size: 64
  - .agpr_count:     0
    .args:
      - .actual_access:  read_only
        .address_space:  global
        .offset:         0
        .size:           8
        .value_kind:     global_buffer
      - .actual_access:  read_only
        .address_space:  global
        .offset:         8
        .size:           8
        .value_kind:     global_buffer
      - .actual_access:  write_only
        .address_space:  global
        .offset:         16
        .size:           8
        .value_kind:     global_buffer
      - .offset:         24
        .size:           4
        .value_kind:     by_value
      - .offset:         28
        .size:           4
        .value_kind:     by_value
      - .offset:         32
        .size:           4
        .value_kind:     by_value
      - .offset:         40
        .size:           4
        .value_kind:     hidden_block_count_x
      - .offset:         44
        .size:           4
        .value_kind:     hidden_block_count_y
      - .offset:         48
        .size:           4
        .value_kind:     hidden_block_count_z
      - .offset:         52
        .size:           2
        .value_kind:     hidden_group_size_x
      - .offset:         54
        .size:           2
        .value_kind:     hidden_group_size_y
      - .offset:         56
        .size:           2
        .value_kind:     hidden_group_size_z
      - .offset:         58
        .size:           2
        .value_kind:     hidden_remainder_x
      - .offset:         60
        .size:           2
        .value_kind:     hidden_remainder_y
      - .offset:         62
        .size:           2
        .value_kind:     hidden_remainder_z
      - .offset:         80
        .size:           8
        .value_kind:     hidden_global_offset_x
      - .offset:         88
        .size:           8
        .value_kind:     hidden_global_offset_y
      - .offset:         96
        .size:           8
        .value_kind:     hidden_global_offset_z
      - .offset:         104
        .size:           2
        .value_kind:     hidden_grid_dims
    .group_segment_fixed_size: 0
    .kernarg_segment_align: 8
    .kernarg_segment_size: 296
    .language:       OpenCL C
    .language_version:
      - 2
      - 0
    .max_flat_workgroup_size: 1024
    .name:           _ZL13mul_mat_vec_qIN3c108BFloat16ELi256ELi8E12block_iq4_xsLi1EXadL_ZL19vec_dot_iq4_xs_q8_1PKvPK10block_q8_1RKiEEEvS4_S4_PT_iii
    .private_segment_fixed_size: 0
    .sgpr_count:     20
    .sgpr_spill_count: 0
    .symbol:         _ZL13mul_mat_vec_qIN3c108BFloat16ELi256ELi8E12block_iq4_xsLi1EXadL_ZL19vec_dot_iq4_xs_q8_1PKvPK10block_q8_1RKiEEEvS4_S4_PT_iii.kd
    .uniform_work_group_size: 1
    .uses_dynamic_stack: false
    .vgpr_count:     64
    .vgpr_spill_count: 0
    .wavefront_size: 64
  - .agpr_count:     0
    .args:
      - .actual_access:  read_only
        .address_space:  global
        .offset:         0
        .size:           8
        .value_kind:     global_buffer
      - .actual_access:  read_only
        .address_space:  global
        .offset:         8
        .size:           8
        .value_kind:     global_buffer
      - .actual_access:  write_only
        .address_space:  global
        .offset:         16
        .size:           8
        .value_kind:     global_buffer
      - .offset:         24
        .size:           4
        .value_kind:     by_value
      - .offset:         28
        .size:           4
        .value_kind:     by_value
      - .offset:         32
        .size:           4
        .value_kind:     by_value
      - .offset:         40
        .size:           4
        .value_kind:     hidden_block_count_x
      - .offset:         44
        .size:           4
        .value_kind:     hidden_block_count_y
      - .offset:         48
        .size:           4
        .value_kind:     hidden_block_count_z
      - .offset:         52
        .size:           2
        .value_kind:     hidden_group_size_x
      - .offset:         54
        .size:           2
        .value_kind:     hidden_group_size_y
      - .offset:         56
        .size:           2
        .value_kind:     hidden_group_size_z
      - .offset:         58
        .size:           2
        .value_kind:     hidden_remainder_x
      - .offset:         60
        .size:           2
        .value_kind:     hidden_remainder_y
      - .offset:         62
        .size:           2
        .value_kind:     hidden_remainder_z
      - .offset:         80
        .size:           8
        .value_kind:     hidden_global_offset_x
      - .offset:         88
        .size:           8
        .value_kind:     hidden_global_offset_y
      - .offset:         96
        .size:           8
        .value_kind:     hidden_global_offset_z
      - .offset:         104
        .size:           2
        .value_kind:     hidden_grid_dims
    .group_segment_fixed_size: 0
    .kernarg_segment_align: 8
    .kernarg_segment_size: 296
    .language:       OpenCL C
    .language_version:
      - 2
      - 0
    .max_flat_workgroup_size: 1024
    .name:           _ZL13mul_mat_vec_qIN3c108BFloat16ELi256ELi8E11block_iq1_mLi1EXadL_ZL18vec_dot_iq1_m_q8_1PKvPK10block_q8_1RKiEEEvS4_S4_PT_iii
    .private_segment_fixed_size: 0
    .sgpr_count:     26
    .sgpr_spill_count: 0
    .symbol:         _ZL13mul_mat_vec_qIN3c108BFloat16ELi256ELi8E11block_iq1_mLi1EXadL_ZL18vec_dot_iq1_m_q8_1PKvPK10block_q8_1RKiEEEvS4_S4_PT_iii.kd
    .uniform_work_group_size: 1
    .uses_dynamic_stack: false
    .vgpr_count:     44
    .vgpr_spill_count: 0
    .wavefront_size: 64
  - .agpr_count:     0
    .args:
      - .actual_access:  read_only
        .address_space:  global
        .offset:         0
        .size:           8
        .value_kind:     global_buffer
      - .actual_access:  read_only
        .address_space:  global
        .offset:         8
        .size:           8
        .value_kind:     global_buffer
      - .actual_access:  write_only
        .address_space:  global
        .offset:         16
        .size:           8
        .value_kind:     global_buffer
      - .offset:         24
        .size:           4
        .value_kind:     by_value
      - .offset:         28
        .size:           4
        .value_kind:     by_value
      - .offset:         32
        .size:           4
        .value_kind:     by_value
      - .offset:         36
        .size:           4
        .value_kind:     by_value
      - .offset:         40
        .size:           4
        .value_kind:     by_value
    .group_segment_fixed_size: 30336
    .kernarg_segment_align: 8
    .kernarg_segment_size: 44
    .language:       OpenCL C
    .language_version:
      - 2
      - 0
    .max_flat_workgroup_size: 256
    .name:           _ZL12mul_mat_q4_0IfLb0EEvPKvS1_PT_iiiii
    .private_segment_fixed_size: 0
    .sgpr_count:     22
    .sgpr_spill_count: 0
    .symbol:         _ZL12mul_mat_q4_0IfLb0EEvPKvS1_PT_iiiii.kd
    .uniform_work_group_size: 1
    .uses_dynamic_stack: false
    .vgpr_count:     175
    .vgpr_spill_count: 0
    .wavefront_size: 64
  - .agpr_count:     0
    .args:
      - .actual_access:  read_only
        .address_space:  global
        .offset:         0
        .size:           8
        .value_kind:     global_buffer
      - .actual_access:  read_only
        .address_space:  global
        .offset:         8
        .size:           8
        .value_kind:     global_buffer
      - .actual_access:  write_only
        .address_space:  global
        .offset:         16
        .size:           8
        .value_kind:     global_buffer
      - .offset:         24
        .size:           4
        .value_kind:     by_value
      - .offset:         28
        .size:           4
        .value_kind:     by_value
      - .offset:         32
        .size:           4
        .value_kind:     by_value
      - .offset:         36
        .size:           4
        .value_kind:     by_value
      - .offset:         40
        .size:           4
        .value_kind:     by_value
    .group_segment_fixed_size: 30336
    .kernarg_segment_align: 8
    .kernarg_segment_size: 44
    .language:       OpenCL C
    .language_version:
      - 2
      - 0
    .max_flat_workgroup_size: 256
    .name:           _ZL12mul_mat_q4_0IfLb1EEvPKvS1_PT_iiiii
    .private_segment_fixed_size: 0
    .sgpr_count:     24
    .sgpr_spill_count: 0
    .symbol:         _ZL12mul_mat_q4_0IfLb1EEvPKvS1_PT_iiiii.kd
    .uniform_work_group_size: 1
    .uses_dynamic_stack: false
    .vgpr_count:     175
    .vgpr_spill_count: 0
    .wavefront_size: 64
  - .agpr_count:     0
    .args:
      - .actual_access:  read_only
        .address_space:  global
        .offset:         0
        .size:           8
        .value_kind:     global_buffer
      - .actual_access:  read_only
        .address_space:  global
        .offset:         8
        .size:           8
        .value_kind:     global_buffer
      - .actual_access:  write_only
        .address_space:  global
        .offset:         16
        .size:           8
        .value_kind:     global_buffer
      - .offset:         24
        .size:           4
        .value_kind:     by_value
      - .offset:         28
        .size:           4
        .value_kind:     by_value
      - .offset:         32
        .size:           4
        .value_kind:     by_value
      - .offset:         36
        .size:           4
        .value_kind:     by_value
      - .offset:         40
        .size:           4
        .value_kind:     by_value
    .group_segment_fixed_size: 30336
    .kernarg_segment_align: 8
    .kernarg_segment_size: 44
    .language:       OpenCL C
    .language_version:
      - 2
      - 0
    .max_flat_workgroup_size: 256
    .name:           _ZL12mul_mat_q4_1IfLb0EEvPKvS1_PT_iiiii
    .private_segment_fixed_size: 0
    .sgpr_count:     22
    .sgpr_spill_count: 0
    .symbol:         _ZL12mul_mat_q4_1IfLb0EEvPKvS1_PT_iiiii.kd
    .uniform_work_group_size: 1
    .uses_dynamic_stack: false
    .vgpr_count:     170
    .vgpr_spill_count: 0
    .wavefront_size: 64
  - .agpr_count:     0
    .args:
      - .actual_access:  read_only
        .address_space:  global
        .offset:         0
        .size:           8
        .value_kind:     global_buffer
      - .actual_access:  read_only
        .address_space:  global
        .offset:         8
        .size:           8
        .value_kind:     global_buffer
      - .actual_access:  write_only
        .address_space:  global
        .offset:         16
        .size:           8
        .value_kind:     global_buffer
      - .offset:         24
        .size:           4
        .value_kind:     by_value
      - .offset:         28
        .size:           4
        .value_kind:     by_value
      - .offset:         32
        .size:           4
        .value_kind:     by_value
      - .offset:         36
        .size:           4
        .value_kind:     by_value
      - .offset:         40
        .size:           4
        .value_kind:     by_value
    .group_segment_fixed_size: 30336
    .kernarg_segment_align: 8
    .kernarg_segment_size: 44
    .language:       OpenCL C
    .language_version:
      - 2
      - 0
    .max_flat_workgroup_size: 256
    .name:           _ZL12mul_mat_q4_1IfLb1EEvPKvS1_PT_iiiii
    .private_segment_fixed_size: 0
    .sgpr_count:     22
    .sgpr_spill_count: 0
    .symbol:         _ZL12mul_mat_q4_1IfLb1EEvPKvS1_PT_iiiii.kd
    .uniform_work_group_size: 1
    .uses_dynamic_stack: false
    .vgpr_count:     170
    .vgpr_spill_count: 0
    .wavefront_size: 64
  - .agpr_count:     0
    .args:
      - .actual_access:  read_only
        .address_space:  global
        .offset:         0
        .size:           8
        .value_kind:     global_buffer
      - .actual_access:  read_only
        .address_space:  global
        .offset:         8
        .size:           8
        .value_kind:     global_buffer
      - .actual_access:  write_only
        .address_space:  global
        .offset:         16
        .size:           8
        .value_kind:     global_buffer
      - .offset:         24
        .size:           4
        .value_kind:     by_value
      - .offset:         28
        .size:           4
        .value_kind:     by_value
      - .offset:         32
        .size:           4
        .value_kind:     by_value
      - .offset:         36
        .size:           4
        .value_kind:     by_value
      - .offset:         40
        .size:           4
        .value_kind:     by_value
    .group_segment_fixed_size: 46720
    .kernarg_segment_align: 8
    .kernarg_segment_size: 44
    .language:       OpenCL C
    .language_version:
      - 2
      - 0
    .max_flat_workgroup_size: 256
    .name:           _ZL12mul_mat_q5_0IfLb0EEvPKvS1_PT_iiiii
    .private_segment_fixed_size: 0
    .sgpr_count:     24
    .sgpr_spill_count: 0
    .symbol:         _ZL12mul_mat_q5_0IfLb0EEvPKvS1_PT_iiiii.kd
    .uniform_work_group_size: 1
    .uses_dynamic_stack: false
    .vgpr_count:     175
    .vgpr_spill_count: 0
    .wavefront_size: 64
  - .agpr_count:     0
    .args:
      - .actual_access:  read_only
        .address_space:  global
        .offset:         0
        .size:           8
        .value_kind:     global_buffer
      - .actual_access:  read_only
        .address_space:  global
        .offset:         8
        .size:           8
        .value_kind:     global_buffer
      - .actual_access:  write_only
        .address_space:  global
        .offset:         16
        .size:           8
        .value_kind:     global_buffer
      - .offset:         24
        .size:           4
        .value_kind:     by_value
      - .offset:         28
        .size:           4
        .value_kind:     by_value
      - .offset:         32
        .size:           4
        .value_kind:     by_value
      - .offset:         36
        .size:           4
        .value_kind:     by_value
      - .offset:         40
        .size:           4
        .value_kind:     by_value
    .group_segment_fixed_size: 46720
    .kernarg_segment_align: 8
    .kernarg_segment_size: 44
    .language:       OpenCL C
    .language_version:
      - 2
      - 0
    .max_flat_workgroup_size: 256
    .name:           _ZL12mul_mat_q5_0IfLb1EEvPKvS1_PT_iiiii
    .private_segment_fixed_size: 0
    .sgpr_count:     24
    .sgpr_spill_count: 0
    .symbol:         _ZL12mul_mat_q5_0IfLb1EEvPKvS1_PT_iiiii.kd
    .uniform_work_group_size: 1
    .uses_dynamic_stack: false
    .vgpr_count:     175
    .vgpr_spill_count: 0
    .wavefront_size: 64
  - .agpr_count:     0
    .args:
      - .actual_access:  read_only
        .address_space:  global
        .offset:         0
        .size:           8
        .value_kind:     global_buffer
      - .actual_access:  read_only
        .address_space:  global
        .offset:         8
        .size:           8
        .value_kind:     global_buffer
      - .actual_access:  write_only
        .address_space:  global
        .offset:         16
        .size:           8
        .value_kind:     global_buffer
      - .offset:         24
        .size:           4
        .value_kind:     by_value
      - .offset:         28
        .size:           4
        .value_kind:     by_value
      - .offset:         32
        .size:           4
        .value_kind:     by_value
      - .offset:         36
        .size:           4
        .value_kind:     by_value
      - .offset:         40
        .size:           4
        .value_kind:     by_value
    .group_segment_fixed_size: 46720
    .kernarg_segment_align: 8
    .kernarg_segment_size: 44
    .language:       OpenCL C
    .language_version:
      - 2
      - 0
    .max_flat_workgroup_size: 256
    .name:           _ZL12mul_mat_q5_1IfLb0EEvPKvS1_PT_iiiii
    .private_segment_fixed_size: 0
    .sgpr_count:     21
    .sgpr_spill_count: 0
    .symbol:         _ZL12mul_mat_q5_1IfLb0EEvPKvS1_PT_iiiii.kd
    .uniform_work_group_size: 1
    .uses_dynamic_stack: false
    .vgpr_count:     168
    .vgpr_spill_count: 0
    .wavefront_size: 64
  - .agpr_count:     0
    .args:
      - .actual_access:  read_only
        .address_space:  global
        .offset:         0
        .size:           8
        .value_kind:     global_buffer
      - .actual_access:  read_only
        .address_space:  global
        .offset:         8
        .size:           8
        .value_kind:     global_buffer
      - .actual_access:  write_only
        .address_space:  global
        .offset:         16
        .size:           8
        .value_kind:     global_buffer
      - .offset:         24
        .size:           4
        .value_kind:     by_value
      - .offset:         28
        .size:           4
        .value_kind:     by_value
      - .offset:         32
        .size:           4
        .value_kind:     by_value
      - .offset:         36
        .size:           4
        .value_kind:     by_value
      - .offset:         40
        .size:           4
        .value_kind:     by_value
    .group_segment_fixed_size: 46720
    .kernarg_segment_align: 8
    .kernarg_segment_size: 44
    .language:       OpenCL C
    .language_version:
      - 2
      - 0
    .max_flat_workgroup_size: 256
    .name:           _ZL12mul_mat_q5_1IfLb1EEvPKvS1_PT_iiiii
    .private_segment_fixed_size: 0
    .sgpr_count:     22
    .sgpr_spill_count: 0
    .symbol:         _ZL12mul_mat_q5_1IfLb1EEvPKvS1_PT_iiiii.kd
    .uniform_work_group_size: 1
    .uses_dynamic_stack: false
    .vgpr_count:     168
    .vgpr_spill_count: 0
    .wavefront_size: 64
  - .agpr_count:     0
    .args:
      - .actual_access:  read_only
        .address_space:  global
        .offset:         0
        .size:           8
        .value_kind:     global_buffer
      - .actual_access:  read_only
        .address_space:  global
        .offset:         8
        .size:           8
        .value_kind:     global_buffer
      - .actual_access:  write_only
        .address_space:  global
        .offset:         16
        .size:           8
        .value_kind:     global_buffer
      - .offset:         24
        .size:           4
        .value_kind:     by_value
      - .offset:         28
        .size:           4
        .value_kind:     by_value
      - .offset:         32
        .size:           4
        .value_kind:     by_value
      - .offset:         36
        .size:           4
        .value_kind:     by_value
      - .offset:         40
        .size:           4
        .value_kind:     by_value
    .group_segment_fixed_size: 28224
    .kernarg_segment_align: 8
    .kernarg_segment_size: 44
    .language:       OpenCL C
    .language_version:
      - 2
      - 0
    .max_flat_workgroup_size: 256
    .name:           _ZL12mul_mat_q8_0IfLb0EEvPKvS1_PT_iiiii
    .private_segment_fixed_size: 0
    .sgpr_count:     22
    .sgpr_spill_count: 0
    .symbol:         _ZL12mul_mat_q8_0IfLb0EEvPKvS1_PT_iiiii.kd
    .uniform_work_group_size: 1
    .uses_dynamic_stack: false
    .vgpr_count:     161
    .vgpr_spill_count: 0
    .wavefront_size: 64
  - .agpr_count:     0
    .args:
      - .actual_access:  read_only
        .address_space:  global
        .offset:         0
        .size:           8
        .value_kind:     global_buffer
      - .actual_access:  read_only
        .address_space:  global
        .offset:         8
        .size:           8
        .value_kind:     global_buffer
      - .actual_access:  write_only
        .address_space:  global
        .offset:         16
        .size:           8
        .value_kind:     global_buffer
      - .offset:         24
        .size:           4
        .value_kind:     by_value
      - .offset:         28
        .size:           4
        .value_kind:     by_value
      - .offset:         32
        .size:           4
        .value_kind:     by_value
      - .offset:         36
        .size:           4
        .value_kind:     by_value
      - .offset:         40
        .size:           4
        .value_kind:     by_value
    .group_segment_fixed_size: 28224
    .kernarg_segment_align: 8
    .kernarg_segment_size: 44
    .language:       OpenCL C
    .language_version:
      - 2
      - 0
    .max_flat_workgroup_size: 256
    .name:           _ZL12mul_mat_q8_0IfLb1EEvPKvS1_PT_iiiii
    .private_segment_fixed_size: 0
    .sgpr_count:     22
    .sgpr_spill_count: 0
    .symbol:         _ZL12mul_mat_q8_0IfLb1EEvPKvS1_PT_iiiii.kd
    .uniform_work_group_size: 1
    .uses_dynamic_stack: false
    .vgpr_count:     164
    .vgpr_spill_count: 0
    .wavefront_size: 64
  - .agpr_count:     0
    .args:
      - .actual_access:  read_only
        .address_space:  global
        .offset:         0
        .size:           8
        .value_kind:     global_buffer
      - .actual_access:  read_only
        .address_space:  global
        .offset:         8
        .size:           8
        .value_kind:     global_buffer
      - .actual_access:  write_only
        .address_space:  global
        .offset:         16
        .size:           8
        .value_kind:     global_buffer
      - .offset:         24
        .size:           4
        .value_kind:     by_value
      - .offset:         28
        .size:           4
        .value_kind:     by_value
      - .offset:         32
        .size:           4
        .value_kind:     by_value
      - .offset:         36
        .size:           4
        .value_kind:     by_value
      - .offset:         40
        .size:           4
        .value_kind:     by_value
    .group_segment_fixed_size: 31392
    .kernarg_segment_align: 8
    .kernarg_segment_size: 44
    .language:       OpenCL C
    .language_version:
      - 2
      - 0
    .max_flat_workgroup_size: 256
    .name:           _ZL12mul_mat_q2_KIfLb0EEvPKvS1_PT_iiiii
    .private_segment_fixed_size: 0
    .sgpr_count:     26
    .sgpr_spill_count: 0
    .symbol:         _ZL12mul_mat_q2_KIfLb0EEvPKvS1_PT_iiiii.kd
    .uniform_work_group_size: 1
    .uses_dynamic_stack: false
    .vgpr_count:     223
    .vgpr_spill_count: 0
    .wavefront_size: 64
  - .agpr_count:     0
    .args:
      - .actual_access:  read_only
        .address_space:  global
        .offset:         0
        .size:           8
        .value_kind:     global_buffer
      - .actual_access:  read_only
        .address_space:  global
        .offset:         8
        .size:           8
        .value_kind:     global_buffer
      - .actual_access:  write_only
        .address_space:  global
        .offset:         16
        .size:           8
        .value_kind:     global_buffer
      - .offset:         24
        .size:           4
        .value_kind:     by_value
      - .offset:         28
        .size:           4
        .value_kind:     by_value
      - .offset:         32
        .size:           4
        .value_kind:     by_value
      - .offset:         36
        .size:           4
        .value_kind:     by_value
      - .offset:         40
        .size:           4
        .value_kind:     by_value
    .group_segment_fixed_size: 31392
    .kernarg_segment_align: 8
    .kernarg_segment_size: 44
    .language:       OpenCL C
    .language_version:
      - 2
      - 0
    .max_flat_workgroup_size: 256
    .name:           _ZL12mul_mat_q2_KIfLb1EEvPKvS1_PT_iiiii
    .private_segment_fixed_size: 0
    .sgpr_count:     26
    .sgpr_spill_count: 0
    .symbol:         _ZL12mul_mat_q2_KIfLb1EEvPKvS1_PT_iiiii.kd
    .uniform_work_group_size: 1
    .uses_dynamic_stack: false
    .vgpr_count:     223
    .vgpr_spill_count: 0
    .wavefront_size: 64
  - .agpr_count:     0
    .args:
      - .actual_access:  read_only
        .address_space:  global
        .offset:         0
        .size:           8
        .value_kind:     global_buffer
      - .actual_access:  read_only
        .address_space:  global
        .offset:         8
        .size:           8
        .value_kind:     global_buffer
      - .actual_access:  write_only
        .address_space:  global
        .offset:         16
        .size:           8
        .value_kind:     global_buffer
      - .offset:         24
        .size:           4
        .value_kind:     by_value
      - .offset:         28
        .size:           4
        .value_kind:     by_value
      - .offset:         32
        .size:           4
        .value_kind:     by_value
      - .offset:         36
        .size:           4
        .value_kind:     by_value
      - .offset:         40
        .size:           4
        .value_kind:     by_value
    .group_segment_fixed_size: 39840
    .kernarg_segment_align: 8
    .kernarg_segment_size: 44
    .language:       OpenCL C
    .language_version:
      - 2
      - 0
    .max_flat_workgroup_size: 256
    .name:           _ZL12mul_mat_q3_KIfLb0EEvPKvS1_PT_iiiii
    .private_segment_fixed_size: 0
    .sgpr_count:     32
    .sgpr_spill_count: 0
    .symbol:         _ZL12mul_mat_q3_KIfLb0EEvPKvS1_PT_iiiii.kd
    .uniform_work_group_size: 1
    .uses_dynamic_stack: false
    .vgpr_count:     214
    .vgpr_spill_count: 0
    .wavefront_size: 64
  - .agpr_count:     0
    .args:
      - .actual_access:  read_only
        .address_space:  global
        .offset:         0
        .size:           8
        .value_kind:     global_buffer
      - .actual_access:  read_only
        .address_space:  global
        .offset:         8
        .size:           8
        .value_kind:     global_buffer
      - .actual_access:  write_only
        .address_space:  global
        .offset:         16
        .size:           8
        .value_kind:     global_buffer
      - .offset:         24
        .size:           4
        .value_kind:     by_value
      - .offset:         28
        .size:           4
        .value_kind:     by_value
      - .offset:         32
        .size:           4
        .value_kind:     by_value
      - .offset:         36
        .size:           4
        .value_kind:     by_value
      - .offset:         40
        .size:           4
        .value_kind:     by_value
    .group_segment_fixed_size: 39840
    .kernarg_segment_align: 8
    .kernarg_segment_size: 44
    .language:       OpenCL C
    .language_version:
      - 2
      - 0
    .max_flat_workgroup_size: 256
    .name:           _ZL12mul_mat_q3_KIfLb1EEvPKvS1_PT_iiiii
    .private_segment_fixed_size: 0
    .sgpr_count:     32
    .sgpr_spill_count: 0
    .symbol:         _ZL12mul_mat_q3_KIfLb1EEvPKvS1_PT_iiiii.kd
    .uniform_work_group_size: 1
    .uses_dynamic_stack: false
    .vgpr_count:     214
    .vgpr_spill_count: 0
    .wavefront_size: 64
  - .agpr_count:     0
    .args:
      - .actual_access:  read_only
        .address_space:  global
        .offset:         0
        .size:           8
        .value_kind:     global_buffer
      - .actual_access:  read_only
        .address_space:  global
        .offset:         8
        .size:           8
        .value_kind:     global_buffer
      - .actual_access:  write_only
        .address_space:  global
        .offset:         16
        .size:           8
        .value_kind:     global_buffer
      - .offset:         24
        .size:           4
        .value_kind:     by_value
      - .offset:         28
        .size:           4
        .value_kind:     by_value
      - .offset:         32
        .size:           4
        .value_kind:     by_value
      - .offset:         36
        .size:           4
        .value_kind:     by_value
      - .offset:         40
        .size:           4
        .value_kind:     by_value
    .group_segment_fixed_size: 28752
    .kernarg_segment_align: 8
    .kernarg_segment_size: 44
    .language:       OpenCL C
    .language_version:
      - 2
      - 0
    .max_flat_workgroup_size: 256
    .name:           _ZL12mul_mat_q4_KIfLb0EEvPKvS1_PT_iiiii
    .private_segment_fixed_size: 44
    .sgpr_count:     28
    .sgpr_spill_count: 0
    .symbol:         _ZL12mul_mat_q4_KIfLb0EEvPKvS1_PT_iiiii.kd
    .uniform_work_group_size: 1
    .uses_dynamic_stack: false
    .vgpr_count:     256
    .vgpr_spill_count: 10
    .wavefront_size: 64
  - .agpr_count:     0
    .args:
      - .actual_access:  read_only
        .address_space:  global
        .offset:         0
        .size:           8
        .value_kind:     global_buffer
      - .actual_access:  read_only
        .address_space:  global
        .offset:         8
        .size:           8
        .value_kind:     global_buffer
      - .actual_access:  write_only
        .address_space:  global
        .offset:         16
        .size:           8
        .value_kind:     global_buffer
      - .offset:         24
        .size:           4
        .value_kind:     by_value
      - .offset:         28
        .size:           4
        .value_kind:     by_value
      - .offset:         32
        .size:           4
        .value_kind:     by_value
      - .offset:         36
        .size:           4
        .value_kind:     by_value
      - .offset:         40
        .size:           4
        .value_kind:     by_value
    .group_segment_fixed_size: 28752
    .kernarg_segment_align: 8
    .kernarg_segment_size: 44
    .language:       OpenCL C
    .language_version:
      - 2
      - 0
    .max_flat_workgroup_size: 256
    .name:           _ZL12mul_mat_q4_KIfLb1EEvPKvS1_PT_iiiii
    .private_segment_fixed_size: 84
    .sgpr_count:     28
    .sgpr_spill_count: 0
    .symbol:         _ZL12mul_mat_q4_KIfLb1EEvPKvS1_PT_iiiii.kd
    .uniform_work_group_size: 1
    .uses_dynamic_stack: false
    .vgpr_count:     256
    .vgpr_spill_count: 20
    .wavefront_size: 64
  - .agpr_count:     0
    .args:
      - .actual_access:  read_only
        .address_space:  global
        .offset:         0
        .size:           8
        .value_kind:     global_buffer
      - .actual_access:  read_only
        .address_space:  global
        .offset:         8
        .size:           8
        .value_kind:     global_buffer
      - .actual_access:  write_only
        .address_space:  global
        .offset:         16
        .size:           8
        .value_kind:     global_buffer
      - .offset:         24
        .size:           4
        .value_kind:     by_value
      - .offset:         28
        .size:           4
        .value_kind:     by_value
      - .offset:         32
        .size:           4
        .value_kind:     by_value
      - .offset:         36
        .size:           4
        .value_kind:     by_value
      - .offset:         40
        .size:           4
        .value_kind:     by_value
    .group_segment_fixed_size: 45136
    .kernarg_segment_align: 8
    .kernarg_segment_size: 44
    .language:       OpenCL C
    .language_version:
      - 2
      - 0
    .max_flat_workgroup_size: 256
    .name:           _ZL12mul_mat_q5_KIfLb0EEvPKvS1_PT_iiiii
    .private_segment_fixed_size: 36
    .sgpr_count:     32
    .sgpr_spill_count: 0
    .symbol:         _ZL12mul_mat_q5_KIfLb0EEvPKvS1_PT_iiiii.kd
    .uniform_work_group_size: 1
    .uses_dynamic_stack: false
    .vgpr_count:     256
    .vgpr_spill_count: 8
    .wavefront_size: 64
  - .agpr_count:     0
    .args:
      - .actual_access:  read_only
        .address_space:  global
        .offset:         0
        .size:           8
        .value_kind:     global_buffer
      - .actual_access:  read_only
        .address_space:  global
        .offset:         8
        .size:           8
        .value_kind:     global_buffer
      - .actual_access:  write_only
        .address_space:  global
        .offset:         16
        .size:           8
        .value_kind:     global_buffer
      - .offset:         24
        .size:           4
        .value_kind:     by_value
      - .offset:         28
        .size:           4
        .value_kind:     by_value
      - .offset:         32
        .size:           4
        .value_kind:     by_value
      - .offset:         36
        .size:           4
        .value_kind:     by_value
      - .offset:         40
        .size:           4
        .value_kind:     by_value
    .group_segment_fixed_size: 45136
    .kernarg_segment_align: 8
    .kernarg_segment_size: 44
    .language:       OpenCL C
    .language_version:
      - 2
      - 0
    .max_flat_workgroup_size: 256
    .name:           _ZL12mul_mat_q5_KIfLb1EEvPKvS1_PT_iiiii
    .private_segment_fixed_size: 84
    .sgpr_count:     32
    .sgpr_spill_count: 0
    .symbol:         _ZL12mul_mat_q5_KIfLb1EEvPKvS1_PT_iiiii.kd
    .uniform_work_group_size: 1
    .uses_dynamic_stack: false
    .vgpr_count:     256
    .vgpr_spill_count: 20
    .wavefront_size: 64
  - .agpr_count:     0
    .args:
      - .actual_access:  read_only
        .address_space:  global
        .offset:         0
        .size:           8
        .value_kind:     global_buffer
      - .actual_access:  read_only
        .address_space:  global
        .offset:         8
        .size:           8
        .value_kind:     global_buffer
      - .actual_access:  write_only
        .address_space:  global
        .offset:         16
        .size:           8
        .value_kind:     global_buffer
      - .offset:         24
        .size:           4
        .value_kind:     by_value
      - .offset:         28
        .size:           4
        .value_kind:     by_value
      - .offset:         32
        .size:           4
        .value_kind:     by_value
      - .offset:         36
        .size:           4
        .value_kind:     by_value
      - .offset:         40
        .size:           4
        .value_kind:     by_value
    .group_segment_fixed_size: 45136
    .kernarg_segment_align: 8
    .kernarg_segment_size: 44
    .language:       OpenCL C
    .language_version:
      - 2
      - 0
    .max_flat_workgroup_size: 256
    .name:           _ZL12mul_mat_q6_KIfLb0EEvPKvS1_PT_iiiii
    .private_segment_fixed_size: 0
    .sgpr_count:     30
    .sgpr_spill_count: 0
    .symbol:         _ZL12mul_mat_q6_KIfLb0EEvPKvS1_PT_iiiii.kd
    .uniform_work_group_size: 1
    .uses_dynamic_stack: false
    .vgpr_count:     229
    .vgpr_spill_count: 0
    .wavefront_size: 64
  - .agpr_count:     0
    .args:
      - .actual_access:  read_only
        .address_space:  global
        .offset:         0
        .size:           8
        .value_kind:     global_buffer
      - .actual_access:  read_only
        .address_space:  global
        .offset:         8
        .size:           8
        .value_kind:     global_buffer
      - .actual_access:  write_only
        .address_space:  global
        .offset:         16
        .size:           8
        .value_kind:     global_buffer
      - .offset:         24
        .size:           4
        .value_kind:     by_value
      - .offset:         28
        .size:           4
        .value_kind:     by_value
      - .offset:         32
        .size:           4
        .value_kind:     by_value
      - .offset:         36
        .size:           4
        .value_kind:     by_value
      - .offset:         40
        .size:           4
        .value_kind:     by_value
    .group_segment_fixed_size: 45136
    .kernarg_segment_align: 8
    .kernarg_segment_size: 44
    .language:       OpenCL C
    .language_version:
      - 2
      - 0
    .max_flat_workgroup_size: 256
    .name:           _ZL12mul_mat_q6_KIfLb1EEvPKvS1_PT_iiiii
    .private_segment_fixed_size: 0
    .sgpr_count:     30
    .sgpr_spill_count: 0
    .symbol:         _ZL12mul_mat_q6_KIfLb1EEvPKvS1_PT_iiiii.kd
    .uniform_work_group_size: 1
    .uses_dynamic_stack: false
    .vgpr_count:     229
    .vgpr_spill_count: 0
    .wavefront_size: 64
  - .agpr_count:     0
    .args:
      - .actual_access:  read_only
        .address_space:  global
        .offset:         0
        .size:           8
        .value_kind:     global_buffer
      - .actual_access:  read_only
        .address_space:  global
        .offset:         8
        .size:           8
        .value_kind:     global_buffer
      - .actual_access:  write_only
        .address_space:  global
        .offset:         16
        .size:           8
        .value_kind:     global_buffer
      - .offset:         24
        .size:           4
        .value_kind:     by_value
      - .offset:         28
        .size:           4
        .value_kind:     by_value
      - .offset:         32
        .size:           4
        .value_kind:     by_value
      - .offset:         36
        .size:           4
        .value_kind:     by_value
      - .offset:         40
        .size:           4
        .value_kind:     by_value
    .group_segment_fixed_size: 30336
    .kernarg_segment_align: 8
    .kernarg_segment_size: 44
    .language:       OpenCL C
    .language_version:
      - 2
      - 0
    .max_flat_workgroup_size: 256
    .name:           _ZL12mul_mat_q4_0IN3c104HalfELb0EEvPKvS3_PT_iiiii
    .private_segment_fixed_size: 0
    .sgpr_count:     22
    .sgpr_spill_count: 0
    .symbol:         _ZL12mul_mat_q4_0IN3c104HalfELb0EEvPKvS3_PT_iiiii.kd
    .uniform_work_group_size: 1
    .uses_dynamic_stack: false
    .vgpr_count:     175
    .vgpr_spill_count: 0
    .wavefront_size: 64
  - .agpr_count:     0
    .args:
      - .actual_access:  read_only
        .address_space:  global
        .offset:         0
        .size:           8
        .value_kind:     global_buffer
      - .actual_access:  read_only
        .address_space:  global
        .offset:         8
        .size:           8
        .value_kind:     global_buffer
      - .actual_access:  write_only
        .address_space:  global
        .offset:         16
        .size:           8
        .value_kind:     global_buffer
      - .offset:         24
        .size:           4
        .value_kind:     by_value
      - .offset:         28
        .size:           4
        .value_kind:     by_value
      - .offset:         32
        .size:           4
        .value_kind:     by_value
      - .offset:         36
        .size:           4
        .value_kind:     by_value
      - .offset:         40
        .size:           4
        .value_kind:     by_value
    .group_segment_fixed_size: 30336
    .kernarg_segment_align: 8
    .kernarg_segment_size: 44
    .language:       OpenCL C
    .language_version:
      - 2
      - 0
    .max_flat_workgroup_size: 256
    .name:           _ZL12mul_mat_q4_0IN3c104HalfELb1EEvPKvS3_PT_iiiii
    .private_segment_fixed_size: 0
    .sgpr_count:     24
    .sgpr_spill_count: 0
    .symbol:         _ZL12mul_mat_q4_0IN3c104HalfELb1EEvPKvS3_PT_iiiii.kd
    .uniform_work_group_size: 1
    .uses_dynamic_stack: false
    .vgpr_count:     175
    .vgpr_spill_count: 0
    .wavefront_size: 64
  - .agpr_count:     0
    .args:
      - .actual_access:  read_only
        .address_space:  global
        .offset:         0
        .size:           8
        .value_kind:     global_buffer
      - .actual_access:  read_only
        .address_space:  global
        .offset:         8
        .size:           8
        .value_kind:     global_buffer
      - .actual_access:  write_only
        .address_space:  global
        .offset:         16
        .size:           8
        .value_kind:     global_buffer
      - .offset:         24
        .size:           4
        .value_kind:     by_value
      - .offset:         28
        .size:           4
        .value_kind:     by_value
      - .offset:         32
        .size:           4
        .value_kind:     by_value
      - .offset:         36
        .size:           4
        .value_kind:     by_value
      - .offset:         40
        .size:           4
        .value_kind:     by_value
    .group_segment_fixed_size: 30336
    .kernarg_segment_align: 8
    .kernarg_segment_size: 44
    .language:       OpenCL C
    .language_version:
      - 2
      - 0
    .max_flat_workgroup_size: 256
    .name:           _ZL12mul_mat_q4_1IN3c104HalfELb0EEvPKvS3_PT_iiiii
    .private_segment_fixed_size: 0
    .sgpr_count:     22
    .sgpr_spill_count: 0
    .symbol:         _ZL12mul_mat_q4_1IN3c104HalfELb0EEvPKvS3_PT_iiiii.kd
    .uniform_work_group_size: 1
    .uses_dynamic_stack: false
    .vgpr_count:     170
    .vgpr_spill_count: 0
    .wavefront_size: 64
  - .agpr_count:     0
    .args:
      - .actual_access:  read_only
        .address_space:  global
        .offset:         0
        .size:           8
        .value_kind:     global_buffer
      - .actual_access:  read_only
        .address_space:  global
        .offset:         8
        .size:           8
        .value_kind:     global_buffer
      - .actual_access:  write_only
        .address_space:  global
        .offset:         16
        .size:           8
        .value_kind:     global_buffer
      - .offset:         24
        .size:           4
        .value_kind:     by_value
      - .offset:         28
        .size:           4
        .value_kind:     by_value
      - .offset:         32
        .size:           4
        .value_kind:     by_value
      - .offset:         36
        .size:           4
        .value_kind:     by_value
      - .offset:         40
        .size:           4
        .value_kind:     by_value
    .group_segment_fixed_size: 30336
    .kernarg_segment_align: 8
    .kernarg_segment_size: 44
    .language:       OpenCL C
    .language_version:
      - 2
      - 0
    .max_flat_workgroup_size: 256
    .name:           _ZL12mul_mat_q4_1IN3c104HalfELb1EEvPKvS3_PT_iiiii
    .private_segment_fixed_size: 0
    .sgpr_count:     22
    .sgpr_spill_count: 0
    .symbol:         _ZL12mul_mat_q4_1IN3c104HalfELb1EEvPKvS3_PT_iiiii.kd
    .uniform_work_group_size: 1
    .uses_dynamic_stack: false
    .vgpr_count:     170
    .vgpr_spill_count: 0
    .wavefront_size: 64
  - .agpr_count:     0
    .args:
      - .actual_access:  read_only
        .address_space:  global
        .offset:         0
        .size:           8
        .value_kind:     global_buffer
      - .actual_access:  read_only
        .address_space:  global
        .offset:         8
        .size:           8
        .value_kind:     global_buffer
      - .actual_access:  write_only
        .address_space:  global
        .offset:         16
        .size:           8
        .value_kind:     global_buffer
      - .offset:         24
        .size:           4
        .value_kind:     by_value
      - .offset:         28
        .size:           4
        .value_kind:     by_value
      - .offset:         32
        .size:           4
        .value_kind:     by_value
      - .offset:         36
        .size:           4
        .value_kind:     by_value
      - .offset:         40
        .size:           4
        .value_kind:     by_value
    .group_segment_fixed_size: 46720
    .kernarg_segment_align: 8
    .kernarg_segment_size: 44
    .language:       OpenCL C
    .language_version:
      - 2
      - 0
    .max_flat_workgroup_size: 256
    .name:           _ZL12mul_mat_q5_0IN3c104HalfELb0EEvPKvS3_PT_iiiii
    .private_segment_fixed_size: 0
    .sgpr_count:     24
    .sgpr_spill_count: 0
    .symbol:         _ZL12mul_mat_q5_0IN3c104HalfELb0EEvPKvS3_PT_iiiii.kd
    .uniform_work_group_size: 1
    .uses_dynamic_stack: false
    .vgpr_count:     175
    .vgpr_spill_count: 0
    .wavefront_size: 64
  - .agpr_count:     0
    .args:
      - .actual_access:  read_only
        .address_space:  global
        .offset:         0
        .size:           8
        .value_kind:     global_buffer
      - .actual_access:  read_only
        .address_space:  global
        .offset:         8
        .size:           8
        .value_kind:     global_buffer
      - .actual_access:  write_only
        .address_space:  global
        .offset:         16
        .size:           8
        .value_kind:     global_buffer
      - .offset:         24
        .size:           4
        .value_kind:     by_value
      - .offset:         28
        .size:           4
        .value_kind:     by_value
      - .offset:         32
        .size:           4
        .value_kind:     by_value
      - .offset:         36
        .size:           4
        .value_kind:     by_value
      - .offset:         40
        .size:           4
        .value_kind:     by_value
    .group_segment_fixed_size: 46720
    .kernarg_segment_align: 8
    .kernarg_segment_size: 44
    .language:       OpenCL C
    .language_version:
      - 2
      - 0
    .max_flat_workgroup_size: 256
    .name:           _ZL12mul_mat_q5_0IN3c104HalfELb1EEvPKvS3_PT_iiiii
    .private_segment_fixed_size: 0
    .sgpr_count:     24
    .sgpr_spill_count: 0
    .symbol:         _ZL12mul_mat_q5_0IN3c104HalfELb1EEvPKvS3_PT_iiiii.kd
    .uniform_work_group_size: 1
    .uses_dynamic_stack: false
    .vgpr_count:     175
    .vgpr_spill_count: 0
    .wavefront_size: 64
  - .agpr_count:     0
    .args:
      - .actual_access:  read_only
        .address_space:  global
        .offset:         0
        .size:           8
        .value_kind:     global_buffer
      - .actual_access:  read_only
        .address_space:  global
        .offset:         8
        .size:           8
        .value_kind:     global_buffer
      - .actual_access:  write_only
        .address_space:  global
        .offset:         16
        .size:           8
        .value_kind:     global_buffer
      - .offset:         24
        .size:           4
        .value_kind:     by_value
      - .offset:         28
        .size:           4
        .value_kind:     by_value
      - .offset:         32
        .size:           4
        .value_kind:     by_value
      - .offset:         36
        .size:           4
        .value_kind:     by_value
      - .offset:         40
        .size:           4
        .value_kind:     by_value
    .group_segment_fixed_size: 46720
    .kernarg_segment_align: 8
    .kernarg_segment_size: 44
    .language:       OpenCL C
    .language_version:
      - 2
      - 0
    .max_flat_workgroup_size: 256
    .name:           _ZL12mul_mat_q5_1IN3c104HalfELb0EEvPKvS3_PT_iiiii
    .private_segment_fixed_size: 0
    .sgpr_count:     21
    .sgpr_spill_count: 0
    .symbol:         _ZL12mul_mat_q5_1IN3c104HalfELb0EEvPKvS3_PT_iiiii.kd
    .uniform_work_group_size: 1
    .uses_dynamic_stack: false
    .vgpr_count:     168
    .vgpr_spill_count: 0
    .wavefront_size: 64
  - .agpr_count:     0
    .args:
      - .actual_access:  read_only
        .address_space:  global
        .offset:         0
        .size:           8
        .value_kind:     global_buffer
      - .actual_access:  read_only
        .address_space:  global
        .offset:         8
        .size:           8
        .value_kind:     global_buffer
      - .actual_access:  write_only
        .address_space:  global
        .offset:         16
        .size:           8
        .value_kind:     global_buffer
      - .offset:         24
        .size:           4
        .value_kind:     by_value
      - .offset:         28
        .size:           4
        .value_kind:     by_value
      - .offset:         32
        .size:           4
        .value_kind:     by_value
      - .offset:         36
        .size:           4
        .value_kind:     by_value
      - .offset:         40
        .size:           4
        .value_kind:     by_value
    .group_segment_fixed_size: 46720
    .kernarg_segment_align: 8
    .kernarg_segment_size: 44
    .language:       OpenCL C
    .language_version:
      - 2
      - 0
    .max_flat_workgroup_size: 256
    .name:           _ZL12mul_mat_q5_1IN3c104HalfELb1EEvPKvS3_PT_iiiii
    .private_segment_fixed_size: 0
    .sgpr_count:     22
    .sgpr_spill_count: 0
    .symbol:         _ZL12mul_mat_q5_1IN3c104HalfELb1EEvPKvS3_PT_iiiii.kd
    .uniform_work_group_size: 1
    .uses_dynamic_stack: false
    .vgpr_count:     168
    .vgpr_spill_count: 0
    .wavefront_size: 64
  - .agpr_count:     0
    .args:
      - .actual_access:  read_only
        .address_space:  global
        .offset:         0
        .size:           8
        .value_kind:     global_buffer
      - .actual_access:  read_only
        .address_space:  global
        .offset:         8
        .size:           8
        .value_kind:     global_buffer
      - .actual_access:  write_only
        .address_space:  global
        .offset:         16
        .size:           8
        .value_kind:     global_buffer
      - .offset:         24
        .size:           4
        .value_kind:     by_value
      - .offset:         28
        .size:           4
        .value_kind:     by_value
      - .offset:         32
        .size:           4
        .value_kind:     by_value
      - .offset:         36
        .size:           4
        .value_kind:     by_value
      - .offset:         40
        .size:           4
        .value_kind:     by_value
    .group_segment_fixed_size: 28224
    .kernarg_segment_align: 8
    .kernarg_segment_size: 44
    .language:       OpenCL C
    .language_version:
      - 2
      - 0
    .max_flat_workgroup_size: 256
    .name:           _ZL12mul_mat_q8_0IN3c104HalfELb0EEvPKvS3_PT_iiiii
    .private_segment_fixed_size: 0
    .sgpr_count:     22
    .sgpr_spill_count: 0
    .symbol:         _ZL12mul_mat_q8_0IN3c104HalfELb0EEvPKvS3_PT_iiiii.kd
    .uniform_work_group_size: 1
    .uses_dynamic_stack: false
    .vgpr_count:     161
    .vgpr_spill_count: 0
    .wavefront_size: 64
  - .agpr_count:     0
    .args:
      - .actual_access:  read_only
        .address_space:  global
        .offset:         0
        .size:           8
        .value_kind:     global_buffer
      - .actual_access:  read_only
        .address_space:  global
        .offset:         8
        .size:           8
        .value_kind:     global_buffer
      - .actual_access:  write_only
        .address_space:  global
        .offset:         16
        .size:           8
        .value_kind:     global_buffer
      - .offset:         24
        .size:           4
        .value_kind:     by_value
      - .offset:         28
        .size:           4
        .value_kind:     by_value
      - .offset:         32
        .size:           4
        .value_kind:     by_value
      - .offset:         36
        .size:           4
        .value_kind:     by_value
      - .offset:         40
        .size:           4
        .value_kind:     by_value
    .group_segment_fixed_size: 28224
    .kernarg_segment_align: 8
    .kernarg_segment_size: 44
    .language:       OpenCL C
    .language_version:
      - 2
      - 0
    .max_flat_workgroup_size: 256
    .name:           _ZL12mul_mat_q8_0IN3c104HalfELb1EEvPKvS3_PT_iiiii
    .private_segment_fixed_size: 0
    .sgpr_count:     22
    .sgpr_spill_count: 0
    .symbol:         _ZL12mul_mat_q8_0IN3c104HalfELb1EEvPKvS3_PT_iiiii.kd
    .uniform_work_group_size: 1
    .uses_dynamic_stack: false
    .vgpr_count:     164
    .vgpr_spill_count: 0
    .wavefront_size: 64
  - .agpr_count:     0
    .args:
      - .actual_access:  read_only
        .address_space:  global
        .offset:         0
        .size:           8
        .value_kind:     global_buffer
      - .actual_access:  read_only
        .address_space:  global
        .offset:         8
        .size:           8
        .value_kind:     global_buffer
      - .actual_access:  write_only
        .address_space:  global
        .offset:         16
        .size:           8
        .value_kind:     global_buffer
      - .offset:         24
        .size:           4
        .value_kind:     by_value
      - .offset:         28
        .size:           4
        .value_kind:     by_value
      - .offset:         32
        .size:           4
        .value_kind:     by_value
      - .offset:         36
        .size:           4
        .value_kind:     by_value
      - .offset:         40
        .size:           4
        .value_kind:     by_value
    .group_segment_fixed_size: 31392
    .kernarg_segment_align: 8
    .kernarg_segment_size: 44
    .language:       OpenCL C
    .language_version:
      - 2
      - 0
    .max_flat_workgroup_size: 256
    .name:           _ZL12mul_mat_q2_KIN3c104HalfELb0EEvPKvS3_PT_iiiii
    .private_segment_fixed_size: 0
    .sgpr_count:     26
    .sgpr_spill_count: 0
    .symbol:         _ZL12mul_mat_q2_KIN3c104HalfELb0EEvPKvS3_PT_iiiii.kd
    .uniform_work_group_size: 1
    .uses_dynamic_stack: false
    .vgpr_count:     223
    .vgpr_spill_count: 0
    .wavefront_size: 64
  - .agpr_count:     0
    .args:
      - .actual_access:  read_only
        .address_space:  global
        .offset:         0
        .size:           8
        .value_kind:     global_buffer
      - .actual_access:  read_only
        .address_space:  global
        .offset:         8
        .size:           8
        .value_kind:     global_buffer
      - .actual_access:  write_only
        .address_space:  global
        .offset:         16
        .size:           8
        .value_kind:     global_buffer
      - .offset:         24
        .size:           4
        .value_kind:     by_value
      - .offset:         28
        .size:           4
        .value_kind:     by_value
      - .offset:         32
        .size:           4
        .value_kind:     by_value
      - .offset:         36
        .size:           4
        .value_kind:     by_value
      - .offset:         40
        .size:           4
        .value_kind:     by_value
    .group_segment_fixed_size: 31392
    .kernarg_segment_align: 8
    .kernarg_segment_size: 44
    .language:       OpenCL C
    .language_version:
      - 2
      - 0
    .max_flat_workgroup_size: 256
    .name:           _ZL12mul_mat_q2_KIN3c104HalfELb1EEvPKvS3_PT_iiiii
    .private_segment_fixed_size: 0
    .sgpr_count:     26
    .sgpr_spill_count: 0
    .symbol:         _ZL12mul_mat_q2_KIN3c104HalfELb1EEvPKvS3_PT_iiiii.kd
    .uniform_work_group_size: 1
    .uses_dynamic_stack: false
    .vgpr_count:     223
    .vgpr_spill_count: 0
    .wavefront_size: 64
  - .agpr_count:     0
    .args:
      - .actual_access:  read_only
        .address_space:  global
        .offset:         0
        .size:           8
        .value_kind:     global_buffer
      - .actual_access:  read_only
        .address_space:  global
        .offset:         8
        .size:           8
        .value_kind:     global_buffer
      - .actual_access:  write_only
        .address_space:  global
        .offset:         16
        .size:           8
        .value_kind:     global_buffer
      - .offset:         24
        .size:           4
        .value_kind:     by_value
      - .offset:         28
        .size:           4
        .value_kind:     by_value
      - .offset:         32
        .size:           4
        .value_kind:     by_value
      - .offset:         36
        .size:           4
        .value_kind:     by_value
      - .offset:         40
        .size:           4
        .value_kind:     by_value
    .group_segment_fixed_size: 39840
    .kernarg_segment_align: 8
    .kernarg_segment_size: 44
    .language:       OpenCL C
    .language_version:
      - 2
      - 0
    .max_flat_workgroup_size: 256
    .name:           _ZL12mul_mat_q3_KIN3c104HalfELb0EEvPKvS3_PT_iiiii
    .private_segment_fixed_size: 0
    .sgpr_count:     32
    .sgpr_spill_count: 0
    .symbol:         _ZL12mul_mat_q3_KIN3c104HalfELb0EEvPKvS3_PT_iiiii.kd
    .uniform_work_group_size: 1
    .uses_dynamic_stack: false
    .vgpr_count:     214
    .vgpr_spill_count: 0
    .wavefront_size: 64
  - .agpr_count:     0
    .args:
      - .actual_access:  read_only
        .address_space:  global
        .offset:         0
        .size:           8
        .value_kind:     global_buffer
      - .actual_access:  read_only
        .address_space:  global
        .offset:         8
        .size:           8
        .value_kind:     global_buffer
      - .actual_access:  write_only
        .address_space:  global
        .offset:         16
        .size:           8
        .value_kind:     global_buffer
      - .offset:         24
        .size:           4
        .value_kind:     by_value
      - .offset:         28
        .size:           4
        .value_kind:     by_value
      - .offset:         32
        .size:           4
        .value_kind:     by_value
      - .offset:         36
        .size:           4
        .value_kind:     by_value
      - .offset:         40
        .size:           4
        .value_kind:     by_value
    .group_segment_fixed_size: 39840
    .kernarg_segment_align: 8
    .kernarg_segment_size: 44
    .language:       OpenCL C
    .language_version:
      - 2
      - 0
    .max_flat_workgroup_size: 256
    .name:           _ZL12mul_mat_q3_KIN3c104HalfELb1EEvPKvS3_PT_iiiii
    .private_segment_fixed_size: 0
    .sgpr_count:     32
    .sgpr_spill_count: 0
    .symbol:         _ZL12mul_mat_q3_KIN3c104HalfELb1EEvPKvS3_PT_iiiii.kd
    .uniform_work_group_size: 1
    .uses_dynamic_stack: false
    .vgpr_count:     214
    .vgpr_spill_count: 0
    .wavefront_size: 64
  - .agpr_count:     0
    .args:
      - .actual_access:  read_only
        .address_space:  global
        .offset:         0
        .size:           8
        .value_kind:     global_buffer
      - .actual_access:  read_only
        .address_space:  global
        .offset:         8
        .size:           8
        .value_kind:     global_buffer
      - .actual_access:  write_only
        .address_space:  global
        .offset:         16
        .size:           8
        .value_kind:     global_buffer
      - .offset:         24
        .size:           4
        .value_kind:     by_value
      - .offset:         28
        .size:           4
        .value_kind:     by_value
      - .offset:         32
        .size:           4
        .value_kind:     by_value
      - .offset:         36
        .size:           4
        .value_kind:     by_value
      - .offset:         40
        .size:           4
        .value_kind:     by_value
    .group_segment_fixed_size: 28752
    .kernarg_segment_align: 8
    .kernarg_segment_size: 44
    .language:       OpenCL C
    .language_version:
      - 2
      - 0
    .max_flat_workgroup_size: 256
    .name:           _ZL12mul_mat_q4_KIN3c104HalfELb0EEvPKvS3_PT_iiiii
    .private_segment_fixed_size: 44
    .sgpr_count:     28
    .sgpr_spill_count: 0
    .symbol:         _ZL12mul_mat_q4_KIN3c104HalfELb0EEvPKvS3_PT_iiiii.kd
    .uniform_work_group_size: 1
    .uses_dynamic_stack: false
    .vgpr_count:     256
    .vgpr_spill_count: 10
    .wavefront_size: 64
  - .agpr_count:     0
    .args:
      - .actual_access:  read_only
        .address_space:  global
        .offset:         0
        .size:           8
        .value_kind:     global_buffer
      - .actual_access:  read_only
        .address_space:  global
        .offset:         8
        .size:           8
        .value_kind:     global_buffer
      - .actual_access:  write_only
        .address_space:  global
        .offset:         16
        .size:           8
        .value_kind:     global_buffer
      - .offset:         24
        .size:           4
        .value_kind:     by_value
      - .offset:         28
        .size:           4
        .value_kind:     by_value
      - .offset:         32
        .size:           4
        .value_kind:     by_value
      - .offset:         36
        .size:           4
        .value_kind:     by_value
      - .offset:         40
        .size:           4
        .value_kind:     by_value
    .group_segment_fixed_size: 28752
    .kernarg_segment_align: 8
    .kernarg_segment_size: 44
    .language:       OpenCL C
    .language_version:
      - 2
      - 0
    .max_flat_workgroup_size: 256
    .name:           _ZL12mul_mat_q4_KIN3c104HalfELb1EEvPKvS3_PT_iiiii
    .private_segment_fixed_size: 84
    .sgpr_count:     28
    .sgpr_spill_count: 0
    .symbol:         _ZL12mul_mat_q4_KIN3c104HalfELb1EEvPKvS3_PT_iiiii.kd
    .uniform_work_group_size: 1
    .uses_dynamic_stack: false
    .vgpr_count:     256
    .vgpr_spill_count: 20
    .wavefront_size: 64
  - .agpr_count:     0
    .args:
      - .actual_access:  read_only
        .address_space:  global
        .offset:         0
        .size:           8
        .value_kind:     global_buffer
      - .actual_access:  read_only
        .address_space:  global
        .offset:         8
        .size:           8
        .value_kind:     global_buffer
      - .actual_access:  write_only
        .address_space:  global
        .offset:         16
        .size:           8
        .value_kind:     global_buffer
      - .offset:         24
        .size:           4
        .value_kind:     by_value
      - .offset:         28
        .size:           4
        .value_kind:     by_value
      - .offset:         32
        .size:           4
        .value_kind:     by_value
      - .offset:         36
        .size:           4
        .value_kind:     by_value
      - .offset:         40
        .size:           4
        .value_kind:     by_value
    .group_segment_fixed_size: 45136
    .kernarg_segment_align: 8
    .kernarg_segment_size: 44
    .language:       OpenCL C
    .language_version:
      - 2
      - 0
    .max_flat_workgroup_size: 256
    .name:           _ZL12mul_mat_q5_KIN3c104HalfELb0EEvPKvS3_PT_iiiii
    .private_segment_fixed_size: 36
    .sgpr_count:     32
    .sgpr_spill_count: 0
    .symbol:         _ZL12mul_mat_q5_KIN3c104HalfELb0EEvPKvS3_PT_iiiii.kd
    .uniform_work_group_size: 1
    .uses_dynamic_stack: false
    .vgpr_count:     256
    .vgpr_spill_count: 8
    .wavefront_size: 64
  - .agpr_count:     0
    .args:
      - .actual_access:  read_only
        .address_space:  global
        .offset:         0
        .size:           8
        .value_kind:     global_buffer
      - .actual_access:  read_only
        .address_space:  global
        .offset:         8
        .size:           8
        .value_kind:     global_buffer
      - .actual_access:  write_only
        .address_space:  global
        .offset:         16
        .size:           8
        .value_kind:     global_buffer
      - .offset:         24
        .size:           4
        .value_kind:     by_value
      - .offset:         28
        .size:           4
        .value_kind:     by_value
      - .offset:         32
        .size:           4
        .value_kind:     by_value
      - .offset:         36
        .size:           4
        .value_kind:     by_value
      - .offset:         40
        .size:           4
        .value_kind:     by_value
    .group_segment_fixed_size: 45136
    .kernarg_segment_align: 8
    .kernarg_segment_size: 44
    .language:       OpenCL C
    .language_version:
      - 2
      - 0
    .max_flat_workgroup_size: 256
    .name:           _ZL12mul_mat_q5_KIN3c104HalfELb1EEvPKvS3_PT_iiiii
    .private_segment_fixed_size: 84
    .sgpr_count:     32
    .sgpr_spill_count: 0
    .symbol:         _ZL12mul_mat_q5_KIN3c104HalfELb1EEvPKvS3_PT_iiiii.kd
    .uniform_work_group_size: 1
    .uses_dynamic_stack: false
    .vgpr_count:     256
    .vgpr_spill_count: 20
    .wavefront_size: 64
  - .agpr_count:     0
    .args:
      - .actual_access:  read_only
        .address_space:  global
        .offset:         0
        .size:           8
        .value_kind:     global_buffer
      - .actual_access:  read_only
        .address_space:  global
        .offset:         8
        .size:           8
        .value_kind:     global_buffer
      - .actual_access:  write_only
        .address_space:  global
        .offset:         16
        .size:           8
        .value_kind:     global_buffer
      - .offset:         24
        .size:           4
        .value_kind:     by_value
      - .offset:         28
        .size:           4
        .value_kind:     by_value
      - .offset:         32
        .size:           4
        .value_kind:     by_value
      - .offset:         36
        .size:           4
        .value_kind:     by_value
      - .offset:         40
        .size:           4
        .value_kind:     by_value
    .group_segment_fixed_size: 45136
    .kernarg_segment_align: 8
    .kernarg_segment_size: 44
    .language:       OpenCL C
    .language_version:
      - 2
      - 0
    .max_flat_workgroup_size: 256
    .name:           _ZL12mul_mat_q6_KIN3c104HalfELb0EEvPKvS3_PT_iiiii
    .private_segment_fixed_size: 0
    .sgpr_count:     30
    .sgpr_spill_count: 0
    .symbol:         _ZL12mul_mat_q6_KIN3c104HalfELb0EEvPKvS3_PT_iiiii.kd
    .uniform_work_group_size: 1
    .uses_dynamic_stack: false
    .vgpr_count:     229
    .vgpr_spill_count: 0
    .wavefront_size: 64
  - .agpr_count:     0
    .args:
      - .actual_access:  read_only
        .address_space:  global
        .offset:         0
        .size:           8
        .value_kind:     global_buffer
      - .actual_access:  read_only
        .address_space:  global
        .offset:         8
        .size:           8
        .value_kind:     global_buffer
      - .actual_access:  write_only
        .address_space:  global
        .offset:         16
        .size:           8
        .value_kind:     global_buffer
      - .offset:         24
        .size:           4
        .value_kind:     by_value
      - .offset:         28
        .size:           4
        .value_kind:     by_value
      - .offset:         32
        .size:           4
        .value_kind:     by_value
      - .offset:         36
        .size:           4
        .value_kind:     by_value
      - .offset:         40
        .size:           4
        .value_kind:     by_value
    .group_segment_fixed_size: 45136
    .kernarg_segment_align: 8
    .kernarg_segment_size: 44
    .language:       OpenCL C
    .language_version:
      - 2
      - 0
    .max_flat_workgroup_size: 256
    .name:           _ZL12mul_mat_q6_KIN3c104HalfELb1EEvPKvS3_PT_iiiii
    .private_segment_fixed_size: 0
    .sgpr_count:     30
    .sgpr_spill_count: 0
    .symbol:         _ZL12mul_mat_q6_KIN3c104HalfELb1EEvPKvS3_PT_iiiii.kd
    .uniform_work_group_size: 1
    .uses_dynamic_stack: false
    .vgpr_count:     229
    .vgpr_spill_count: 0
    .wavefront_size: 64
  - .agpr_count:     0
    .args:
      - .actual_access:  read_only
        .address_space:  global
        .offset:         0
        .size:           8
        .value_kind:     global_buffer
      - .actual_access:  read_only
        .address_space:  global
        .offset:         8
        .size:           8
        .value_kind:     global_buffer
      - .actual_access:  write_only
        .address_space:  global
        .offset:         16
        .size:           8
        .value_kind:     global_buffer
      - .offset:         24
        .size:           4
        .value_kind:     by_value
      - .offset:         28
        .size:           4
        .value_kind:     by_value
      - .offset:         32
        .size:           4
        .value_kind:     by_value
      - .offset:         36
        .size:           4
        .value_kind:     by_value
      - .offset:         40
        .size:           4
        .value_kind:     by_value
    .group_segment_fixed_size: 30336
    .kernarg_segment_align: 8
    .kernarg_segment_size: 44
    .language:       OpenCL C
    .language_version:
      - 2
      - 0
    .max_flat_workgroup_size: 256
    .name:           _ZL12mul_mat_q4_0IN3c108BFloat16ELb0EEvPKvS3_PT_iiiii
    .private_segment_fixed_size: 0
    .sgpr_count:     22
    .sgpr_spill_count: 0
    .symbol:         _ZL12mul_mat_q4_0IN3c108BFloat16ELb0EEvPKvS3_PT_iiiii.kd
    .uniform_work_group_size: 1
    .uses_dynamic_stack: false
    .vgpr_count:     175
    .vgpr_spill_count: 0
    .wavefront_size: 64
  - .agpr_count:     0
    .args:
      - .actual_access:  read_only
        .address_space:  global
        .offset:         0
        .size:           8
        .value_kind:     global_buffer
      - .actual_access:  read_only
        .address_space:  global
        .offset:         8
        .size:           8
        .value_kind:     global_buffer
      - .actual_access:  write_only
        .address_space:  global
        .offset:         16
        .size:           8
        .value_kind:     global_buffer
      - .offset:         24
        .size:           4
        .value_kind:     by_value
      - .offset:         28
        .size:           4
        .value_kind:     by_value
      - .offset:         32
        .size:           4
        .value_kind:     by_value
      - .offset:         36
        .size:           4
        .value_kind:     by_value
      - .offset:         40
        .size:           4
        .value_kind:     by_value
    .group_segment_fixed_size: 30336
    .kernarg_segment_align: 8
    .kernarg_segment_size: 44
    .language:       OpenCL C
    .language_version:
      - 2
      - 0
    .max_flat_workgroup_size: 256
    .name:           _ZL12mul_mat_q4_0IN3c108BFloat16ELb1EEvPKvS3_PT_iiiii
    .private_segment_fixed_size: 0
    .sgpr_count:     24
    .sgpr_spill_count: 0
    .symbol:         _ZL12mul_mat_q4_0IN3c108BFloat16ELb1EEvPKvS3_PT_iiiii.kd
    .uniform_work_group_size: 1
    .uses_dynamic_stack: false
    .vgpr_count:     175
    .vgpr_spill_count: 0
    .wavefront_size: 64
  - .agpr_count:     0
    .args:
      - .actual_access:  read_only
        .address_space:  global
        .offset:         0
        .size:           8
        .value_kind:     global_buffer
      - .actual_access:  read_only
        .address_space:  global
        .offset:         8
        .size:           8
        .value_kind:     global_buffer
      - .actual_access:  write_only
        .address_space:  global
        .offset:         16
        .size:           8
        .value_kind:     global_buffer
      - .offset:         24
        .size:           4
        .value_kind:     by_value
      - .offset:         28
        .size:           4
        .value_kind:     by_value
      - .offset:         32
        .size:           4
        .value_kind:     by_value
      - .offset:         36
        .size:           4
        .value_kind:     by_value
      - .offset:         40
        .size:           4
        .value_kind:     by_value
    .group_segment_fixed_size: 30336
    .kernarg_segment_align: 8
    .kernarg_segment_size: 44
    .language:       OpenCL C
    .language_version:
      - 2
      - 0
    .max_flat_workgroup_size: 256
    .name:           _ZL12mul_mat_q4_1IN3c108BFloat16ELb0EEvPKvS3_PT_iiiii
    .private_segment_fixed_size: 0
    .sgpr_count:     22
    .sgpr_spill_count: 0
    .symbol:         _ZL12mul_mat_q4_1IN3c108BFloat16ELb0EEvPKvS3_PT_iiiii.kd
    .uniform_work_group_size: 1
    .uses_dynamic_stack: false
    .vgpr_count:     170
    .vgpr_spill_count: 0
    .wavefront_size: 64
  - .agpr_count:     0
    .args:
      - .actual_access:  read_only
        .address_space:  global
        .offset:         0
        .size:           8
        .value_kind:     global_buffer
      - .actual_access:  read_only
        .address_space:  global
        .offset:         8
        .size:           8
        .value_kind:     global_buffer
      - .actual_access:  write_only
        .address_space:  global
        .offset:         16
        .size:           8
        .value_kind:     global_buffer
      - .offset:         24
        .size:           4
        .value_kind:     by_value
      - .offset:         28
        .size:           4
        .value_kind:     by_value
      - .offset:         32
        .size:           4
        .value_kind:     by_value
      - .offset:         36
        .size:           4
        .value_kind:     by_value
      - .offset:         40
        .size:           4
        .value_kind:     by_value
    .group_segment_fixed_size: 30336
    .kernarg_segment_align: 8
    .kernarg_segment_size: 44
    .language:       OpenCL C
    .language_version:
      - 2
      - 0
    .max_flat_workgroup_size: 256
    .name:           _ZL12mul_mat_q4_1IN3c108BFloat16ELb1EEvPKvS3_PT_iiiii
    .private_segment_fixed_size: 0
    .sgpr_count:     22
    .sgpr_spill_count: 0
    .symbol:         _ZL12mul_mat_q4_1IN3c108BFloat16ELb1EEvPKvS3_PT_iiiii.kd
    .uniform_work_group_size: 1
    .uses_dynamic_stack: false
    .vgpr_count:     170
    .vgpr_spill_count: 0
    .wavefront_size: 64
  - .agpr_count:     0
    .args:
      - .actual_access:  read_only
        .address_space:  global
        .offset:         0
        .size:           8
        .value_kind:     global_buffer
      - .actual_access:  read_only
        .address_space:  global
        .offset:         8
        .size:           8
        .value_kind:     global_buffer
      - .actual_access:  write_only
        .address_space:  global
        .offset:         16
        .size:           8
        .value_kind:     global_buffer
      - .offset:         24
        .size:           4
        .value_kind:     by_value
      - .offset:         28
        .size:           4
        .value_kind:     by_value
      - .offset:         32
        .size:           4
        .value_kind:     by_value
      - .offset:         36
        .size:           4
        .value_kind:     by_value
      - .offset:         40
        .size:           4
        .value_kind:     by_value
    .group_segment_fixed_size: 46720
    .kernarg_segment_align: 8
    .kernarg_segment_size: 44
    .language:       OpenCL C
    .language_version:
      - 2
      - 0
    .max_flat_workgroup_size: 256
    .name:           _ZL12mul_mat_q5_0IN3c108BFloat16ELb0EEvPKvS3_PT_iiiii
    .private_segment_fixed_size: 0
    .sgpr_count:     24
    .sgpr_spill_count: 0
    .symbol:         _ZL12mul_mat_q5_0IN3c108BFloat16ELb0EEvPKvS3_PT_iiiii.kd
    .uniform_work_group_size: 1
    .uses_dynamic_stack: false
    .vgpr_count:     175
    .vgpr_spill_count: 0
    .wavefront_size: 64
  - .agpr_count:     0
    .args:
      - .actual_access:  read_only
        .address_space:  global
        .offset:         0
        .size:           8
        .value_kind:     global_buffer
      - .actual_access:  read_only
        .address_space:  global
        .offset:         8
        .size:           8
        .value_kind:     global_buffer
      - .actual_access:  write_only
        .address_space:  global
        .offset:         16
        .size:           8
        .value_kind:     global_buffer
      - .offset:         24
        .size:           4
        .value_kind:     by_value
      - .offset:         28
        .size:           4
        .value_kind:     by_value
      - .offset:         32
        .size:           4
        .value_kind:     by_value
      - .offset:         36
        .size:           4
        .value_kind:     by_value
      - .offset:         40
        .size:           4
        .value_kind:     by_value
    .group_segment_fixed_size: 46720
    .kernarg_segment_align: 8
    .kernarg_segment_size: 44
    .language:       OpenCL C
    .language_version:
      - 2
      - 0
    .max_flat_workgroup_size: 256
    .name:           _ZL12mul_mat_q5_0IN3c108BFloat16ELb1EEvPKvS3_PT_iiiii
    .private_segment_fixed_size: 0
    .sgpr_count:     24
    .sgpr_spill_count: 0
    .symbol:         _ZL12mul_mat_q5_0IN3c108BFloat16ELb1EEvPKvS3_PT_iiiii.kd
    .uniform_work_group_size: 1
    .uses_dynamic_stack: false
    .vgpr_count:     175
    .vgpr_spill_count: 0
    .wavefront_size: 64
  - .agpr_count:     0
    .args:
      - .actual_access:  read_only
        .address_space:  global
        .offset:         0
        .size:           8
        .value_kind:     global_buffer
      - .actual_access:  read_only
        .address_space:  global
        .offset:         8
        .size:           8
        .value_kind:     global_buffer
      - .actual_access:  write_only
        .address_space:  global
        .offset:         16
        .size:           8
        .value_kind:     global_buffer
      - .offset:         24
        .size:           4
        .value_kind:     by_value
      - .offset:         28
        .size:           4
        .value_kind:     by_value
      - .offset:         32
        .size:           4
        .value_kind:     by_value
      - .offset:         36
        .size:           4
        .value_kind:     by_value
      - .offset:         40
        .size:           4
        .value_kind:     by_value
    .group_segment_fixed_size: 46720
    .kernarg_segment_align: 8
    .kernarg_segment_size: 44
    .language:       OpenCL C
    .language_version:
      - 2
      - 0
    .max_flat_workgroup_size: 256
    .name:           _ZL12mul_mat_q5_1IN3c108BFloat16ELb0EEvPKvS3_PT_iiiii
    .private_segment_fixed_size: 0
    .sgpr_count:     21
    .sgpr_spill_count: 0
    .symbol:         _ZL12mul_mat_q5_1IN3c108BFloat16ELb0EEvPKvS3_PT_iiiii.kd
    .uniform_work_group_size: 1
    .uses_dynamic_stack: false
    .vgpr_count:     168
    .vgpr_spill_count: 0
    .wavefront_size: 64
  - .agpr_count:     0
    .args:
      - .actual_access:  read_only
        .address_space:  global
        .offset:         0
        .size:           8
        .value_kind:     global_buffer
      - .actual_access:  read_only
        .address_space:  global
        .offset:         8
        .size:           8
        .value_kind:     global_buffer
      - .actual_access:  write_only
        .address_space:  global
        .offset:         16
        .size:           8
        .value_kind:     global_buffer
      - .offset:         24
        .size:           4
        .value_kind:     by_value
      - .offset:         28
        .size:           4
        .value_kind:     by_value
      - .offset:         32
        .size:           4
        .value_kind:     by_value
      - .offset:         36
        .size:           4
        .value_kind:     by_value
      - .offset:         40
        .size:           4
        .value_kind:     by_value
    .group_segment_fixed_size: 46720
    .kernarg_segment_align: 8
    .kernarg_segment_size: 44
    .language:       OpenCL C
    .language_version:
      - 2
      - 0
    .max_flat_workgroup_size: 256
    .name:           _ZL12mul_mat_q5_1IN3c108BFloat16ELb1EEvPKvS3_PT_iiiii
    .private_segment_fixed_size: 0
    .sgpr_count:     22
    .sgpr_spill_count: 0
    .symbol:         _ZL12mul_mat_q5_1IN3c108BFloat16ELb1EEvPKvS3_PT_iiiii.kd
    .uniform_work_group_size: 1
    .uses_dynamic_stack: false
    .vgpr_count:     168
    .vgpr_spill_count: 0
    .wavefront_size: 64
  - .agpr_count:     0
    .args:
      - .actual_access:  read_only
        .address_space:  global
        .offset:         0
        .size:           8
        .value_kind:     global_buffer
      - .actual_access:  read_only
        .address_space:  global
        .offset:         8
        .size:           8
        .value_kind:     global_buffer
      - .actual_access:  write_only
        .address_space:  global
        .offset:         16
        .size:           8
        .value_kind:     global_buffer
      - .offset:         24
        .size:           4
        .value_kind:     by_value
      - .offset:         28
        .size:           4
        .value_kind:     by_value
      - .offset:         32
        .size:           4
        .value_kind:     by_value
      - .offset:         36
        .size:           4
        .value_kind:     by_value
      - .offset:         40
        .size:           4
        .value_kind:     by_value
    .group_segment_fixed_size: 28224
    .kernarg_segment_align: 8
    .kernarg_segment_size: 44
    .language:       OpenCL C
    .language_version:
      - 2
      - 0
    .max_flat_workgroup_size: 256
    .name:           _ZL12mul_mat_q8_0IN3c108BFloat16ELb0EEvPKvS3_PT_iiiii
    .private_segment_fixed_size: 0
    .sgpr_count:     22
    .sgpr_spill_count: 0
    .symbol:         _ZL12mul_mat_q8_0IN3c108BFloat16ELb0EEvPKvS3_PT_iiiii.kd
    .uniform_work_group_size: 1
    .uses_dynamic_stack: false
    .vgpr_count:     161
    .vgpr_spill_count: 0
    .wavefront_size: 64
  - .agpr_count:     0
    .args:
      - .actual_access:  read_only
        .address_space:  global
        .offset:         0
        .size:           8
        .value_kind:     global_buffer
      - .actual_access:  read_only
        .address_space:  global
        .offset:         8
        .size:           8
        .value_kind:     global_buffer
      - .actual_access:  write_only
        .address_space:  global
        .offset:         16
        .size:           8
        .value_kind:     global_buffer
      - .offset:         24
        .size:           4
        .value_kind:     by_value
      - .offset:         28
        .size:           4
        .value_kind:     by_value
      - .offset:         32
        .size:           4
        .value_kind:     by_value
      - .offset:         36
        .size:           4
        .value_kind:     by_value
      - .offset:         40
        .size:           4
        .value_kind:     by_value
    .group_segment_fixed_size: 28224
    .kernarg_segment_align: 8
    .kernarg_segment_size: 44
    .language:       OpenCL C
    .language_version:
      - 2
      - 0
    .max_flat_workgroup_size: 256
    .name:           _ZL12mul_mat_q8_0IN3c108BFloat16ELb1EEvPKvS3_PT_iiiii
    .private_segment_fixed_size: 0
    .sgpr_count:     22
    .sgpr_spill_count: 0
    .symbol:         _ZL12mul_mat_q8_0IN3c108BFloat16ELb1EEvPKvS3_PT_iiiii.kd
    .uniform_work_group_size: 1
    .uses_dynamic_stack: false
    .vgpr_count:     164
    .vgpr_spill_count: 0
    .wavefront_size: 64
  - .agpr_count:     0
    .args:
      - .actual_access:  read_only
        .address_space:  global
        .offset:         0
        .size:           8
        .value_kind:     global_buffer
      - .actual_access:  read_only
        .address_space:  global
        .offset:         8
        .size:           8
        .value_kind:     global_buffer
      - .actual_access:  write_only
        .address_space:  global
        .offset:         16
        .size:           8
        .value_kind:     global_buffer
      - .offset:         24
        .size:           4
        .value_kind:     by_value
      - .offset:         28
        .size:           4
        .value_kind:     by_value
      - .offset:         32
        .size:           4
        .value_kind:     by_value
      - .offset:         36
        .size:           4
        .value_kind:     by_value
      - .offset:         40
        .size:           4
        .value_kind:     by_value
    .group_segment_fixed_size: 31392
    .kernarg_segment_align: 8
    .kernarg_segment_size: 44
    .language:       OpenCL C
    .language_version:
      - 2
      - 0
    .max_flat_workgroup_size: 256
    .name:           _ZL12mul_mat_q2_KIN3c108BFloat16ELb0EEvPKvS3_PT_iiiii
    .private_segment_fixed_size: 0
    .sgpr_count:     26
    .sgpr_spill_count: 0
    .symbol:         _ZL12mul_mat_q2_KIN3c108BFloat16ELb0EEvPKvS3_PT_iiiii.kd
    .uniform_work_group_size: 1
    .uses_dynamic_stack: false
    .vgpr_count:     223
    .vgpr_spill_count: 0
    .wavefront_size: 64
  - .agpr_count:     0
    .args:
      - .actual_access:  read_only
        .address_space:  global
        .offset:         0
        .size:           8
        .value_kind:     global_buffer
      - .actual_access:  read_only
        .address_space:  global
        .offset:         8
        .size:           8
        .value_kind:     global_buffer
      - .actual_access:  write_only
        .address_space:  global
        .offset:         16
        .size:           8
        .value_kind:     global_buffer
      - .offset:         24
        .size:           4
        .value_kind:     by_value
      - .offset:         28
        .size:           4
        .value_kind:     by_value
      - .offset:         32
        .size:           4
        .value_kind:     by_value
      - .offset:         36
        .size:           4
        .value_kind:     by_value
      - .offset:         40
        .size:           4
        .value_kind:     by_value
    .group_segment_fixed_size: 31392
    .kernarg_segment_align: 8
    .kernarg_segment_size: 44
    .language:       OpenCL C
    .language_version:
      - 2
      - 0
    .max_flat_workgroup_size: 256
    .name:           _ZL12mul_mat_q2_KIN3c108BFloat16ELb1EEvPKvS3_PT_iiiii
    .private_segment_fixed_size: 0
    .sgpr_count:     26
    .sgpr_spill_count: 0
    .symbol:         _ZL12mul_mat_q2_KIN3c108BFloat16ELb1EEvPKvS3_PT_iiiii.kd
    .uniform_work_group_size: 1
    .uses_dynamic_stack: false
    .vgpr_count:     223
    .vgpr_spill_count: 0
    .wavefront_size: 64
  - .agpr_count:     0
    .args:
      - .actual_access:  read_only
        .address_space:  global
        .offset:         0
        .size:           8
        .value_kind:     global_buffer
      - .actual_access:  read_only
        .address_space:  global
        .offset:         8
        .size:           8
        .value_kind:     global_buffer
      - .actual_access:  write_only
        .address_space:  global
        .offset:         16
        .size:           8
        .value_kind:     global_buffer
      - .offset:         24
        .size:           4
        .value_kind:     by_value
      - .offset:         28
        .size:           4
        .value_kind:     by_value
      - .offset:         32
        .size:           4
        .value_kind:     by_value
      - .offset:         36
        .size:           4
        .value_kind:     by_value
      - .offset:         40
        .size:           4
        .value_kind:     by_value
    .group_segment_fixed_size: 39840
    .kernarg_segment_align: 8
    .kernarg_segment_size: 44
    .language:       OpenCL C
    .language_version:
      - 2
      - 0
    .max_flat_workgroup_size: 256
    .name:           _ZL12mul_mat_q3_KIN3c108BFloat16ELb0EEvPKvS3_PT_iiiii
    .private_segment_fixed_size: 0
    .sgpr_count:     32
    .sgpr_spill_count: 0
    .symbol:         _ZL12mul_mat_q3_KIN3c108BFloat16ELb0EEvPKvS3_PT_iiiii.kd
    .uniform_work_group_size: 1
    .uses_dynamic_stack: false
    .vgpr_count:     214
    .vgpr_spill_count: 0
    .wavefront_size: 64
  - .agpr_count:     0
    .args:
      - .actual_access:  read_only
        .address_space:  global
        .offset:         0
        .size:           8
        .value_kind:     global_buffer
      - .actual_access:  read_only
        .address_space:  global
        .offset:         8
        .size:           8
        .value_kind:     global_buffer
      - .actual_access:  write_only
        .address_space:  global
        .offset:         16
        .size:           8
        .value_kind:     global_buffer
      - .offset:         24
        .size:           4
        .value_kind:     by_value
      - .offset:         28
        .size:           4
        .value_kind:     by_value
      - .offset:         32
        .size:           4
        .value_kind:     by_value
      - .offset:         36
        .size:           4
        .value_kind:     by_value
      - .offset:         40
        .size:           4
        .value_kind:     by_value
    .group_segment_fixed_size: 39840
    .kernarg_segment_align: 8
    .kernarg_segment_size: 44
    .language:       OpenCL C
    .language_version:
      - 2
      - 0
    .max_flat_workgroup_size: 256
    .name:           _ZL12mul_mat_q3_KIN3c108BFloat16ELb1EEvPKvS3_PT_iiiii
    .private_segment_fixed_size: 0
    .sgpr_count:     32
    .sgpr_spill_count: 0
    .symbol:         _ZL12mul_mat_q3_KIN3c108BFloat16ELb1EEvPKvS3_PT_iiiii.kd
    .uniform_work_group_size: 1
    .uses_dynamic_stack: false
    .vgpr_count:     214
    .vgpr_spill_count: 0
    .wavefront_size: 64
  - .agpr_count:     0
    .args:
      - .actual_access:  read_only
        .address_space:  global
        .offset:         0
        .size:           8
        .value_kind:     global_buffer
      - .actual_access:  read_only
        .address_space:  global
        .offset:         8
        .size:           8
        .value_kind:     global_buffer
      - .actual_access:  write_only
        .address_space:  global
        .offset:         16
        .size:           8
        .value_kind:     global_buffer
      - .offset:         24
        .size:           4
        .value_kind:     by_value
      - .offset:         28
        .size:           4
        .value_kind:     by_value
      - .offset:         32
        .size:           4
        .value_kind:     by_value
      - .offset:         36
        .size:           4
        .value_kind:     by_value
      - .offset:         40
        .size:           4
        .value_kind:     by_value
    .group_segment_fixed_size: 28752
    .kernarg_segment_align: 8
    .kernarg_segment_size: 44
    .language:       OpenCL C
    .language_version:
      - 2
      - 0
    .max_flat_workgroup_size: 256
    .name:           _ZL12mul_mat_q4_KIN3c108BFloat16ELb0EEvPKvS3_PT_iiiii
    .private_segment_fixed_size: 44
    .sgpr_count:     28
    .sgpr_spill_count: 0
    .symbol:         _ZL12mul_mat_q4_KIN3c108BFloat16ELb0EEvPKvS3_PT_iiiii.kd
    .uniform_work_group_size: 1
    .uses_dynamic_stack: false
    .vgpr_count:     256
    .vgpr_spill_count: 10
    .wavefront_size: 64
  - .agpr_count:     0
    .args:
      - .actual_access:  read_only
        .address_space:  global
        .offset:         0
        .size:           8
        .value_kind:     global_buffer
      - .actual_access:  read_only
        .address_space:  global
        .offset:         8
        .size:           8
        .value_kind:     global_buffer
      - .actual_access:  write_only
        .address_space:  global
        .offset:         16
        .size:           8
        .value_kind:     global_buffer
      - .offset:         24
        .size:           4
        .value_kind:     by_value
      - .offset:         28
        .size:           4
        .value_kind:     by_value
      - .offset:         32
        .size:           4
        .value_kind:     by_value
      - .offset:         36
        .size:           4
        .value_kind:     by_value
      - .offset:         40
        .size:           4
        .value_kind:     by_value
    .group_segment_fixed_size: 28752
    .kernarg_segment_align: 8
    .kernarg_segment_size: 44
    .language:       OpenCL C
    .language_version:
      - 2
      - 0
    .max_flat_workgroup_size: 256
    .name:           _ZL12mul_mat_q4_KIN3c108BFloat16ELb1EEvPKvS3_PT_iiiii
    .private_segment_fixed_size: 84
    .sgpr_count:     28
    .sgpr_spill_count: 0
    .symbol:         _ZL12mul_mat_q4_KIN3c108BFloat16ELb1EEvPKvS3_PT_iiiii.kd
    .uniform_work_group_size: 1
    .uses_dynamic_stack: false
    .vgpr_count:     256
    .vgpr_spill_count: 20
    .wavefront_size: 64
  - .agpr_count:     0
    .args:
      - .actual_access:  read_only
        .address_space:  global
        .offset:         0
        .size:           8
        .value_kind:     global_buffer
      - .actual_access:  read_only
        .address_space:  global
        .offset:         8
        .size:           8
        .value_kind:     global_buffer
      - .actual_access:  write_only
        .address_space:  global
        .offset:         16
        .size:           8
        .value_kind:     global_buffer
      - .offset:         24
        .size:           4
        .value_kind:     by_value
      - .offset:         28
        .size:           4
        .value_kind:     by_value
      - .offset:         32
        .size:           4
        .value_kind:     by_value
      - .offset:         36
        .size:           4
        .value_kind:     by_value
      - .offset:         40
        .size:           4
        .value_kind:     by_value
    .group_segment_fixed_size: 45136
    .kernarg_segment_align: 8
    .kernarg_segment_size: 44
    .language:       OpenCL C
    .language_version:
      - 2
      - 0
    .max_flat_workgroup_size: 256
    .name:           _ZL12mul_mat_q5_KIN3c108BFloat16ELb0EEvPKvS3_PT_iiiii
    .private_segment_fixed_size: 36
    .sgpr_count:     32
    .sgpr_spill_count: 0
    .symbol:         _ZL12mul_mat_q5_KIN3c108BFloat16ELb0EEvPKvS3_PT_iiiii.kd
    .uniform_work_group_size: 1
    .uses_dynamic_stack: false
    .vgpr_count:     256
    .vgpr_spill_count: 8
    .wavefront_size: 64
  - .agpr_count:     0
    .args:
      - .actual_access:  read_only
        .address_space:  global
        .offset:         0
        .size:           8
        .value_kind:     global_buffer
      - .actual_access:  read_only
        .address_space:  global
        .offset:         8
        .size:           8
        .value_kind:     global_buffer
      - .actual_access:  write_only
        .address_space:  global
        .offset:         16
        .size:           8
        .value_kind:     global_buffer
      - .offset:         24
        .size:           4
        .value_kind:     by_value
      - .offset:         28
        .size:           4
        .value_kind:     by_value
      - .offset:         32
        .size:           4
        .value_kind:     by_value
      - .offset:         36
        .size:           4
        .value_kind:     by_value
      - .offset:         40
        .size:           4
        .value_kind:     by_value
    .group_segment_fixed_size: 45136
    .kernarg_segment_align: 8
    .kernarg_segment_size: 44
    .language:       OpenCL C
    .language_version:
      - 2
      - 0
    .max_flat_workgroup_size: 256
    .name:           _ZL12mul_mat_q5_KIN3c108BFloat16ELb1EEvPKvS3_PT_iiiii
    .private_segment_fixed_size: 84
    .sgpr_count:     32
    .sgpr_spill_count: 0
    .symbol:         _ZL12mul_mat_q5_KIN3c108BFloat16ELb1EEvPKvS3_PT_iiiii.kd
    .uniform_work_group_size: 1
    .uses_dynamic_stack: false
    .vgpr_count:     256
    .vgpr_spill_count: 20
    .wavefront_size: 64
  - .agpr_count:     0
    .args:
      - .actual_access:  read_only
        .address_space:  global
        .offset:         0
        .size:           8
        .value_kind:     global_buffer
      - .actual_access:  read_only
        .address_space:  global
        .offset:         8
        .size:           8
        .value_kind:     global_buffer
      - .actual_access:  write_only
        .address_space:  global
        .offset:         16
        .size:           8
        .value_kind:     global_buffer
      - .offset:         24
        .size:           4
        .value_kind:     by_value
      - .offset:         28
        .size:           4
        .value_kind:     by_value
      - .offset:         32
        .size:           4
        .value_kind:     by_value
      - .offset:         36
        .size:           4
        .value_kind:     by_value
      - .offset:         40
        .size:           4
        .value_kind:     by_value
    .group_segment_fixed_size: 45136
    .kernarg_segment_align: 8
    .kernarg_segment_size: 44
    .language:       OpenCL C
    .language_version:
      - 2
      - 0
    .max_flat_workgroup_size: 256
    .name:           _ZL12mul_mat_q6_KIN3c108BFloat16ELb0EEvPKvS3_PT_iiiii
    .private_segment_fixed_size: 0
    .sgpr_count:     30
    .sgpr_spill_count: 0
    .symbol:         _ZL12mul_mat_q6_KIN3c108BFloat16ELb0EEvPKvS3_PT_iiiii.kd
    .uniform_work_group_size: 1
    .uses_dynamic_stack: false
    .vgpr_count:     229
    .vgpr_spill_count: 0
    .wavefront_size: 64
  - .agpr_count:     0
    .args:
      - .actual_access:  read_only
        .address_space:  global
        .offset:         0
        .size:           8
        .value_kind:     global_buffer
      - .actual_access:  read_only
        .address_space:  global
        .offset:         8
        .size:           8
        .value_kind:     global_buffer
      - .actual_access:  write_only
        .address_space:  global
        .offset:         16
        .size:           8
        .value_kind:     global_buffer
      - .offset:         24
        .size:           4
        .value_kind:     by_value
      - .offset:         28
        .size:           4
        .value_kind:     by_value
      - .offset:         32
        .size:           4
        .value_kind:     by_value
      - .offset:         36
        .size:           4
        .value_kind:     by_value
      - .offset:         40
        .size:           4
        .value_kind:     by_value
    .group_segment_fixed_size: 45136
    .kernarg_segment_align: 8
    .kernarg_segment_size: 44
    .language:       OpenCL C
    .language_version:
      - 2
      - 0
    .max_flat_workgroup_size: 256
    .name:           _ZL12mul_mat_q6_KIN3c108BFloat16ELb1EEvPKvS3_PT_iiiii
    .private_segment_fixed_size: 0
    .sgpr_count:     30
    .sgpr_spill_count: 0
    .symbol:         _ZL12mul_mat_q6_KIN3c108BFloat16ELb1EEvPKvS3_PT_iiiii.kd
    .uniform_work_group_size: 1
    .uses_dynamic_stack: false
    .vgpr_count:     229
    .vgpr_spill_count: 0
    .wavefront_size: 64
  - .agpr_count:     0
    .args:
      - .actual_access:  read_only
        .address_space:  global
        .offset:         0
        .size:           8
        .value_kind:     global_buffer
      - .actual_access:  read_only
        .address_space:  global
        .offset:         8
        .size:           8
        .value_kind:     global_buffer
      - .actual_access:  write_only
        .address_space:  global
        .offset:         16
        .size:           8
        .value_kind:     global_buffer
      - .address_space:  global
        .offset:         24
        .size:           8
        .value_kind:     global_buffer
      - .address_space:  global
        .offset:         32
        .size:           8
        .value_kind:     global_buffer
      - .address_space:  global
        .offset:         40
        .size:           8
        .value_kind:     global_buffer
      - .offset:         48
        .size:           4
        .value_kind:     by_value
      - .offset:         52
        .size:           4
        .value_kind:     by_value
      - .offset:         56
        .size:           4
        .value_kind:     by_value
      - .offset:         60
        .size:           4
        .value_kind:     by_value
      - .offset:         64
        .size:           4
        .value_kind:     by_value
      - .offset:         68
        .size:           4
        .value_kind:     by_value
      - .offset:         72
        .size:           4
        .value_kind:     by_value
    .group_segment_fixed_size: 22272
    .kernarg_segment_align: 8
    .kernarg_segment_size: 76
    .language:       OpenCL C
    .language_version:
      - 2
      - 0
    .max_flat_workgroup_size: 256
    .name:           _ZL8moe_q4_0IfLb0EEvPKvS1_PT_PKiS5_S5_iiiiiii
    .private_segment_fixed_size: 0
    .sgpr_count:     28
    .sgpr_spill_count: 0
    .symbol:         _ZL8moe_q4_0IfLb0EEvPKvS1_PT_PKiS5_S5_iiiiiii.kd
    .uniform_work_group_size: 1
    .uses_dynamic_stack: false
    .vgpr_count:     146
    .vgpr_spill_count: 0
    .wavefront_size: 64
  - .agpr_count:     0
    .args:
      - .actual_access:  read_only
        .address_space:  global
        .offset:         0
        .size:           8
        .value_kind:     global_buffer
      - .actual_access:  read_only
        .address_space:  global
        .offset:         8
        .size:           8
        .value_kind:     global_buffer
      - .actual_access:  write_only
        .address_space:  global
        .offset:         16
        .size:           8
        .value_kind:     global_buffer
      - .address_space:  global
        .offset:         24
        .size:           8
        .value_kind:     global_buffer
      - .address_space:  global
        .offset:         32
        .size:           8
        .value_kind:     global_buffer
      - .address_space:  global
        .offset:         40
        .size:           8
        .value_kind:     global_buffer
      - .offset:         48
        .size:           4
        .value_kind:     by_value
      - .offset:         52
        .size:           4
        .value_kind:     by_value
      - .offset:         56
        .size:           4
        .value_kind:     by_value
      - .offset:         60
        .size:           4
        .value_kind:     by_value
      - .offset:         64
        .size:           4
        .value_kind:     by_value
      - .offset:         68
        .size:           4
        .value_kind:     by_value
      - .offset:         72
        .size:           4
        .value_kind:     by_value
    .group_segment_fixed_size: 22272
    .kernarg_segment_align: 8
    .kernarg_segment_size: 76
    .language:       OpenCL C
    .language_version:
      - 2
      - 0
    .max_flat_workgroup_size: 256
    .name:           _ZL8moe_q4_0IfLb1EEvPKvS1_PT_PKiS5_S5_iiiiiii
    .private_segment_fixed_size: 0
    .sgpr_count:     28
    .sgpr_spill_count: 0
    .symbol:         _ZL8moe_q4_0IfLb1EEvPKvS1_PT_PKiS5_S5_iiiiiii.kd
    .uniform_work_group_size: 1
    .uses_dynamic_stack: false
    .vgpr_count:     145
    .vgpr_spill_count: 0
    .wavefront_size: 64
  - .agpr_count:     0
    .args:
      - .actual_access:  read_only
        .address_space:  global
        .offset:         0
        .size:           8
        .value_kind:     global_buffer
      - .actual_access:  read_only
        .address_space:  global
        .offset:         8
        .size:           8
        .value_kind:     global_buffer
      - .actual_access:  write_only
        .address_space:  global
        .offset:         16
        .size:           8
        .value_kind:     global_buffer
      - .address_space:  global
        .offset:         24
        .size:           8
        .value_kind:     global_buffer
      - .address_space:  global
        .offset:         32
        .size:           8
        .value_kind:     global_buffer
      - .address_space:  global
        .offset:         40
        .size:           8
        .value_kind:     global_buffer
      - .offset:         48
        .size:           4
        .value_kind:     by_value
      - .offset:         52
        .size:           4
        .value_kind:     by_value
      - .offset:         56
        .size:           4
        .value_kind:     by_value
      - .offset:         60
        .size:           4
        .value_kind:     by_value
      - .offset:         64
        .size:           4
        .value_kind:     by_value
      - .offset:         68
        .size:           4
        .value_kind:     by_value
      - .offset:         72
        .size:           4
        .value_kind:     by_value
    .group_segment_fixed_size: 22272
    .kernarg_segment_align: 8
    .kernarg_segment_size: 76
    .language:       OpenCL C
    .language_version:
      - 2
      - 0
    .max_flat_workgroup_size: 256
    .name:           _ZL8moe_q4_1IfLb0EEvPKvS1_PT_PKiS5_S5_iiiiiii
    .private_segment_fixed_size: 0
    .sgpr_count:     28
    .sgpr_spill_count: 0
    .symbol:         _ZL8moe_q4_1IfLb0EEvPKvS1_PT_PKiS5_S5_iiiiiii.kd
    .uniform_work_group_size: 1
    .uses_dynamic_stack: false
    .vgpr_count:     147
    .vgpr_spill_count: 0
    .wavefront_size: 64
  - .agpr_count:     0
    .args:
      - .actual_access:  read_only
        .address_space:  global
        .offset:         0
        .size:           8
        .value_kind:     global_buffer
      - .actual_access:  read_only
        .address_space:  global
        .offset:         8
        .size:           8
        .value_kind:     global_buffer
      - .actual_access:  write_only
        .address_space:  global
        .offset:         16
        .size:           8
        .value_kind:     global_buffer
      - .address_space:  global
        .offset:         24
        .size:           8
        .value_kind:     global_buffer
      - .address_space:  global
        .offset:         32
        .size:           8
        .value_kind:     global_buffer
      - .address_space:  global
        .offset:         40
        .size:           8
        .value_kind:     global_buffer
      - .offset:         48
        .size:           4
        .value_kind:     by_value
      - .offset:         52
        .size:           4
        .value_kind:     by_value
      - .offset:         56
        .size:           4
        .value_kind:     by_value
      - .offset:         60
        .size:           4
        .value_kind:     by_value
      - .offset:         64
        .size:           4
        .value_kind:     by_value
      - .offset:         68
        .size:           4
        .value_kind:     by_value
      - .offset:         72
        .size:           4
        .value_kind:     by_value
    .group_segment_fixed_size: 22272
    .kernarg_segment_align: 8
    .kernarg_segment_size: 76
    .language:       OpenCL C
    .language_version:
      - 2
      - 0
    .max_flat_workgroup_size: 256
    .name:           _ZL8moe_q4_1IfLb1EEvPKvS1_PT_PKiS5_S5_iiiiiii
    .private_segment_fixed_size: 0
    .sgpr_count:     28
    .sgpr_spill_count: 0
    .symbol:         _ZL8moe_q4_1IfLb1EEvPKvS1_PT_PKiS5_S5_iiiiiii.kd
    .uniform_work_group_size: 1
    .uses_dynamic_stack: false
    .vgpr_count:     146
    .vgpr_spill_count: 0
    .wavefront_size: 64
  - .agpr_count:     0
    .args:
      - .actual_access:  read_only
        .address_space:  global
        .offset:         0
        .size:           8
        .value_kind:     global_buffer
      - .actual_access:  read_only
        .address_space:  global
        .offset:         8
        .size:           8
        .value_kind:     global_buffer
      - .actual_access:  write_only
        .address_space:  global
        .offset:         16
        .size:           8
        .value_kind:     global_buffer
      - .address_space:  global
        .offset:         24
        .size:           8
        .value_kind:     global_buffer
      - .address_space:  global
        .offset:         32
        .size:           8
        .value_kind:     global_buffer
      - .address_space:  global
        .offset:         40
        .size:           8
        .value_kind:     global_buffer
      - .offset:         48
        .size:           4
        .value_kind:     by_value
      - .offset:         52
        .size:           4
        .value_kind:     by_value
      - .offset:         56
        .size:           4
        .value_kind:     by_value
      - .offset:         60
        .size:           4
        .value_kind:     by_value
      - .offset:         64
        .size:           4
        .value_kind:     by_value
      - .offset:         68
        .size:           4
        .value_kind:     by_value
      - .offset:         72
        .size:           4
        .value_kind:     by_value
    .group_segment_fixed_size: 38656
    .kernarg_segment_align: 8
    .kernarg_segment_size: 76
    .language:       OpenCL C
    .language_version:
      - 2
      - 0
    .max_flat_workgroup_size: 256
    .name:           _ZL8moe_q5_0IfLb0EEvPKvS1_PT_PKiS5_S5_iiiiiii
    .private_segment_fixed_size: 0
    .sgpr_count:     30
    .sgpr_spill_count: 0
    .symbol:         _ZL8moe_q5_0IfLb0EEvPKvS1_PT_PKiS5_S5_iiiiiii.kd
    .uniform_work_group_size: 1
    .uses_dynamic_stack: false
    .vgpr_count:     169
    .vgpr_spill_count: 0
    .wavefront_size: 64
  - .agpr_count:     0
    .args:
      - .actual_access:  read_only
        .address_space:  global
        .offset:         0
        .size:           8
        .value_kind:     global_buffer
      - .actual_access:  read_only
        .address_space:  global
        .offset:         8
        .size:           8
        .value_kind:     global_buffer
      - .actual_access:  write_only
        .address_space:  global
        .offset:         16
        .size:           8
        .value_kind:     global_buffer
      - .address_space:  global
        .offset:         24
        .size:           8
        .value_kind:     global_buffer
      - .address_space:  global
        .offset:         32
        .size:           8
        .value_kind:     global_buffer
      - .address_space:  global
        .offset:         40
        .size:           8
        .value_kind:     global_buffer
      - .offset:         48
        .size:           4
        .value_kind:     by_value
      - .offset:         52
        .size:           4
        .value_kind:     by_value
      - .offset:         56
        .size:           4
        .value_kind:     by_value
      - .offset:         60
        .size:           4
        .value_kind:     by_value
      - .offset:         64
        .size:           4
        .value_kind:     by_value
      - .offset:         68
        .size:           4
        .value_kind:     by_value
      - .offset:         72
        .size:           4
        .value_kind:     by_value
    .group_segment_fixed_size: 38656
    .kernarg_segment_align: 8
    .kernarg_segment_size: 76
    .language:       OpenCL C
    .language_version:
      - 2
      - 0
    .max_flat_workgroup_size: 256
    .name:           _ZL8moe_q5_0IfLb1EEvPKvS1_PT_PKiS5_S5_iiiiiii
    .private_segment_fixed_size: 0
    .sgpr_count:     30
    .sgpr_spill_count: 0
    .symbol:         _ZL8moe_q5_0IfLb1EEvPKvS1_PT_PKiS5_S5_iiiiiii.kd
    .uniform_work_group_size: 1
    .uses_dynamic_stack: false
    .vgpr_count:     169
    .vgpr_spill_count: 0
    .wavefront_size: 64
  - .agpr_count:     0
    .args:
      - .actual_access:  read_only
        .address_space:  global
        .offset:         0
        .size:           8
        .value_kind:     global_buffer
      - .actual_access:  read_only
        .address_space:  global
        .offset:         8
        .size:           8
        .value_kind:     global_buffer
      - .actual_access:  write_only
        .address_space:  global
        .offset:         16
        .size:           8
        .value_kind:     global_buffer
      - .address_space:  global
        .offset:         24
        .size:           8
        .value_kind:     global_buffer
      - .address_space:  global
        .offset:         32
        .size:           8
        .value_kind:     global_buffer
      - .address_space:  global
        .offset:         40
        .size:           8
        .value_kind:     global_buffer
      - .offset:         48
        .size:           4
        .value_kind:     by_value
      - .offset:         52
        .size:           4
        .value_kind:     by_value
      - .offset:         56
        .size:           4
        .value_kind:     by_value
      - .offset:         60
        .size:           4
        .value_kind:     by_value
      - .offset:         64
        .size:           4
        .value_kind:     by_value
      - .offset:         68
        .size:           4
        .value_kind:     by_value
      - .offset:         72
        .size:           4
        .value_kind:     by_value
    .group_segment_fixed_size: 38656
    .kernarg_segment_align: 8
    .kernarg_segment_size: 76
    .language:       OpenCL C
    .language_version:
      - 2
      - 0
    .max_flat_workgroup_size: 256
    .name:           _ZL8moe_q5_1IfLb0EEvPKvS1_PT_PKiS5_S5_iiiiiii
    .private_segment_fixed_size: 0
    .sgpr_count:     28
    .sgpr_spill_count: 0
    .symbol:         _ZL8moe_q5_1IfLb0EEvPKvS1_PT_PKiS5_S5_iiiiiii.kd
    .uniform_work_group_size: 1
    .uses_dynamic_stack: false
    .vgpr_count:     178
    .vgpr_spill_count: 0
    .wavefront_size: 64
  - .agpr_count:     0
    .args:
      - .actual_access:  read_only
        .address_space:  global
        .offset:         0
        .size:           8
        .value_kind:     global_buffer
      - .actual_access:  read_only
        .address_space:  global
        .offset:         8
        .size:           8
        .value_kind:     global_buffer
      - .actual_access:  write_only
        .address_space:  global
        .offset:         16
        .size:           8
        .value_kind:     global_buffer
      - .address_space:  global
        .offset:         24
        .size:           8
        .value_kind:     global_buffer
      - .address_space:  global
        .offset:         32
        .size:           8
        .value_kind:     global_buffer
      - .address_space:  global
        .offset:         40
        .size:           8
        .value_kind:     global_buffer
      - .offset:         48
        .size:           4
        .value_kind:     by_value
      - .offset:         52
        .size:           4
        .value_kind:     by_value
      - .offset:         56
        .size:           4
        .value_kind:     by_value
      - .offset:         60
        .size:           4
        .value_kind:     by_value
      - .offset:         64
        .size:           4
        .value_kind:     by_value
      - .offset:         68
        .size:           4
        .value_kind:     by_value
      - .offset:         72
        .size:           4
        .value_kind:     by_value
    .group_segment_fixed_size: 38656
    .kernarg_segment_align: 8
    .kernarg_segment_size: 76
    .language:       OpenCL C
    .language_version:
      - 2
      - 0
    .max_flat_workgroup_size: 256
    .name:           _ZL8moe_q5_1IfLb1EEvPKvS1_PT_PKiS5_S5_iiiiiii
    .private_segment_fixed_size: 0
    .sgpr_count:     28
    .sgpr_spill_count: 0
    .symbol:         _ZL8moe_q5_1IfLb1EEvPKvS1_PT_PKiS5_S5_iiiiiii.kd
    .uniform_work_group_size: 1
    .uses_dynamic_stack: false
    .vgpr_count:     178
    .vgpr_spill_count: 0
    .wavefront_size: 64
  - .agpr_count:     0
    .args:
      - .actual_access:  read_only
        .address_space:  global
        .offset:         0
        .size:           8
        .value_kind:     global_buffer
      - .actual_access:  read_only
        .address_space:  global
        .offset:         8
        .size:           8
        .value_kind:     global_buffer
      - .actual_access:  write_only
        .address_space:  global
        .offset:         16
        .size:           8
        .value_kind:     global_buffer
      - .address_space:  global
        .offset:         24
        .size:           8
        .value_kind:     global_buffer
      - .address_space:  global
        .offset:         32
        .size:           8
        .value_kind:     global_buffer
      - .address_space:  global
        .offset:         40
        .size:           8
        .value_kind:     global_buffer
      - .offset:         48
        .size:           4
        .value_kind:     by_value
      - .offset:         52
        .size:           4
        .value_kind:     by_value
      - .offset:         56
        .size:           4
        .value_kind:     by_value
      - .offset:         60
        .size:           4
        .value_kind:     by_value
      - .offset:         64
        .size:           4
        .value_kind:     by_value
      - .offset:         68
        .size:           4
        .value_kind:     by_value
      - .offset:         72
        .size:           4
        .value_kind:     by_value
    .group_segment_fixed_size: 20160
    .kernarg_segment_align: 8
    .kernarg_segment_size: 76
    .language:       OpenCL C
    .language_version:
      - 2
      - 0
    .max_flat_workgroup_size: 256
    .name:           _ZL8moe_q8_0IfLb0EEvPKvS1_PT_PKiS5_S5_iiiiiii
    .private_segment_fixed_size: 0
    .sgpr_count:     28
    .sgpr_spill_count: 0
    .symbol:         _ZL8moe_q8_0IfLb0EEvPKvS1_PT_PKiS5_S5_iiiiiii.kd
    .uniform_work_group_size: 1
    .uses_dynamic_stack: false
    .vgpr_count:     124
    .vgpr_spill_count: 0
    .wavefront_size: 64
  - .agpr_count:     0
    .args:
      - .actual_access:  read_only
        .address_space:  global
        .offset:         0
        .size:           8
        .value_kind:     global_buffer
      - .actual_access:  read_only
        .address_space:  global
        .offset:         8
        .size:           8
        .value_kind:     global_buffer
      - .actual_access:  write_only
        .address_space:  global
        .offset:         16
        .size:           8
        .value_kind:     global_buffer
      - .address_space:  global
        .offset:         24
        .size:           8
        .value_kind:     global_buffer
      - .address_space:  global
        .offset:         32
        .size:           8
        .value_kind:     global_buffer
      - .address_space:  global
        .offset:         40
        .size:           8
        .value_kind:     global_buffer
      - .offset:         48
        .size:           4
        .value_kind:     by_value
      - .offset:         52
        .size:           4
        .value_kind:     by_value
      - .offset:         56
        .size:           4
        .value_kind:     by_value
      - .offset:         60
        .size:           4
        .value_kind:     by_value
      - .offset:         64
        .size:           4
        .value_kind:     by_value
      - .offset:         68
        .size:           4
        .value_kind:     by_value
      - .offset:         72
        .size:           4
        .value_kind:     by_value
    .group_segment_fixed_size: 20160
    .kernarg_segment_align: 8
    .kernarg_segment_size: 76
    .language:       OpenCL C
    .language_version:
      - 2
      - 0
    .max_flat_workgroup_size: 256
    .name:           _ZL8moe_q8_0IfLb1EEvPKvS1_PT_PKiS5_S5_iiiiiii
    .private_segment_fixed_size: 0
    .sgpr_count:     28
    .sgpr_spill_count: 0
    .symbol:         _ZL8moe_q8_0IfLb1EEvPKvS1_PT_PKiS5_S5_iiiiiii.kd
    .uniform_work_group_size: 1
    .uses_dynamic_stack: false
    .vgpr_count:     124
    .vgpr_spill_count: 0
    .wavefront_size: 64
  - .agpr_count:     0
    .args:
      - .actual_access:  read_only
        .address_space:  global
        .offset:         0
        .size:           8
        .value_kind:     global_buffer
      - .actual_access:  read_only
        .address_space:  global
        .offset:         8
        .size:           8
        .value_kind:     global_buffer
      - .actual_access:  write_only
        .address_space:  global
        .offset:         16
        .size:           8
        .value_kind:     global_buffer
      - .address_space:  global
        .offset:         24
        .size:           8
        .value_kind:     global_buffer
      - .address_space:  global
        .offset:         32
        .size:           8
        .value_kind:     global_buffer
      - .address_space:  global
        .offset:         40
        .size:           8
        .value_kind:     global_buffer
      - .offset:         48
        .size:           4
        .value_kind:     by_value
      - .offset:         52
        .size:           4
        .value_kind:     by_value
      - .offset:         56
        .size:           4
        .value_kind:     by_value
      - .offset:         60
        .size:           4
        .value_kind:     by_value
      - .offset:         64
        .size:           4
        .value_kind:     by_value
      - .offset:         68
        .size:           4
        .value_kind:     by_value
      - .offset:         72
        .size:           4
        .value_kind:     by_value
    .group_segment_fixed_size: 23328
    .kernarg_segment_align: 8
    .kernarg_segment_size: 76
    .language:       OpenCL C
    .language_version:
      - 2
      - 0
    .max_flat_workgroup_size: 256
    .name:           _ZL8moe_q2_KIfLb0EEvPKvS1_PT_PKiS5_S5_iiiiiii
    .private_segment_fixed_size: 0
    .sgpr_count:     38
    .sgpr_spill_count: 0
    .symbol:         _ZL8moe_q2_KIfLb0EEvPKvS1_PT_PKiS5_S5_iiiiiii.kd
    .uniform_work_group_size: 1
    .uses_dynamic_stack: false
    .vgpr_count:     170
    .vgpr_spill_count: 0
    .wavefront_size: 64
  - .agpr_count:     0
    .args:
      - .actual_access:  read_only
        .address_space:  global
        .offset:         0
        .size:           8
        .value_kind:     global_buffer
      - .actual_access:  read_only
        .address_space:  global
        .offset:         8
        .size:           8
        .value_kind:     global_buffer
      - .actual_access:  write_only
        .address_space:  global
        .offset:         16
        .size:           8
        .value_kind:     global_buffer
      - .address_space:  global
        .offset:         24
        .size:           8
        .value_kind:     global_buffer
      - .address_space:  global
        .offset:         32
        .size:           8
        .value_kind:     global_buffer
      - .address_space:  global
        .offset:         40
        .size:           8
        .value_kind:     global_buffer
      - .offset:         48
        .size:           4
        .value_kind:     by_value
      - .offset:         52
        .size:           4
        .value_kind:     by_value
      - .offset:         56
        .size:           4
        .value_kind:     by_value
      - .offset:         60
        .size:           4
        .value_kind:     by_value
      - .offset:         64
        .size:           4
        .value_kind:     by_value
      - .offset:         68
        .size:           4
        .value_kind:     by_value
      - .offset:         72
        .size:           4
        .value_kind:     by_value
    .group_segment_fixed_size: 23328
    .kernarg_segment_align: 8
    .kernarg_segment_size: 76
    .language:       OpenCL C
    .language_version:
      - 2
      - 0
    .max_flat_workgroup_size: 256
    .name:           _ZL8moe_q2_KIfLb1EEvPKvS1_PT_PKiS5_S5_iiiiiii
    .private_segment_fixed_size: 0
    .sgpr_count:     38
    .sgpr_spill_count: 0
    .symbol:         _ZL8moe_q2_KIfLb1EEvPKvS1_PT_PKiS5_S5_iiiiiii.kd
    .uniform_work_group_size: 1
    .uses_dynamic_stack: false
    .vgpr_count:     170
    .vgpr_spill_count: 0
    .wavefront_size: 64
  - .agpr_count:     0
    .args:
      - .actual_access:  read_only
        .address_space:  global
        .offset:         0
        .size:           8
        .value_kind:     global_buffer
      - .actual_access:  read_only
        .address_space:  global
        .offset:         8
        .size:           8
        .value_kind:     global_buffer
      - .actual_access:  write_only
        .address_space:  global
        .offset:         16
        .size:           8
        .value_kind:     global_buffer
      - .address_space:  global
        .offset:         24
        .size:           8
        .value_kind:     global_buffer
      - .address_space:  global
        .offset:         32
        .size:           8
        .value_kind:     global_buffer
      - .address_space:  global
        .offset:         40
        .size:           8
        .value_kind:     global_buffer
      - .offset:         48
        .size:           4
        .value_kind:     by_value
      - .offset:         52
        .size:           4
        .value_kind:     by_value
      - .offset:         56
        .size:           4
        .value_kind:     by_value
      - .offset:         60
        .size:           4
        .value_kind:     by_value
      - .offset:         64
        .size:           4
        .value_kind:     by_value
      - .offset:         68
        .size:           4
        .value_kind:     by_value
      - .offset:         72
        .size:           4
        .value_kind:     by_value
    .group_segment_fixed_size: 31776
    .kernarg_segment_align: 8
    .kernarg_segment_size: 76
    .language:       OpenCL C
    .language_version:
      - 2
      - 0
    .max_flat_workgroup_size: 256
    .name:           _ZL8moe_q3_KIfLb0EEvPKvS1_PT_PKiS5_S5_iiiiiii
    .private_segment_fixed_size: 0
    .sgpr_count:     44
    .sgpr_spill_count: 0
    .symbol:         _ZL8moe_q3_KIfLb0EEvPKvS1_PT_PKiS5_S5_iiiiiii.kd
    .uniform_work_group_size: 1
    .uses_dynamic_stack: false
    .vgpr_count:     150
    .vgpr_spill_count: 0
    .wavefront_size: 64
  - .agpr_count:     0
    .args:
      - .actual_access:  read_only
        .address_space:  global
        .offset:         0
        .size:           8
        .value_kind:     global_buffer
      - .actual_access:  read_only
        .address_space:  global
        .offset:         8
        .size:           8
        .value_kind:     global_buffer
      - .actual_access:  write_only
        .address_space:  global
        .offset:         16
        .size:           8
        .value_kind:     global_buffer
      - .address_space:  global
        .offset:         24
        .size:           8
        .value_kind:     global_buffer
      - .address_space:  global
        .offset:         32
        .size:           8
        .value_kind:     global_buffer
      - .address_space:  global
        .offset:         40
        .size:           8
        .value_kind:     global_buffer
      - .offset:         48
        .size:           4
        .value_kind:     by_value
      - .offset:         52
        .size:           4
        .value_kind:     by_value
      - .offset:         56
        .size:           4
        .value_kind:     by_value
      - .offset:         60
        .size:           4
        .value_kind:     by_value
      - .offset:         64
        .size:           4
        .value_kind:     by_value
      - .offset:         68
        .size:           4
        .value_kind:     by_value
      - .offset:         72
        .size:           4
        .value_kind:     by_value
    .group_segment_fixed_size: 31776
    .kernarg_segment_align: 8
    .kernarg_segment_size: 76
    .language:       OpenCL C
    .language_version:
      - 2
      - 0
    .max_flat_workgroup_size: 256
    .name:           _ZL8moe_q3_KIfLb1EEvPKvS1_PT_PKiS5_S5_iiiiiii
    .private_segment_fixed_size: 0
    .sgpr_count:     44
    .sgpr_spill_count: 0
    .symbol:         _ZL8moe_q3_KIfLb1EEvPKvS1_PT_PKiS5_S5_iiiiiii.kd
    .uniform_work_group_size: 1
    .uses_dynamic_stack: false
    .vgpr_count:     150
    .vgpr_spill_count: 0
    .wavefront_size: 64
  - .agpr_count:     0
    .args:
      - .actual_access:  read_only
        .address_space:  global
        .offset:         0
        .size:           8
        .value_kind:     global_buffer
      - .actual_access:  read_only
        .address_space:  global
        .offset:         8
        .size:           8
        .value_kind:     global_buffer
      - .actual_access:  write_only
        .address_space:  global
        .offset:         16
        .size:           8
        .value_kind:     global_buffer
      - .address_space:  global
        .offset:         24
        .size:           8
        .value_kind:     global_buffer
      - .address_space:  global
        .offset:         32
        .size:           8
        .value_kind:     global_buffer
      - .address_space:  global
        .offset:         40
        .size:           8
        .value_kind:     global_buffer
      - .offset:         48
        .size:           4
        .value_kind:     by_value
      - .offset:         52
        .size:           4
        .value_kind:     by_value
      - .offset:         56
        .size:           4
        .value_kind:     by_value
      - .offset:         60
        .size:           4
        .value_kind:     by_value
      - .offset:         64
        .size:           4
        .value_kind:     by_value
      - .offset:         68
        .size:           4
        .value_kind:     by_value
      - .offset:         72
        .size:           4
        .value_kind:     by_value
    .group_segment_fixed_size: 20688
    .kernarg_segment_align: 8
    .kernarg_segment_size: 76
    .language:       OpenCL C
    .language_version:
      - 2
      - 0
    .max_flat_workgroup_size: 256
    .name:           _ZL8moe_q4_KIfLb0EEvPKvS1_PT_PKiS5_S5_iiiiiii
    .private_segment_fixed_size: 0
    .sgpr_count:     32
    .sgpr_spill_count: 0
    .symbol:         _ZL8moe_q4_KIfLb0EEvPKvS1_PT_PKiS5_S5_iiiiiii.kd
    .uniform_work_group_size: 1
    .uses_dynamic_stack: false
    .vgpr_count:     154
    .vgpr_spill_count: 0
    .wavefront_size: 64
  - .agpr_count:     0
    .args:
      - .actual_access:  read_only
        .address_space:  global
        .offset:         0
        .size:           8
        .value_kind:     global_buffer
      - .actual_access:  read_only
        .address_space:  global
        .offset:         8
        .size:           8
        .value_kind:     global_buffer
      - .actual_access:  write_only
        .address_space:  global
        .offset:         16
        .size:           8
        .value_kind:     global_buffer
      - .address_space:  global
        .offset:         24
        .size:           8
        .value_kind:     global_buffer
      - .address_space:  global
        .offset:         32
        .size:           8
        .value_kind:     global_buffer
      - .address_space:  global
        .offset:         40
        .size:           8
        .value_kind:     global_buffer
      - .offset:         48
        .size:           4
        .value_kind:     by_value
      - .offset:         52
        .size:           4
        .value_kind:     by_value
      - .offset:         56
        .size:           4
        .value_kind:     by_value
      - .offset:         60
        .size:           4
        .value_kind:     by_value
      - .offset:         64
        .size:           4
        .value_kind:     by_value
      - .offset:         68
        .size:           4
        .value_kind:     by_value
      - .offset:         72
        .size:           4
        .value_kind:     by_value
    .group_segment_fixed_size: 20688
    .kernarg_segment_align: 8
    .kernarg_segment_size: 76
    .language:       OpenCL C
    .language_version:
      - 2
      - 0
    .max_flat_workgroup_size: 256
    .name:           _ZL8moe_q4_KIfLb1EEvPKvS1_PT_PKiS5_S5_iiiiiii
    .private_segment_fixed_size: 0
    .sgpr_count:     32
    .sgpr_spill_count: 0
    .symbol:         _ZL8moe_q4_KIfLb1EEvPKvS1_PT_PKiS5_S5_iiiiiii.kd
    .uniform_work_group_size: 1
    .uses_dynamic_stack: false
    .vgpr_count:     154
    .vgpr_spill_count: 0
    .wavefront_size: 64
  - .agpr_count:     0
    .args:
      - .actual_access:  read_only
        .address_space:  global
        .offset:         0
        .size:           8
        .value_kind:     global_buffer
      - .actual_access:  read_only
        .address_space:  global
        .offset:         8
        .size:           8
        .value_kind:     global_buffer
      - .actual_access:  write_only
        .address_space:  global
        .offset:         16
        .size:           8
        .value_kind:     global_buffer
      - .address_space:  global
        .offset:         24
        .size:           8
        .value_kind:     global_buffer
      - .address_space:  global
        .offset:         32
        .size:           8
        .value_kind:     global_buffer
      - .address_space:  global
        .offset:         40
        .size:           8
        .value_kind:     global_buffer
      - .offset:         48
        .size:           4
        .value_kind:     by_value
      - .offset:         52
        .size:           4
        .value_kind:     by_value
      - .offset:         56
        .size:           4
        .value_kind:     by_value
      - .offset:         60
        .size:           4
        .value_kind:     by_value
      - .offset:         64
        .size:           4
        .value_kind:     by_value
      - .offset:         68
        .size:           4
        .value_kind:     by_value
      - .offset:         72
        .size:           4
        .value_kind:     by_value
    .group_segment_fixed_size: 37072
    .kernarg_segment_align: 8
    .kernarg_segment_size: 76
    .language:       OpenCL C
    .language_version:
      - 2
      - 0
    .max_flat_workgroup_size: 256
    .name:           _ZL8moe_q5_KIfLb0EEvPKvS1_PT_PKiS5_S5_iiiiiii
    .private_segment_fixed_size: 0
    .sgpr_count:     32
    .sgpr_spill_count: 0
    .symbol:         _ZL8moe_q5_KIfLb0EEvPKvS1_PT_PKiS5_S5_iiiiiii.kd
    .uniform_work_group_size: 1
    .uses_dynamic_stack: false
    .vgpr_count:     191
    .vgpr_spill_count: 0
    .wavefront_size: 64
  - .agpr_count:     0
    .args:
      - .actual_access:  read_only
        .address_space:  global
        .offset:         0
        .size:           8
        .value_kind:     global_buffer
      - .actual_access:  read_only
        .address_space:  global
        .offset:         8
        .size:           8
        .value_kind:     global_buffer
      - .actual_access:  write_only
        .address_space:  global
        .offset:         16
        .size:           8
        .value_kind:     global_buffer
      - .address_space:  global
        .offset:         24
        .size:           8
        .value_kind:     global_buffer
      - .address_space:  global
        .offset:         32
        .size:           8
        .value_kind:     global_buffer
      - .address_space:  global
        .offset:         40
        .size:           8
        .value_kind:     global_buffer
      - .offset:         48
        .size:           4
        .value_kind:     by_value
      - .offset:         52
        .size:           4
        .value_kind:     by_value
      - .offset:         56
        .size:           4
        .value_kind:     by_value
      - .offset:         60
        .size:           4
        .value_kind:     by_value
      - .offset:         64
        .size:           4
        .value_kind:     by_value
      - .offset:         68
        .size:           4
        .value_kind:     by_value
      - .offset:         72
        .size:           4
        .value_kind:     by_value
    .group_segment_fixed_size: 37072
    .kernarg_segment_align: 8
    .kernarg_segment_size: 76
    .language:       OpenCL C
    .language_version:
      - 2
      - 0
    .max_flat_workgroup_size: 256
    .name:           _ZL8moe_q5_KIfLb1EEvPKvS1_PT_PKiS5_S5_iiiiiii
    .private_segment_fixed_size: 0
    .sgpr_count:     32
    .sgpr_spill_count: 0
    .symbol:         _ZL8moe_q5_KIfLb1EEvPKvS1_PT_PKiS5_S5_iiiiiii.kd
    .uniform_work_group_size: 1
    .uses_dynamic_stack: false
    .vgpr_count:     191
    .vgpr_spill_count: 0
    .wavefront_size: 64
  - .agpr_count:     0
    .args:
      - .actual_access:  read_only
        .address_space:  global
        .offset:         0
        .size:           8
        .value_kind:     global_buffer
      - .actual_access:  read_only
        .address_space:  global
        .offset:         8
        .size:           8
        .value_kind:     global_buffer
      - .actual_access:  write_only
        .address_space:  global
        .offset:         16
        .size:           8
        .value_kind:     global_buffer
      - .address_space:  global
        .offset:         24
        .size:           8
        .value_kind:     global_buffer
      - .address_space:  global
        .offset:         32
        .size:           8
        .value_kind:     global_buffer
      - .address_space:  global
        .offset:         40
        .size:           8
        .value_kind:     global_buffer
      - .offset:         48
        .size:           4
        .value_kind:     by_value
      - .offset:         52
        .size:           4
        .value_kind:     by_value
      - .offset:         56
        .size:           4
        .value_kind:     by_value
      - .offset:         60
        .size:           4
        .value_kind:     by_value
      - .offset:         64
        .size:           4
        .value_kind:     by_value
      - .offset:         68
        .size:           4
        .value_kind:     by_value
      - .offset:         72
        .size:           4
        .value_kind:     by_value
    .group_segment_fixed_size: 37072
    .kernarg_segment_align: 8
    .kernarg_segment_size: 76
    .language:       OpenCL C
    .language_version:
      - 2
      - 0
    .max_flat_workgroup_size: 256
    .name:           _ZL8moe_q6_KIfLb0EEvPKvS1_PT_PKiS5_S5_iiiiiii
    .private_segment_fixed_size: 0
    .sgpr_count:     34
    .sgpr_spill_count: 0
    .symbol:         _ZL8moe_q6_KIfLb0EEvPKvS1_PT_PKiS5_S5_iiiiiii.kd
    .uniform_work_group_size: 1
    .uses_dynamic_stack: false
    .vgpr_count:     169
    .vgpr_spill_count: 0
    .wavefront_size: 64
  - .agpr_count:     0
    .args:
      - .actual_access:  read_only
        .address_space:  global
        .offset:         0
        .size:           8
        .value_kind:     global_buffer
      - .actual_access:  read_only
        .address_space:  global
        .offset:         8
        .size:           8
        .value_kind:     global_buffer
      - .actual_access:  write_only
        .address_space:  global
        .offset:         16
        .size:           8
        .value_kind:     global_buffer
      - .address_space:  global
        .offset:         24
        .size:           8
        .value_kind:     global_buffer
      - .address_space:  global
        .offset:         32
        .size:           8
        .value_kind:     global_buffer
      - .address_space:  global
        .offset:         40
        .size:           8
        .value_kind:     global_buffer
      - .offset:         48
        .size:           4
        .value_kind:     by_value
      - .offset:         52
        .size:           4
        .value_kind:     by_value
      - .offset:         56
        .size:           4
        .value_kind:     by_value
      - .offset:         60
        .size:           4
        .value_kind:     by_value
      - .offset:         64
        .size:           4
        .value_kind:     by_value
      - .offset:         68
        .size:           4
        .value_kind:     by_value
      - .offset:         72
        .size:           4
        .value_kind:     by_value
    .group_segment_fixed_size: 37072
    .kernarg_segment_align: 8
    .kernarg_segment_size: 76
    .language:       OpenCL C
    .language_version:
      - 2
      - 0
    .max_flat_workgroup_size: 256
    .name:           _ZL8moe_q6_KIfLb1EEvPKvS1_PT_PKiS5_S5_iiiiiii
    .private_segment_fixed_size: 0
    .sgpr_count:     33
    .sgpr_spill_count: 0
    .symbol:         _ZL8moe_q6_KIfLb1EEvPKvS1_PT_PKiS5_S5_iiiiiii.kd
    .uniform_work_group_size: 1
    .uses_dynamic_stack: false
    .vgpr_count:     167
    .vgpr_spill_count: 0
    .wavefront_size: 64
  - .agpr_count:     0
    .args:
      - .actual_access:  read_only
        .address_space:  global
        .offset:         0
        .size:           8
        .value_kind:     global_buffer
      - .actual_access:  read_only
        .address_space:  global
        .offset:         8
        .size:           8
        .value_kind:     global_buffer
      - .actual_access:  write_only
        .address_space:  global
        .offset:         16
        .size:           8
        .value_kind:     global_buffer
      - .address_space:  global
        .offset:         24
        .size:           8
        .value_kind:     global_buffer
      - .address_space:  global
        .offset:         32
        .size:           8
        .value_kind:     global_buffer
      - .address_space:  global
        .offset:         40
        .size:           8
        .value_kind:     global_buffer
      - .offset:         48
        .size:           4
        .value_kind:     by_value
      - .offset:         52
        .size:           4
        .value_kind:     by_value
      - .offset:         56
        .size:           4
        .value_kind:     by_value
      - .offset:         60
        .size:           4
        .value_kind:     by_value
      - .offset:         64
        .size:           4
        .value_kind:     by_value
      - .offset:         68
        .size:           4
        .value_kind:     by_value
      - .offset:         72
        .size:           4
        .value_kind:     by_value
    .group_segment_fixed_size: 22272
    .kernarg_segment_align: 8
    .kernarg_segment_size: 76
    .language:       OpenCL C
    .language_version:
      - 2
      - 0
    .max_flat_workgroup_size: 256
    .name:           _ZL8moe_q4_0IN3c104HalfELb0EEvPKvS3_PT_PKiS7_S7_iiiiiii
    .private_segment_fixed_size: 0
    .sgpr_count:     28
    .sgpr_spill_count: 0
    .symbol:         _ZL8moe_q4_0IN3c104HalfELb0EEvPKvS3_PT_PKiS7_S7_iiiiiii.kd
    .uniform_work_group_size: 1
    .uses_dynamic_stack: false
    .vgpr_count:     146
    .vgpr_spill_count: 0
    .wavefront_size: 64
  - .agpr_count:     0
    .args:
      - .actual_access:  read_only
        .address_space:  global
        .offset:         0
        .size:           8
        .value_kind:     global_buffer
      - .actual_access:  read_only
        .address_space:  global
        .offset:         8
        .size:           8
        .value_kind:     global_buffer
      - .actual_access:  write_only
        .address_space:  global
        .offset:         16
        .size:           8
        .value_kind:     global_buffer
      - .address_space:  global
        .offset:         24
        .size:           8
        .value_kind:     global_buffer
      - .address_space:  global
        .offset:         32
        .size:           8
        .value_kind:     global_buffer
      - .address_space:  global
        .offset:         40
        .size:           8
        .value_kind:     global_buffer
      - .offset:         48
        .size:           4
        .value_kind:     by_value
      - .offset:         52
        .size:           4
        .value_kind:     by_value
      - .offset:         56
        .size:           4
        .value_kind:     by_value
      - .offset:         60
        .size:           4
        .value_kind:     by_value
      - .offset:         64
        .size:           4
        .value_kind:     by_value
      - .offset:         68
        .size:           4
        .value_kind:     by_value
      - .offset:         72
        .size:           4
        .value_kind:     by_value
    .group_segment_fixed_size: 22272
    .kernarg_segment_align: 8
    .kernarg_segment_size: 76
    .language:       OpenCL C
    .language_version:
      - 2
      - 0
    .max_flat_workgroup_size: 256
    .name:           _ZL8moe_q4_0IN3c104HalfELb1EEvPKvS3_PT_PKiS7_S7_iiiiiii
    .private_segment_fixed_size: 0
    .sgpr_count:     28
    .sgpr_spill_count: 0
    .symbol:         _ZL8moe_q4_0IN3c104HalfELb1EEvPKvS3_PT_PKiS7_S7_iiiiiii.kd
    .uniform_work_group_size: 1
    .uses_dynamic_stack: false
    .vgpr_count:     144
    .vgpr_spill_count: 0
    .wavefront_size: 64
  - .agpr_count:     0
    .args:
      - .actual_access:  read_only
        .address_space:  global
        .offset:         0
        .size:           8
        .value_kind:     global_buffer
      - .actual_access:  read_only
        .address_space:  global
        .offset:         8
        .size:           8
        .value_kind:     global_buffer
      - .actual_access:  write_only
        .address_space:  global
        .offset:         16
        .size:           8
        .value_kind:     global_buffer
      - .address_space:  global
        .offset:         24
        .size:           8
        .value_kind:     global_buffer
      - .address_space:  global
        .offset:         32
        .size:           8
        .value_kind:     global_buffer
      - .address_space:  global
        .offset:         40
        .size:           8
        .value_kind:     global_buffer
      - .offset:         48
        .size:           4
        .value_kind:     by_value
      - .offset:         52
        .size:           4
        .value_kind:     by_value
      - .offset:         56
        .size:           4
        .value_kind:     by_value
      - .offset:         60
        .size:           4
        .value_kind:     by_value
      - .offset:         64
        .size:           4
        .value_kind:     by_value
      - .offset:         68
        .size:           4
        .value_kind:     by_value
      - .offset:         72
        .size:           4
        .value_kind:     by_value
    .group_segment_fixed_size: 22272
    .kernarg_segment_align: 8
    .kernarg_segment_size: 76
    .language:       OpenCL C
    .language_version:
      - 2
      - 0
    .max_flat_workgroup_size: 256
    .name:           _ZL8moe_q4_1IN3c104HalfELb0EEvPKvS3_PT_PKiS7_S7_iiiiiii
    .private_segment_fixed_size: 0
    .sgpr_count:     28
    .sgpr_spill_count: 0
    .symbol:         _ZL8moe_q4_1IN3c104HalfELb0EEvPKvS3_PT_PKiS7_S7_iiiiiii.kd
    .uniform_work_group_size: 1
    .uses_dynamic_stack: false
    .vgpr_count:     146
    .vgpr_spill_count: 0
    .wavefront_size: 64
  - .agpr_count:     0
    .args:
      - .actual_access:  read_only
        .address_space:  global
        .offset:         0
        .size:           8
        .value_kind:     global_buffer
      - .actual_access:  read_only
        .address_space:  global
        .offset:         8
        .size:           8
        .value_kind:     global_buffer
      - .actual_access:  write_only
        .address_space:  global
        .offset:         16
        .size:           8
        .value_kind:     global_buffer
      - .address_space:  global
        .offset:         24
        .size:           8
        .value_kind:     global_buffer
      - .address_space:  global
        .offset:         32
        .size:           8
        .value_kind:     global_buffer
      - .address_space:  global
        .offset:         40
        .size:           8
        .value_kind:     global_buffer
      - .offset:         48
        .size:           4
        .value_kind:     by_value
      - .offset:         52
        .size:           4
        .value_kind:     by_value
      - .offset:         56
        .size:           4
        .value_kind:     by_value
      - .offset:         60
        .size:           4
        .value_kind:     by_value
      - .offset:         64
        .size:           4
        .value_kind:     by_value
      - .offset:         68
        .size:           4
        .value_kind:     by_value
      - .offset:         72
        .size:           4
        .value_kind:     by_value
    .group_segment_fixed_size: 22272
    .kernarg_segment_align: 8
    .kernarg_segment_size: 76
    .language:       OpenCL C
    .language_version:
      - 2
      - 0
    .max_flat_workgroup_size: 256
    .name:           _ZL8moe_q4_1IN3c104HalfELb1EEvPKvS3_PT_PKiS7_S7_iiiiiii
    .private_segment_fixed_size: 0
    .sgpr_count:     28
    .sgpr_spill_count: 0
    .symbol:         _ZL8moe_q4_1IN3c104HalfELb1EEvPKvS3_PT_PKiS7_S7_iiiiiii.kd
    .uniform_work_group_size: 1
    .uses_dynamic_stack: false
    .vgpr_count:     145
    .vgpr_spill_count: 0
    .wavefront_size: 64
  - .agpr_count:     0
    .args:
      - .actual_access:  read_only
        .address_space:  global
        .offset:         0
        .size:           8
        .value_kind:     global_buffer
      - .actual_access:  read_only
        .address_space:  global
        .offset:         8
        .size:           8
        .value_kind:     global_buffer
      - .actual_access:  write_only
        .address_space:  global
        .offset:         16
        .size:           8
        .value_kind:     global_buffer
      - .address_space:  global
        .offset:         24
        .size:           8
        .value_kind:     global_buffer
      - .address_space:  global
        .offset:         32
        .size:           8
        .value_kind:     global_buffer
      - .address_space:  global
        .offset:         40
        .size:           8
        .value_kind:     global_buffer
      - .offset:         48
        .size:           4
        .value_kind:     by_value
      - .offset:         52
        .size:           4
        .value_kind:     by_value
      - .offset:         56
        .size:           4
        .value_kind:     by_value
      - .offset:         60
        .size:           4
        .value_kind:     by_value
      - .offset:         64
        .size:           4
        .value_kind:     by_value
      - .offset:         68
        .size:           4
        .value_kind:     by_value
      - .offset:         72
        .size:           4
        .value_kind:     by_value
    .group_segment_fixed_size: 38656
    .kernarg_segment_align: 8
    .kernarg_segment_size: 76
    .language:       OpenCL C
    .language_version:
      - 2
      - 0
    .max_flat_workgroup_size: 256
    .name:           _ZL8moe_q5_0IN3c104HalfELb0EEvPKvS3_PT_PKiS7_S7_iiiiiii
    .private_segment_fixed_size: 0
    .sgpr_count:     30
    .sgpr_spill_count: 0
    .symbol:         _ZL8moe_q5_0IN3c104HalfELb0EEvPKvS3_PT_PKiS7_S7_iiiiiii.kd
    .uniform_work_group_size: 1
    .uses_dynamic_stack: false
    .vgpr_count:     180
    .vgpr_spill_count: 0
    .wavefront_size: 64
  - .agpr_count:     0
    .args:
      - .actual_access:  read_only
        .address_space:  global
        .offset:         0
        .size:           8
        .value_kind:     global_buffer
      - .actual_access:  read_only
        .address_space:  global
        .offset:         8
        .size:           8
        .value_kind:     global_buffer
      - .actual_access:  write_only
        .address_space:  global
        .offset:         16
        .size:           8
        .value_kind:     global_buffer
      - .address_space:  global
        .offset:         24
        .size:           8
        .value_kind:     global_buffer
      - .address_space:  global
        .offset:         32
        .size:           8
        .value_kind:     global_buffer
      - .address_space:  global
        .offset:         40
        .size:           8
        .value_kind:     global_buffer
      - .offset:         48
        .size:           4
        .value_kind:     by_value
      - .offset:         52
        .size:           4
        .value_kind:     by_value
      - .offset:         56
        .size:           4
        .value_kind:     by_value
      - .offset:         60
        .size:           4
        .value_kind:     by_value
      - .offset:         64
        .size:           4
        .value_kind:     by_value
      - .offset:         68
        .size:           4
        .value_kind:     by_value
      - .offset:         72
        .size:           4
        .value_kind:     by_value
    .group_segment_fixed_size: 38656
    .kernarg_segment_align: 8
    .kernarg_segment_size: 76
    .language:       OpenCL C
    .language_version:
      - 2
      - 0
    .max_flat_workgroup_size: 256
    .name:           _ZL8moe_q5_0IN3c104HalfELb1EEvPKvS3_PT_PKiS7_S7_iiiiiii
    .private_segment_fixed_size: 0
    .sgpr_count:     30
    .sgpr_spill_count: 0
    .symbol:         _ZL8moe_q5_0IN3c104HalfELb1EEvPKvS3_PT_PKiS7_S7_iiiiiii.kd
    .uniform_work_group_size: 1
    .uses_dynamic_stack: false
    .vgpr_count:     180
    .vgpr_spill_count: 0
    .wavefront_size: 64
  - .agpr_count:     0
    .args:
      - .actual_access:  read_only
        .address_space:  global
        .offset:         0
        .size:           8
        .value_kind:     global_buffer
      - .actual_access:  read_only
        .address_space:  global
        .offset:         8
        .size:           8
        .value_kind:     global_buffer
      - .actual_access:  write_only
        .address_space:  global
        .offset:         16
        .size:           8
        .value_kind:     global_buffer
      - .address_space:  global
        .offset:         24
        .size:           8
        .value_kind:     global_buffer
      - .address_space:  global
        .offset:         32
        .size:           8
        .value_kind:     global_buffer
      - .address_space:  global
        .offset:         40
        .size:           8
        .value_kind:     global_buffer
      - .offset:         48
        .size:           4
        .value_kind:     by_value
      - .offset:         52
        .size:           4
        .value_kind:     by_value
      - .offset:         56
        .size:           4
        .value_kind:     by_value
      - .offset:         60
        .size:           4
        .value_kind:     by_value
      - .offset:         64
        .size:           4
        .value_kind:     by_value
      - .offset:         68
        .size:           4
        .value_kind:     by_value
      - .offset:         72
        .size:           4
        .value_kind:     by_value
    .group_segment_fixed_size: 38656
    .kernarg_segment_align: 8
    .kernarg_segment_size: 76
    .language:       OpenCL C
    .language_version:
      - 2
      - 0
    .max_flat_workgroup_size: 256
    .name:           _ZL8moe_q5_1IN3c104HalfELb0EEvPKvS3_PT_PKiS7_S7_iiiiiii
    .private_segment_fixed_size: 0
    .sgpr_count:     28
    .sgpr_spill_count: 0
    .symbol:         _ZL8moe_q5_1IN3c104HalfELb0EEvPKvS3_PT_PKiS7_S7_iiiiiii.kd
    .uniform_work_group_size: 1
    .uses_dynamic_stack: false
    .vgpr_count:     178
    .vgpr_spill_count: 0
    .wavefront_size: 64
  - .agpr_count:     0
    .args:
      - .actual_access:  read_only
        .address_space:  global
        .offset:         0
        .size:           8
        .value_kind:     global_buffer
      - .actual_access:  read_only
        .address_space:  global
        .offset:         8
        .size:           8
        .value_kind:     global_buffer
      - .actual_access:  write_only
        .address_space:  global
        .offset:         16
        .size:           8
        .value_kind:     global_buffer
      - .address_space:  global
        .offset:         24
        .size:           8
        .value_kind:     global_buffer
      - .address_space:  global
        .offset:         32
        .size:           8
        .value_kind:     global_buffer
      - .address_space:  global
        .offset:         40
        .size:           8
        .value_kind:     global_buffer
      - .offset:         48
        .size:           4
        .value_kind:     by_value
      - .offset:         52
        .size:           4
        .value_kind:     by_value
      - .offset:         56
        .size:           4
        .value_kind:     by_value
      - .offset:         60
        .size:           4
        .value_kind:     by_value
      - .offset:         64
        .size:           4
        .value_kind:     by_value
      - .offset:         68
        .size:           4
        .value_kind:     by_value
      - .offset:         72
        .size:           4
        .value_kind:     by_value
    .group_segment_fixed_size: 38656
    .kernarg_segment_align: 8
    .kernarg_segment_size: 76
    .language:       OpenCL C
    .language_version:
      - 2
      - 0
    .max_flat_workgroup_size: 256
    .name:           _ZL8moe_q5_1IN3c104HalfELb1EEvPKvS3_PT_PKiS7_S7_iiiiiii
    .private_segment_fixed_size: 0
    .sgpr_count:     28
    .sgpr_spill_count: 0
    .symbol:         _ZL8moe_q5_1IN3c104HalfELb1EEvPKvS3_PT_PKiS7_S7_iiiiiii.kd
    .uniform_work_group_size: 1
    .uses_dynamic_stack: false
    .vgpr_count:     178
    .vgpr_spill_count: 0
    .wavefront_size: 64
  - .agpr_count:     0
    .args:
      - .actual_access:  read_only
        .address_space:  global
        .offset:         0
        .size:           8
        .value_kind:     global_buffer
      - .actual_access:  read_only
        .address_space:  global
        .offset:         8
        .size:           8
        .value_kind:     global_buffer
      - .actual_access:  write_only
        .address_space:  global
        .offset:         16
        .size:           8
        .value_kind:     global_buffer
      - .address_space:  global
        .offset:         24
        .size:           8
        .value_kind:     global_buffer
      - .address_space:  global
        .offset:         32
        .size:           8
        .value_kind:     global_buffer
      - .address_space:  global
        .offset:         40
        .size:           8
        .value_kind:     global_buffer
      - .offset:         48
        .size:           4
        .value_kind:     by_value
      - .offset:         52
        .size:           4
        .value_kind:     by_value
      - .offset:         56
        .size:           4
        .value_kind:     by_value
      - .offset:         60
        .size:           4
        .value_kind:     by_value
      - .offset:         64
        .size:           4
        .value_kind:     by_value
      - .offset:         68
        .size:           4
        .value_kind:     by_value
      - .offset:         72
        .size:           4
        .value_kind:     by_value
    .group_segment_fixed_size: 20160
    .kernarg_segment_align: 8
    .kernarg_segment_size: 76
    .language:       OpenCL C
    .language_version:
      - 2
      - 0
    .max_flat_workgroup_size: 256
    .name:           _ZL8moe_q8_0IN3c104HalfELb0EEvPKvS3_PT_PKiS7_S7_iiiiiii
    .private_segment_fixed_size: 0
    .sgpr_count:     28
    .sgpr_spill_count: 0
    .symbol:         _ZL8moe_q8_0IN3c104HalfELb0EEvPKvS3_PT_PKiS7_S7_iiiiiii.kd
    .uniform_work_group_size: 1
    .uses_dynamic_stack: false
    .vgpr_count:     124
    .vgpr_spill_count: 0
    .wavefront_size: 64
  - .agpr_count:     0
    .args:
      - .actual_access:  read_only
        .address_space:  global
        .offset:         0
        .size:           8
        .value_kind:     global_buffer
      - .actual_access:  read_only
        .address_space:  global
        .offset:         8
        .size:           8
        .value_kind:     global_buffer
      - .actual_access:  write_only
        .address_space:  global
        .offset:         16
        .size:           8
        .value_kind:     global_buffer
      - .address_space:  global
        .offset:         24
        .size:           8
        .value_kind:     global_buffer
      - .address_space:  global
        .offset:         32
        .size:           8
        .value_kind:     global_buffer
      - .address_space:  global
        .offset:         40
        .size:           8
        .value_kind:     global_buffer
      - .offset:         48
        .size:           4
        .value_kind:     by_value
      - .offset:         52
        .size:           4
        .value_kind:     by_value
      - .offset:         56
        .size:           4
        .value_kind:     by_value
      - .offset:         60
        .size:           4
        .value_kind:     by_value
      - .offset:         64
        .size:           4
        .value_kind:     by_value
      - .offset:         68
        .size:           4
        .value_kind:     by_value
      - .offset:         72
        .size:           4
        .value_kind:     by_value
    .group_segment_fixed_size: 20160
    .kernarg_segment_align: 8
    .kernarg_segment_size: 76
    .language:       OpenCL C
    .language_version:
      - 2
      - 0
    .max_flat_workgroup_size: 256
    .name:           _ZL8moe_q8_0IN3c104HalfELb1EEvPKvS3_PT_PKiS7_S7_iiiiiii
    .private_segment_fixed_size: 0
    .sgpr_count:     28
    .sgpr_spill_count: 0
    .symbol:         _ZL8moe_q8_0IN3c104HalfELb1EEvPKvS3_PT_PKiS7_S7_iiiiiii.kd
    .uniform_work_group_size: 1
    .uses_dynamic_stack: false
    .vgpr_count:     124
    .vgpr_spill_count: 0
    .wavefront_size: 64
  - .agpr_count:     0
    .args:
      - .actual_access:  read_only
        .address_space:  global
        .offset:         0
        .size:           8
        .value_kind:     global_buffer
      - .actual_access:  read_only
        .address_space:  global
        .offset:         8
        .size:           8
        .value_kind:     global_buffer
      - .actual_access:  write_only
        .address_space:  global
        .offset:         16
        .size:           8
        .value_kind:     global_buffer
      - .address_space:  global
        .offset:         24
        .size:           8
        .value_kind:     global_buffer
      - .address_space:  global
        .offset:         32
        .size:           8
        .value_kind:     global_buffer
      - .address_space:  global
        .offset:         40
        .size:           8
        .value_kind:     global_buffer
      - .offset:         48
        .size:           4
        .value_kind:     by_value
      - .offset:         52
        .size:           4
        .value_kind:     by_value
      - .offset:         56
        .size:           4
        .value_kind:     by_value
      - .offset:         60
        .size:           4
        .value_kind:     by_value
      - .offset:         64
        .size:           4
        .value_kind:     by_value
      - .offset:         68
        .size:           4
        .value_kind:     by_value
      - .offset:         72
        .size:           4
        .value_kind:     by_value
    .group_segment_fixed_size: 23328
    .kernarg_segment_align: 8
    .kernarg_segment_size: 76
    .language:       OpenCL C
    .language_version:
      - 2
      - 0
    .max_flat_workgroup_size: 256
    .name:           _ZL8moe_q2_KIN3c104HalfELb0EEvPKvS3_PT_PKiS7_S7_iiiiiii
    .private_segment_fixed_size: 0
    .sgpr_count:     38
    .sgpr_spill_count: 0
    .symbol:         _ZL8moe_q2_KIN3c104HalfELb0EEvPKvS3_PT_PKiS7_S7_iiiiiii.kd
    .uniform_work_group_size: 1
    .uses_dynamic_stack: false
    .vgpr_count:     170
    .vgpr_spill_count: 0
    .wavefront_size: 64
  - .agpr_count:     0
    .args:
      - .actual_access:  read_only
        .address_space:  global
        .offset:         0
        .size:           8
        .value_kind:     global_buffer
      - .actual_access:  read_only
        .address_space:  global
        .offset:         8
        .size:           8
        .value_kind:     global_buffer
      - .actual_access:  write_only
        .address_space:  global
        .offset:         16
        .size:           8
        .value_kind:     global_buffer
      - .address_space:  global
        .offset:         24
        .size:           8
        .value_kind:     global_buffer
      - .address_space:  global
        .offset:         32
        .size:           8
        .value_kind:     global_buffer
      - .address_space:  global
        .offset:         40
        .size:           8
        .value_kind:     global_buffer
      - .offset:         48
        .size:           4
        .value_kind:     by_value
      - .offset:         52
        .size:           4
        .value_kind:     by_value
      - .offset:         56
        .size:           4
        .value_kind:     by_value
      - .offset:         60
        .size:           4
        .value_kind:     by_value
      - .offset:         64
        .size:           4
        .value_kind:     by_value
      - .offset:         68
        .size:           4
        .value_kind:     by_value
      - .offset:         72
        .size:           4
        .value_kind:     by_value
    .group_segment_fixed_size: 23328
    .kernarg_segment_align: 8
    .kernarg_segment_size: 76
    .language:       OpenCL C
    .language_version:
      - 2
      - 0
    .max_flat_workgroup_size: 256
    .name:           _ZL8moe_q2_KIN3c104HalfELb1EEvPKvS3_PT_PKiS7_S7_iiiiiii
    .private_segment_fixed_size: 0
    .sgpr_count:     38
    .sgpr_spill_count: 0
    .symbol:         _ZL8moe_q2_KIN3c104HalfELb1EEvPKvS3_PT_PKiS7_S7_iiiiiii.kd
    .uniform_work_group_size: 1
    .uses_dynamic_stack: false
    .vgpr_count:     170
    .vgpr_spill_count: 0
    .wavefront_size: 64
  - .agpr_count:     0
    .args:
      - .actual_access:  read_only
        .address_space:  global
        .offset:         0
        .size:           8
        .value_kind:     global_buffer
      - .actual_access:  read_only
        .address_space:  global
        .offset:         8
        .size:           8
        .value_kind:     global_buffer
      - .actual_access:  write_only
        .address_space:  global
        .offset:         16
        .size:           8
        .value_kind:     global_buffer
      - .address_space:  global
        .offset:         24
        .size:           8
        .value_kind:     global_buffer
      - .address_space:  global
        .offset:         32
        .size:           8
        .value_kind:     global_buffer
      - .address_space:  global
        .offset:         40
        .size:           8
        .value_kind:     global_buffer
      - .offset:         48
        .size:           4
        .value_kind:     by_value
      - .offset:         52
        .size:           4
        .value_kind:     by_value
      - .offset:         56
        .size:           4
        .value_kind:     by_value
      - .offset:         60
        .size:           4
        .value_kind:     by_value
      - .offset:         64
        .size:           4
        .value_kind:     by_value
      - .offset:         68
        .size:           4
        .value_kind:     by_value
      - .offset:         72
        .size:           4
        .value_kind:     by_value
    .group_segment_fixed_size: 31776
    .kernarg_segment_align: 8
    .kernarg_segment_size: 76
    .language:       OpenCL C
    .language_version:
      - 2
      - 0
    .max_flat_workgroup_size: 256
    .name:           _ZL8moe_q3_KIN3c104HalfELb0EEvPKvS3_PT_PKiS7_S7_iiiiiii
    .private_segment_fixed_size: 0
    .sgpr_count:     44
    .sgpr_spill_count: 0
    .symbol:         _ZL8moe_q3_KIN3c104HalfELb0EEvPKvS3_PT_PKiS7_S7_iiiiiii.kd
    .uniform_work_group_size: 1
    .uses_dynamic_stack: false
    .vgpr_count:     150
    .vgpr_spill_count: 0
    .wavefront_size: 64
  - .agpr_count:     0
    .args:
      - .actual_access:  read_only
        .address_space:  global
        .offset:         0
        .size:           8
        .value_kind:     global_buffer
      - .actual_access:  read_only
        .address_space:  global
        .offset:         8
        .size:           8
        .value_kind:     global_buffer
      - .actual_access:  write_only
        .address_space:  global
        .offset:         16
        .size:           8
        .value_kind:     global_buffer
      - .address_space:  global
        .offset:         24
        .size:           8
        .value_kind:     global_buffer
      - .address_space:  global
        .offset:         32
        .size:           8
        .value_kind:     global_buffer
      - .address_space:  global
        .offset:         40
        .size:           8
        .value_kind:     global_buffer
      - .offset:         48
        .size:           4
        .value_kind:     by_value
      - .offset:         52
        .size:           4
        .value_kind:     by_value
      - .offset:         56
        .size:           4
        .value_kind:     by_value
      - .offset:         60
        .size:           4
        .value_kind:     by_value
      - .offset:         64
        .size:           4
        .value_kind:     by_value
      - .offset:         68
        .size:           4
        .value_kind:     by_value
      - .offset:         72
        .size:           4
        .value_kind:     by_value
    .group_segment_fixed_size: 31776
    .kernarg_segment_align: 8
    .kernarg_segment_size: 76
    .language:       OpenCL C
    .language_version:
      - 2
      - 0
    .max_flat_workgroup_size: 256
    .name:           _ZL8moe_q3_KIN3c104HalfELb1EEvPKvS3_PT_PKiS7_S7_iiiiiii
    .private_segment_fixed_size: 0
    .sgpr_count:     44
    .sgpr_spill_count: 0
    .symbol:         _ZL8moe_q3_KIN3c104HalfELb1EEvPKvS3_PT_PKiS7_S7_iiiiiii.kd
    .uniform_work_group_size: 1
    .uses_dynamic_stack: false
    .vgpr_count:     150
    .vgpr_spill_count: 0
    .wavefront_size: 64
  - .agpr_count:     0
    .args:
      - .actual_access:  read_only
        .address_space:  global
        .offset:         0
        .size:           8
        .value_kind:     global_buffer
      - .actual_access:  read_only
        .address_space:  global
        .offset:         8
        .size:           8
        .value_kind:     global_buffer
      - .actual_access:  write_only
        .address_space:  global
        .offset:         16
        .size:           8
        .value_kind:     global_buffer
      - .address_space:  global
        .offset:         24
        .size:           8
        .value_kind:     global_buffer
      - .address_space:  global
        .offset:         32
        .size:           8
        .value_kind:     global_buffer
      - .address_space:  global
        .offset:         40
        .size:           8
        .value_kind:     global_buffer
      - .offset:         48
        .size:           4
        .value_kind:     by_value
      - .offset:         52
        .size:           4
        .value_kind:     by_value
      - .offset:         56
        .size:           4
        .value_kind:     by_value
      - .offset:         60
        .size:           4
        .value_kind:     by_value
      - .offset:         64
        .size:           4
        .value_kind:     by_value
      - .offset:         68
        .size:           4
        .value_kind:     by_value
      - .offset:         72
        .size:           4
        .value_kind:     by_value
    .group_segment_fixed_size: 20688
    .kernarg_segment_align: 8
    .kernarg_segment_size: 76
    .language:       OpenCL C
    .language_version:
      - 2
      - 0
    .max_flat_workgroup_size: 256
    .name:           _ZL8moe_q4_KIN3c104HalfELb0EEvPKvS3_PT_PKiS7_S7_iiiiiii
    .private_segment_fixed_size: 0
    .sgpr_count:     32
    .sgpr_spill_count: 0
    .symbol:         _ZL8moe_q4_KIN3c104HalfELb0EEvPKvS3_PT_PKiS7_S7_iiiiiii.kd
    .uniform_work_group_size: 1
    .uses_dynamic_stack: false
    .vgpr_count:     154
    .vgpr_spill_count: 0
    .wavefront_size: 64
  - .agpr_count:     0
    .args:
      - .actual_access:  read_only
        .address_space:  global
        .offset:         0
        .size:           8
        .value_kind:     global_buffer
      - .actual_access:  read_only
        .address_space:  global
        .offset:         8
        .size:           8
        .value_kind:     global_buffer
      - .actual_access:  write_only
        .address_space:  global
        .offset:         16
        .size:           8
        .value_kind:     global_buffer
      - .address_space:  global
        .offset:         24
        .size:           8
        .value_kind:     global_buffer
      - .address_space:  global
        .offset:         32
        .size:           8
        .value_kind:     global_buffer
      - .address_space:  global
        .offset:         40
        .size:           8
        .value_kind:     global_buffer
      - .offset:         48
        .size:           4
        .value_kind:     by_value
      - .offset:         52
        .size:           4
        .value_kind:     by_value
      - .offset:         56
        .size:           4
        .value_kind:     by_value
      - .offset:         60
        .size:           4
        .value_kind:     by_value
      - .offset:         64
        .size:           4
        .value_kind:     by_value
      - .offset:         68
        .size:           4
        .value_kind:     by_value
      - .offset:         72
        .size:           4
        .value_kind:     by_value
    .group_segment_fixed_size: 20688
    .kernarg_segment_align: 8
    .kernarg_segment_size: 76
    .language:       OpenCL C
    .language_version:
      - 2
      - 0
    .max_flat_workgroup_size: 256
    .name:           _ZL8moe_q4_KIN3c104HalfELb1EEvPKvS3_PT_PKiS7_S7_iiiiiii
    .private_segment_fixed_size: 0
    .sgpr_count:     32
    .sgpr_spill_count: 0
    .symbol:         _ZL8moe_q4_KIN3c104HalfELb1EEvPKvS3_PT_PKiS7_S7_iiiiiii.kd
    .uniform_work_group_size: 1
    .uses_dynamic_stack: false
    .vgpr_count:     154
    .vgpr_spill_count: 0
    .wavefront_size: 64
  - .agpr_count:     0
    .args:
      - .actual_access:  read_only
        .address_space:  global
        .offset:         0
        .size:           8
        .value_kind:     global_buffer
      - .actual_access:  read_only
        .address_space:  global
        .offset:         8
        .size:           8
        .value_kind:     global_buffer
      - .actual_access:  write_only
        .address_space:  global
        .offset:         16
        .size:           8
        .value_kind:     global_buffer
      - .address_space:  global
        .offset:         24
        .size:           8
        .value_kind:     global_buffer
      - .address_space:  global
        .offset:         32
        .size:           8
        .value_kind:     global_buffer
      - .address_space:  global
        .offset:         40
        .size:           8
        .value_kind:     global_buffer
      - .offset:         48
        .size:           4
        .value_kind:     by_value
      - .offset:         52
        .size:           4
        .value_kind:     by_value
      - .offset:         56
        .size:           4
        .value_kind:     by_value
      - .offset:         60
        .size:           4
        .value_kind:     by_value
      - .offset:         64
        .size:           4
        .value_kind:     by_value
      - .offset:         68
        .size:           4
        .value_kind:     by_value
      - .offset:         72
        .size:           4
        .value_kind:     by_value
    .group_segment_fixed_size: 37072
    .kernarg_segment_align: 8
    .kernarg_segment_size: 76
    .language:       OpenCL C
    .language_version:
      - 2
      - 0
    .max_flat_workgroup_size: 256
    .name:           _ZL8moe_q5_KIN3c104HalfELb0EEvPKvS3_PT_PKiS7_S7_iiiiiii
    .private_segment_fixed_size: 0
    .sgpr_count:     32
    .sgpr_spill_count: 0
    .symbol:         _ZL8moe_q5_KIN3c104HalfELb0EEvPKvS3_PT_PKiS7_S7_iiiiiii.kd
    .uniform_work_group_size: 1
    .uses_dynamic_stack: false
    .vgpr_count:     191
    .vgpr_spill_count: 0
    .wavefront_size: 64
  - .agpr_count:     0
    .args:
      - .actual_access:  read_only
        .address_space:  global
        .offset:         0
        .size:           8
        .value_kind:     global_buffer
      - .actual_access:  read_only
        .address_space:  global
        .offset:         8
        .size:           8
        .value_kind:     global_buffer
      - .actual_access:  write_only
        .address_space:  global
        .offset:         16
        .size:           8
        .value_kind:     global_buffer
      - .address_space:  global
        .offset:         24
        .size:           8
        .value_kind:     global_buffer
      - .address_space:  global
        .offset:         32
        .size:           8
        .value_kind:     global_buffer
      - .address_space:  global
        .offset:         40
        .size:           8
        .value_kind:     global_buffer
      - .offset:         48
        .size:           4
        .value_kind:     by_value
      - .offset:         52
        .size:           4
        .value_kind:     by_value
      - .offset:         56
        .size:           4
        .value_kind:     by_value
      - .offset:         60
        .size:           4
        .value_kind:     by_value
      - .offset:         64
        .size:           4
        .value_kind:     by_value
      - .offset:         68
        .size:           4
        .value_kind:     by_value
      - .offset:         72
        .size:           4
        .value_kind:     by_value
    .group_segment_fixed_size: 37072
    .kernarg_segment_align: 8
    .kernarg_segment_size: 76
    .language:       OpenCL C
    .language_version:
      - 2
      - 0
    .max_flat_workgroup_size: 256
    .name:           _ZL8moe_q5_KIN3c104HalfELb1EEvPKvS3_PT_PKiS7_S7_iiiiiii
    .private_segment_fixed_size: 0
    .sgpr_count:     32
    .sgpr_spill_count: 0
    .symbol:         _ZL8moe_q5_KIN3c104HalfELb1EEvPKvS3_PT_PKiS7_S7_iiiiiii.kd
    .uniform_work_group_size: 1
    .uses_dynamic_stack: false
    .vgpr_count:     191
    .vgpr_spill_count: 0
    .wavefront_size: 64
  - .agpr_count:     0
    .args:
      - .actual_access:  read_only
        .address_space:  global
        .offset:         0
        .size:           8
        .value_kind:     global_buffer
      - .actual_access:  read_only
        .address_space:  global
        .offset:         8
        .size:           8
        .value_kind:     global_buffer
      - .actual_access:  write_only
        .address_space:  global
        .offset:         16
        .size:           8
        .value_kind:     global_buffer
      - .address_space:  global
        .offset:         24
        .size:           8
        .value_kind:     global_buffer
      - .address_space:  global
        .offset:         32
        .size:           8
        .value_kind:     global_buffer
      - .address_space:  global
        .offset:         40
        .size:           8
        .value_kind:     global_buffer
      - .offset:         48
        .size:           4
        .value_kind:     by_value
      - .offset:         52
        .size:           4
        .value_kind:     by_value
      - .offset:         56
        .size:           4
        .value_kind:     by_value
      - .offset:         60
        .size:           4
        .value_kind:     by_value
      - .offset:         64
        .size:           4
        .value_kind:     by_value
      - .offset:         68
        .size:           4
        .value_kind:     by_value
      - .offset:         72
        .size:           4
        .value_kind:     by_value
    .group_segment_fixed_size: 37072
    .kernarg_segment_align: 8
    .kernarg_segment_size: 76
    .language:       OpenCL C
    .language_version:
      - 2
      - 0
    .max_flat_workgroup_size: 256
    .name:           _ZL8moe_q6_KIN3c104HalfELb0EEvPKvS3_PT_PKiS7_S7_iiiiiii
    .private_segment_fixed_size: 0
    .sgpr_count:     34
    .sgpr_spill_count: 0
    .symbol:         _ZL8moe_q6_KIN3c104HalfELb0EEvPKvS3_PT_PKiS7_S7_iiiiiii.kd
    .uniform_work_group_size: 1
    .uses_dynamic_stack: false
    .vgpr_count:     169
    .vgpr_spill_count: 0
    .wavefront_size: 64
  - .agpr_count:     0
    .args:
      - .actual_access:  read_only
        .address_space:  global
        .offset:         0
        .size:           8
        .value_kind:     global_buffer
      - .actual_access:  read_only
        .address_space:  global
        .offset:         8
        .size:           8
        .value_kind:     global_buffer
      - .actual_access:  write_only
        .address_space:  global
        .offset:         16
        .size:           8
        .value_kind:     global_buffer
      - .address_space:  global
        .offset:         24
        .size:           8
        .value_kind:     global_buffer
      - .address_space:  global
        .offset:         32
        .size:           8
        .value_kind:     global_buffer
      - .address_space:  global
        .offset:         40
        .size:           8
        .value_kind:     global_buffer
      - .offset:         48
        .size:           4
        .value_kind:     by_value
      - .offset:         52
        .size:           4
        .value_kind:     by_value
      - .offset:         56
        .size:           4
        .value_kind:     by_value
      - .offset:         60
        .size:           4
        .value_kind:     by_value
      - .offset:         64
        .size:           4
        .value_kind:     by_value
      - .offset:         68
        .size:           4
        .value_kind:     by_value
      - .offset:         72
        .size:           4
        .value_kind:     by_value
    .group_segment_fixed_size: 37072
    .kernarg_segment_align: 8
    .kernarg_segment_size: 76
    .language:       OpenCL C
    .language_version:
      - 2
      - 0
    .max_flat_workgroup_size: 256
    .name:           _ZL8moe_q6_KIN3c104HalfELb1EEvPKvS3_PT_PKiS7_S7_iiiiiii
    .private_segment_fixed_size: 0
    .sgpr_count:     33
    .sgpr_spill_count: 0
    .symbol:         _ZL8moe_q6_KIN3c104HalfELb1EEvPKvS3_PT_PKiS7_S7_iiiiiii.kd
    .uniform_work_group_size: 1
    .uses_dynamic_stack: false
    .vgpr_count:     167
    .vgpr_spill_count: 0
    .wavefront_size: 64
  - .agpr_count:     0
    .args:
      - .actual_access:  read_only
        .address_space:  global
        .offset:         0
        .size:           8
        .value_kind:     global_buffer
      - .actual_access:  read_only
        .address_space:  global
        .offset:         8
        .size:           8
        .value_kind:     global_buffer
      - .actual_access:  write_only
        .address_space:  global
        .offset:         16
        .size:           8
        .value_kind:     global_buffer
      - .address_space:  global
        .offset:         24
        .size:           8
        .value_kind:     global_buffer
      - .address_space:  global
        .offset:         32
        .size:           8
        .value_kind:     global_buffer
      - .address_space:  global
        .offset:         40
        .size:           8
        .value_kind:     global_buffer
      - .offset:         48
        .size:           4
        .value_kind:     by_value
      - .offset:         52
        .size:           4
        .value_kind:     by_value
      - .offset:         56
        .size:           4
        .value_kind:     by_value
      - .offset:         60
        .size:           4
        .value_kind:     by_value
      - .offset:         64
        .size:           4
        .value_kind:     by_value
      - .offset:         68
        .size:           4
        .value_kind:     by_value
      - .offset:         72
        .size:           4
        .value_kind:     by_value
    .group_segment_fixed_size: 22272
    .kernarg_segment_align: 8
    .kernarg_segment_size: 76
    .language:       OpenCL C
    .language_version:
      - 2
      - 0
    .max_flat_workgroup_size: 256
    .name:           _ZL8moe_q4_0IN3c108BFloat16ELb0EEvPKvS3_PT_PKiS7_S7_iiiiiii
    .private_segment_fixed_size: 0
    .sgpr_count:     28
    .sgpr_spill_count: 0
    .symbol:         _ZL8moe_q4_0IN3c108BFloat16ELb0EEvPKvS3_PT_PKiS7_S7_iiiiiii.kd
    .uniform_work_group_size: 1
    .uses_dynamic_stack: false
    .vgpr_count:     146
    .vgpr_spill_count: 0
    .wavefront_size: 64
  - .agpr_count:     0
    .args:
      - .actual_access:  read_only
        .address_space:  global
        .offset:         0
        .size:           8
        .value_kind:     global_buffer
      - .actual_access:  read_only
        .address_space:  global
        .offset:         8
        .size:           8
        .value_kind:     global_buffer
      - .actual_access:  write_only
        .address_space:  global
        .offset:         16
        .size:           8
        .value_kind:     global_buffer
      - .address_space:  global
        .offset:         24
        .size:           8
        .value_kind:     global_buffer
      - .address_space:  global
        .offset:         32
        .size:           8
        .value_kind:     global_buffer
      - .address_space:  global
        .offset:         40
        .size:           8
        .value_kind:     global_buffer
      - .offset:         48
        .size:           4
        .value_kind:     by_value
      - .offset:         52
        .size:           4
        .value_kind:     by_value
      - .offset:         56
        .size:           4
        .value_kind:     by_value
      - .offset:         60
        .size:           4
        .value_kind:     by_value
      - .offset:         64
        .size:           4
        .value_kind:     by_value
      - .offset:         68
        .size:           4
        .value_kind:     by_value
      - .offset:         72
        .size:           4
        .value_kind:     by_value
    .group_segment_fixed_size: 22272
    .kernarg_segment_align: 8
    .kernarg_segment_size: 76
    .language:       OpenCL C
    .language_version:
      - 2
      - 0
    .max_flat_workgroup_size: 256
    .name:           _ZL8moe_q4_0IN3c108BFloat16ELb1EEvPKvS3_PT_PKiS7_S7_iiiiiii
    .private_segment_fixed_size: 0
    .sgpr_count:     28
    .sgpr_spill_count: 0
    .symbol:         _ZL8moe_q4_0IN3c108BFloat16ELb1EEvPKvS3_PT_PKiS7_S7_iiiiiii.kd
    .uniform_work_group_size: 1
    .uses_dynamic_stack: false
    .vgpr_count:     145
    .vgpr_spill_count: 0
    .wavefront_size: 64
  - .agpr_count:     0
    .args:
      - .actual_access:  read_only
        .address_space:  global
        .offset:         0
        .size:           8
        .value_kind:     global_buffer
      - .actual_access:  read_only
        .address_space:  global
        .offset:         8
        .size:           8
        .value_kind:     global_buffer
      - .actual_access:  write_only
        .address_space:  global
        .offset:         16
        .size:           8
        .value_kind:     global_buffer
      - .address_space:  global
        .offset:         24
        .size:           8
        .value_kind:     global_buffer
      - .address_space:  global
        .offset:         32
        .size:           8
        .value_kind:     global_buffer
      - .address_space:  global
        .offset:         40
        .size:           8
        .value_kind:     global_buffer
      - .offset:         48
        .size:           4
        .value_kind:     by_value
      - .offset:         52
        .size:           4
        .value_kind:     by_value
      - .offset:         56
        .size:           4
        .value_kind:     by_value
      - .offset:         60
        .size:           4
        .value_kind:     by_value
      - .offset:         64
        .size:           4
        .value_kind:     by_value
      - .offset:         68
        .size:           4
        .value_kind:     by_value
      - .offset:         72
        .size:           4
        .value_kind:     by_value
    .group_segment_fixed_size: 22272
    .kernarg_segment_align: 8
    .kernarg_segment_size: 76
    .language:       OpenCL C
    .language_version:
      - 2
      - 0
    .max_flat_workgroup_size: 256
    .name:           _ZL8moe_q4_1IN3c108BFloat16ELb0EEvPKvS3_PT_PKiS7_S7_iiiiiii
    .private_segment_fixed_size: 0
    .sgpr_count:     28
    .sgpr_spill_count: 0
    .symbol:         _ZL8moe_q4_1IN3c108BFloat16ELb0EEvPKvS3_PT_PKiS7_S7_iiiiiii.kd
    .uniform_work_group_size: 1
    .uses_dynamic_stack: false
    .vgpr_count:     147
    .vgpr_spill_count: 0
    .wavefront_size: 64
  - .agpr_count:     0
    .args:
      - .actual_access:  read_only
        .address_space:  global
        .offset:         0
        .size:           8
        .value_kind:     global_buffer
      - .actual_access:  read_only
        .address_space:  global
        .offset:         8
        .size:           8
        .value_kind:     global_buffer
      - .actual_access:  write_only
        .address_space:  global
        .offset:         16
        .size:           8
        .value_kind:     global_buffer
      - .address_space:  global
        .offset:         24
        .size:           8
        .value_kind:     global_buffer
      - .address_space:  global
        .offset:         32
        .size:           8
        .value_kind:     global_buffer
      - .address_space:  global
        .offset:         40
        .size:           8
        .value_kind:     global_buffer
      - .offset:         48
        .size:           4
        .value_kind:     by_value
      - .offset:         52
        .size:           4
        .value_kind:     by_value
      - .offset:         56
        .size:           4
        .value_kind:     by_value
      - .offset:         60
        .size:           4
        .value_kind:     by_value
      - .offset:         64
        .size:           4
        .value_kind:     by_value
      - .offset:         68
        .size:           4
        .value_kind:     by_value
      - .offset:         72
        .size:           4
        .value_kind:     by_value
    .group_segment_fixed_size: 22272
    .kernarg_segment_align: 8
    .kernarg_segment_size: 76
    .language:       OpenCL C
    .language_version:
      - 2
      - 0
    .max_flat_workgroup_size: 256
    .name:           _ZL8moe_q4_1IN3c108BFloat16ELb1EEvPKvS3_PT_PKiS7_S7_iiiiiii
    .private_segment_fixed_size: 0
    .sgpr_count:     28
    .sgpr_spill_count: 0
    .symbol:         _ZL8moe_q4_1IN3c108BFloat16ELb1EEvPKvS3_PT_PKiS7_S7_iiiiiii.kd
    .uniform_work_group_size: 1
    .uses_dynamic_stack: false
    .vgpr_count:     146
    .vgpr_spill_count: 0
    .wavefront_size: 64
  - .agpr_count:     0
    .args:
      - .actual_access:  read_only
        .address_space:  global
        .offset:         0
        .size:           8
        .value_kind:     global_buffer
      - .actual_access:  read_only
        .address_space:  global
        .offset:         8
        .size:           8
        .value_kind:     global_buffer
      - .actual_access:  write_only
        .address_space:  global
        .offset:         16
        .size:           8
        .value_kind:     global_buffer
      - .address_space:  global
        .offset:         24
        .size:           8
        .value_kind:     global_buffer
      - .address_space:  global
        .offset:         32
        .size:           8
        .value_kind:     global_buffer
      - .address_space:  global
        .offset:         40
        .size:           8
        .value_kind:     global_buffer
      - .offset:         48
        .size:           4
        .value_kind:     by_value
      - .offset:         52
        .size:           4
        .value_kind:     by_value
      - .offset:         56
        .size:           4
        .value_kind:     by_value
      - .offset:         60
        .size:           4
        .value_kind:     by_value
      - .offset:         64
        .size:           4
        .value_kind:     by_value
      - .offset:         68
        .size:           4
        .value_kind:     by_value
      - .offset:         72
        .size:           4
        .value_kind:     by_value
    .group_segment_fixed_size: 38656
    .kernarg_segment_align: 8
    .kernarg_segment_size: 76
    .language:       OpenCL C
    .language_version:
      - 2
      - 0
    .max_flat_workgroup_size: 256
    .name:           _ZL8moe_q5_0IN3c108BFloat16ELb0EEvPKvS3_PT_PKiS7_S7_iiiiiii
    .private_segment_fixed_size: 0
    .sgpr_count:     30
    .sgpr_spill_count: 0
    .symbol:         _ZL8moe_q5_0IN3c108BFloat16ELb0EEvPKvS3_PT_PKiS7_S7_iiiiiii.kd
    .uniform_work_group_size: 1
    .uses_dynamic_stack: false
    .vgpr_count:     169
    .vgpr_spill_count: 0
    .wavefront_size: 64
  - .agpr_count:     0
    .args:
      - .actual_access:  read_only
        .address_space:  global
        .offset:         0
        .size:           8
        .value_kind:     global_buffer
      - .actual_access:  read_only
        .address_space:  global
        .offset:         8
        .size:           8
        .value_kind:     global_buffer
      - .actual_access:  write_only
        .address_space:  global
        .offset:         16
        .size:           8
        .value_kind:     global_buffer
      - .address_space:  global
        .offset:         24
        .size:           8
        .value_kind:     global_buffer
      - .address_space:  global
        .offset:         32
        .size:           8
        .value_kind:     global_buffer
      - .address_space:  global
        .offset:         40
        .size:           8
        .value_kind:     global_buffer
      - .offset:         48
        .size:           4
        .value_kind:     by_value
      - .offset:         52
        .size:           4
        .value_kind:     by_value
      - .offset:         56
        .size:           4
        .value_kind:     by_value
      - .offset:         60
        .size:           4
        .value_kind:     by_value
      - .offset:         64
        .size:           4
        .value_kind:     by_value
      - .offset:         68
        .size:           4
        .value_kind:     by_value
      - .offset:         72
        .size:           4
        .value_kind:     by_value
    .group_segment_fixed_size: 38656
    .kernarg_segment_align: 8
    .kernarg_segment_size: 76
    .language:       OpenCL C
    .language_version:
      - 2
      - 0
    .max_flat_workgroup_size: 256
    .name:           _ZL8moe_q5_0IN3c108BFloat16ELb1EEvPKvS3_PT_PKiS7_S7_iiiiiii
    .private_segment_fixed_size: 0
    .sgpr_count:     30
    .sgpr_spill_count: 0
    .symbol:         _ZL8moe_q5_0IN3c108BFloat16ELb1EEvPKvS3_PT_PKiS7_S7_iiiiiii.kd
    .uniform_work_group_size: 1
    .uses_dynamic_stack: false
    .vgpr_count:     169
    .vgpr_spill_count: 0
    .wavefront_size: 64
  - .agpr_count:     0
    .args:
      - .actual_access:  read_only
        .address_space:  global
        .offset:         0
        .size:           8
        .value_kind:     global_buffer
      - .actual_access:  read_only
        .address_space:  global
        .offset:         8
        .size:           8
        .value_kind:     global_buffer
      - .actual_access:  write_only
        .address_space:  global
        .offset:         16
        .size:           8
        .value_kind:     global_buffer
      - .address_space:  global
        .offset:         24
        .size:           8
        .value_kind:     global_buffer
      - .address_space:  global
        .offset:         32
        .size:           8
        .value_kind:     global_buffer
      - .address_space:  global
        .offset:         40
        .size:           8
        .value_kind:     global_buffer
      - .offset:         48
        .size:           4
        .value_kind:     by_value
      - .offset:         52
        .size:           4
        .value_kind:     by_value
      - .offset:         56
        .size:           4
        .value_kind:     by_value
      - .offset:         60
        .size:           4
        .value_kind:     by_value
      - .offset:         64
        .size:           4
        .value_kind:     by_value
      - .offset:         68
        .size:           4
        .value_kind:     by_value
      - .offset:         72
        .size:           4
        .value_kind:     by_value
    .group_segment_fixed_size: 38656
    .kernarg_segment_align: 8
    .kernarg_segment_size: 76
    .language:       OpenCL C
    .language_version:
      - 2
      - 0
    .max_flat_workgroup_size: 256
    .name:           _ZL8moe_q5_1IN3c108BFloat16ELb0EEvPKvS3_PT_PKiS7_S7_iiiiiii
    .private_segment_fixed_size: 0
    .sgpr_count:     28
    .sgpr_spill_count: 0
    .symbol:         _ZL8moe_q5_1IN3c108BFloat16ELb0EEvPKvS3_PT_PKiS7_S7_iiiiiii.kd
    .uniform_work_group_size: 1
    .uses_dynamic_stack: false
    .vgpr_count:     178
    .vgpr_spill_count: 0
    .wavefront_size: 64
  - .agpr_count:     0
    .args:
      - .actual_access:  read_only
        .address_space:  global
        .offset:         0
        .size:           8
        .value_kind:     global_buffer
      - .actual_access:  read_only
        .address_space:  global
        .offset:         8
        .size:           8
        .value_kind:     global_buffer
      - .actual_access:  write_only
        .address_space:  global
        .offset:         16
        .size:           8
        .value_kind:     global_buffer
      - .address_space:  global
        .offset:         24
        .size:           8
        .value_kind:     global_buffer
      - .address_space:  global
        .offset:         32
        .size:           8
        .value_kind:     global_buffer
      - .address_space:  global
        .offset:         40
        .size:           8
        .value_kind:     global_buffer
      - .offset:         48
        .size:           4
        .value_kind:     by_value
      - .offset:         52
        .size:           4
        .value_kind:     by_value
      - .offset:         56
        .size:           4
        .value_kind:     by_value
      - .offset:         60
        .size:           4
        .value_kind:     by_value
      - .offset:         64
        .size:           4
        .value_kind:     by_value
      - .offset:         68
        .size:           4
        .value_kind:     by_value
      - .offset:         72
        .size:           4
        .value_kind:     by_value
    .group_segment_fixed_size: 38656
    .kernarg_segment_align: 8
    .kernarg_segment_size: 76
    .language:       OpenCL C
    .language_version:
      - 2
      - 0
    .max_flat_workgroup_size: 256
    .name:           _ZL8moe_q5_1IN3c108BFloat16ELb1EEvPKvS3_PT_PKiS7_S7_iiiiiii
    .private_segment_fixed_size: 0
    .sgpr_count:     28
    .sgpr_spill_count: 0
    .symbol:         _ZL8moe_q5_1IN3c108BFloat16ELb1EEvPKvS3_PT_PKiS7_S7_iiiiiii.kd
    .uniform_work_group_size: 1
    .uses_dynamic_stack: false
    .vgpr_count:     178
    .vgpr_spill_count: 0
    .wavefront_size: 64
  - .agpr_count:     0
    .args:
      - .actual_access:  read_only
        .address_space:  global
        .offset:         0
        .size:           8
        .value_kind:     global_buffer
      - .actual_access:  read_only
        .address_space:  global
        .offset:         8
        .size:           8
        .value_kind:     global_buffer
      - .actual_access:  write_only
        .address_space:  global
        .offset:         16
        .size:           8
        .value_kind:     global_buffer
      - .address_space:  global
        .offset:         24
        .size:           8
        .value_kind:     global_buffer
      - .address_space:  global
        .offset:         32
        .size:           8
        .value_kind:     global_buffer
      - .address_space:  global
        .offset:         40
        .size:           8
        .value_kind:     global_buffer
      - .offset:         48
        .size:           4
        .value_kind:     by_value
      - .offset:         52
        .size:           4
        .value_kind:     by_value
      - .offset:         56
        .size:           4
        .value_kind:     by_value
      - .offset:         60
        .size:           4
        .value_kind:     by_value
      - .offset:         64
        .size:           4
        .value_kind:     by_value
      - .offset:         68
        .size:           4
        .value_kind:     by_value
      - .offset:         72
        .size:           4
        .value_kind:     by_value
    .group_segment_fixed_size: 20160
    .kernarg_segment_align: 8
    .kernarg_segment_size: 76
    .language:       OpenCL C
    .language_version:
      - 2
      - 0
    .max_flat_workgroup_size: 256
    .name:           _ZL8moe_q8_0IN3c108BFloat16ELb0EEvPKvS3_PT_PKiS7_S7_iiiiiii
    .private_segment_fixed_size: 0
    .sgpr_count:     28
    .sgpr_spill_count: 0
    .symbol:         _ZL8moe_q8_0IN3c108BFloat16ELb0EEvPKvS3_PT_PKiS7_S7_iiiiiii.kd
    .uniform_work_group_size: 1
    .uses_dynamic_stack: false
    .vgpr_count:     124
    .vgpr_spill_count: 0
    .wavefront_size: 64
  - .agpr_count:     0
    .args:
      - .actual_access:  read_only
        .address_space:  global
        .offset:         0
        .size:           8
        .value_kind:     global_buffer
      - .actual_access:  read_only
        .address_space:  global
        .offset:         8
        .size:           8
        .value_kind:     global_buffer
      - .actual_access:  write_only
        .address_space:  global
        .offset:         16
        .size:           8
        .value_kind:     global_buffer
      - .address_space:  global
        .offset:         24
        .size:           8
        .value_kind:     global_buffer
      - .address_space:  global
        .offset:         32
        .size:           8
        .value_kind:     global_buffer
      - .address_space:  global
        .offset:         40
        .size:           8
        .value_kind:     global_buffer
      - .offset:         48
        .size:           4
        .value_kind:     by_value
      - .offset:         52
        .size:           4
        .value_kind:     by_value
      - .offset:         56
        .size:           4
        .value_kind:     by_value
      - .offset:         60
        .size:           4
        .value_kind:     by_value
      - .offset:         64
        .size:           4
        .value_kind:     by_value
      - .offset:         68
        .size:           4
        .value_kind:     by_value
      - .offset:         72
        .size:           4
        .value_kind:     by_value
    .group_segment_fixed_size: 20160
    .kernarg_segment_align: 8
    .kernarg_segment_size: 76
    .language:       OpenCL C
    .language_version:
      - 2
      - 0
    .max_flat_workgroup_size: 256
    .name:           _ZL8moe_q8_0IN3c108BFloat16ELb1EEvPKvS3_PT_PKiS7_S7_iiiiiii
    .private_segment_fixed_size: 0
    .sgpr_count:     28
    .sgpr_spill_count: 0
    .symbol:         _ZL8moe_q8_0IN3c108BFloat16ELb1EEvPKvS3_PT_PKiS7_S7_iiiiiii.kd
    .uniform_work_group_size: 1
    .uses_dynamic_stack: false
    .vgpr_count:     124
    .vgpr_spill_count: 0
    .wavefront_size: 64
  - .agpr_count:     0
    .args:
      - .actual_access:  read_only
        .address_space:  global
        .offset:         0
        .size:           8
        .value_kind:     global_buffer
      - .actual_access:  read_only
        .address_space:  global
        .offset:         8
        .size:           8
        .value_kind:     global_buffer
      - .actual_access:  write_only
        .address_space:  global
        .offset:         16
        .size:           8
        .value_kind:     global_buffer
      - .address_space:  global
        .offset:         24
        .size:           8
        .value_kind:     global_buffer
      - .address_space:  global
        .offset:         32
        .size:           8
        .value_kind:     global_buffer
      - .address_space:  global
        .offset:         40
        .size:           8
        .value_kind:     global_buffer
      - .offset:         48
        .size:           4
        .value_kind:     by_value
      - .offset:         52
        .size:           4
        .value_kind:     by_value
      - .offset:         56
        .size:           4
        .value_kind:     by_value
      - .offset:         60
        .size:           4
        .value_kind:     by_value
      - .offset:         64
        .size:           4
        .value_kind:     by_value
      - .offset:         68
        .size:           4
        .value_kind:     by_value
      - .offset:         72
        .size:           4
        .value_kind:     by_value
    .group_segment_fixed_size: 23328
    .kernarg_segment_align: 8
    .kernarg_segment_size: 76
    .language:       OpenCL C
    .language_version:
      - 2
      - 0
    .max_flat_workgroup_size: 256
    .name:           _ZL8moe_q2_KIN3c108BFloat16ELb0EEvPKvS3_PT_PKiS7_S7_iiiiiii
    .private_segment_fixed_size: 0
    .sgpr_count:     38
    .sgpr_spill_count: 0
    .symbol:         _ZL8moe_q2_KIN3c108BFloat16ELb0EEvPKvS3_PT_PKiS7_S7_iiiiiii.kd
    .uniform_work_group_size: 1
    .uses_dynamic_stack: false
    .vgpr_count:     170
    .vgpr_spill_count: 0
    .wavefront_size: 64
  - .agpr_count:     0
    .args:
      - .actual_access:  read_only
        .address_space:  global
        .offset:         0
        .size:           8
        .value_kind:     global_buffer
      - .actual_access:  read_only
        .address_space:  global
        .offset:         8
        .size:           8
        .value_kind:     global_buffer
      - .actual_access:  write_only
        .address_space:  global
        .offset:         16
        .size:           8
        .value_kind:     global_buffer
      - .address_space:  global
        .offset:         24
        .size:           8
        .value_kind:     global_buffer
      - .address_space:  global
        .offset:         32
        .size:           8
        .value_kind:     global_buffer
      - .address_space:  global
        .offset:         40
        .size:           8
        .value_kind:     global_buffer
      - .offset:         48
        .size:           4
        .value_kind:     by_value
      - .offset:         52
        .size:           4
        .value_kind:     by_value
      - .offset:         56
        .size:           4
        .value_kind:     by_value
      - .offset:         60
        .size:           4
        .value_kind:     by_value
      - .offset:         64
        .size:           4
        .value_kind:     by_value
      - .offset:         68
        .size:           4
        .value_kind:     by_value
      - .offset:         72
        .size:           4
        .value_kind:     by_value
    .group_segment_fixed_size: 23328
    .kernarg_segment_align: 8
    .kernarg_segment_size: 76
    .language:       OpenCL C
    .language_version:
      - 2
      - 0
    .max_flat_workgroup_size: 256
    .name:           _ZL8moe_q2_KIN3c108BFloat16ELb1EEvPKvS3_PT_PKiS7_S7_iiiiiii
    .private_segment_fixed_size: 0
    .sgpr_count:     38
    .sgpr_spill_count: 0
    .symbol:         _ZL8moe_q2_KIN3c108BFloat16ELb1EEvPKvS3_PT_PKiS7_S7_iiiiiii.kd
    .uniform_work_group_size: 1
    .uses_dynamic_stack: false
    .vgpr_count:     170
    .vgpr_spill_count: 0
    .wavefront_size: 64
  - .agpr_count:     0
    .args:
      - .actual_access:  read_only
        .address_space:  global
        .offset:         0
        .size:           8
        .value_kind:     global_buffer
      - .actual_access:  read_only
        .address_space:  global
        .offset:         8
        .size:           8
        .value_kind:     global_buffer
      - .actual_access:  write_only
        .address_space:  global
        .offset:         16
        .size:           8
        .value_kind:     global_buffer
      - .address_space:  global
        .offset:         24
        .size:           8
        .value_kind:     global_buffer
      - .address_space:  global
        .offset:         32
        .size:           8
        .value_kind:     global_buffer
      - .address_space:  global
        .offset:         40
        .size:           8
        .value_kind:     global_buffer
      - .offset:         48
        .size:           4
        .value_kind:     by_value
      - .offset:         52
        .size:           4
        .value_kind:     by_value
      - .offset:         56
        .size:           4
        .value_kind:     by_value
      - .offset:         60
        .size:           4
        .value_kind:     by_value
      - .offset:         64
        .size:           4
        .value_kind:     by_value
      - .offset:         68
        .size:           4
        .value_kind:     by_value
      - .offset:         72
        .size:           4
        .value_kind:     by_value
    .group_segment_fixed_size: 31776
    .kernarg_segment_align: 8
    .kernarg_segment_size: 76
    .language:       OpenCL C
    .language_version:
      - 2
      - 0
    .max_flat_workgroup_size: 256
    .name:           _ZL8moe_q3_KIN3c108BFloat16ELb0EEvPKvS3_PT_PKiS7_S7_iiiiiii
    .private_segment_fixed_size: 0
    .sgpr_count:     44
    .sgpr_spill_count: 0
    .symbol:         _ZL8moe_q3_KIN3c108BFloat16ELb0EEvPKvS3_PT_PKiS7_S7_iiiiiii.kd
    .uniform_work_group_size: 1
    .uses_dynamic_stack: false
    .vgpr_count:     150
    .vgpr_spill_count: 0
    .wavefront_size: 64
  - .agpr_count:     0
    .args:
      - .actual_access:  read_only
        .address_space:  global
        .offset:         0
        .size:           8
        .value_kind:     global_buffer
      - .actual_access:  read_only
        .address_space:  global
        .offset:         8
        .size:           8
        .value_kind:     global_buffer
      - .actual_access:  write_only
        .address_space:  global
        .offset:         16
        .size:           8
        .value_kind:     global_buffer
      - .address_space:  global
        .offset:         24
        .size:           8
        .value_kind:     global_buffer
      - .address_space:  global
        .offset:         32
        .size:           8
        .value_kind:     global_buffer
      - .address_space:  global
        .offset:         40
        .size:           8
        .value_kind:     global_buffer
      - .offset:         48
        .size:           4
        .value_kind:     by_value
      - .offset:         52
        .size:           4
        .value_kind:     by_value
      - .offset:         56
        .size:           4
        .value_kind:     by_value
      - .offset:         60
        .size:           4
        .value_kind:     by_value
      - .offset:         64
        .size:           4
        .value_kind:     by_value
      - .offset:         68
        .size:           4
        .value_kind:     by_value
      - .offset:         72
        .size:           4
        .value_kind:     by_value
    .group_segment_fixed_size: 31776
    .kernarg_segment_align: 8
    .kernarg_segment_size: 76
    .language:       OpenCL C
    .language_version:
      - 2
      - 0
    .max_flat_workgroup_size: 256
    .name:           _ZL8moe_q3_KIN3c108BFloat16ELb1EEvPKvS3_PT_PKiS7_S7_iiiiiii
    .private_segment_fixed_size: 0
    .sgpr_count:     44
    .sgpr_spill_count: 0
    .symbol:         _ZL8moe_q3_KIN3c108BFloat16ELb1EEvPKvS3_PT_PKiS7_S7_iiiiiii.kd
    .uniform_work_group_size: 1
    .uses_dynamic_stack: false
    .vgpr_count:     150
    .vgpr_spill_count: 0
    .wavefront_size: 64
  - .agpr_count:     0
    .args:
      - .actual_access:  read_only
        .address_space:  global
        .offset:         0
        .size:           8
        .value_kind:     global_buffer
      - .actual_access:  read_only
        .address_space:  global
        .offset:         8
        .size:           8
        .value_kind:     global_buffer
      - .actual_access:  write_only
        .address_space:  global
        .offset:         16
        .size:           8
        .value_kind:     global_buffer
      - .address_space:  global
        .offset:         24
        .size:           8
        .value_kind:     global_buffer
      - .address_space:  global
        .offset:         32
        .size:           8
        .value_kind:     global_buffer
      - .address_space:  global
        .offset:         40
        .size:           8
        .value_kind:     global_buffer
      - .offset:         48
        .size:           4
        .value_kind:     by_value
      - .offset:         52
        .size:           4
        .value_kind:     by_value
      - .offset:         56
        .size:           4
        .value_kind:     by_value
      - .offset:         60
        .size:           4
        .value_kind:     by_value
      - .offset:         64
        .size:           4
        .value_kind:     by_value
      - .offset:         68
        .size:           4
        .value_kind:     by_value
      - .offset:         72
        .size:           4
        .value_kind:     by_value
    .group_segment_fixed_size: 20688
    .kernarg_segment_align: 8
    .kernarg_segment_size: 76
    .language:       OpenCL C
    .language_version:
      - 2
      - 0
    .max_flat_workgroup_size: 256
    .name:           _ZL8moe_q4_KIN3c108BFloat16ELb0EEvPKvS3_PT_PKiS7_S7_iiiiiii
    .private_segment_fixed_size: 0
    .sgpr_count:     32
    .sgpr_spill_count: 0
    .symbol:         _ZL8moe_q4_KIN3c108BFloat16ELb0EEvPKvS3_PT_PKiS7_S7_iiiiiii.kd
    .uniform_work_group_size: 1
    .uses_dynamic_stack: false
    .vgpr_count:     154
    .vgpr_spill_count: 0
    .wavefront_size: 64
  - .agpr_count:     0
    .args:
      - .actual_access:  read_only
        .address_space:  global
        .offset:         0
        .size:           8
        .value_kind:     global_buffer
      - .actual_access:  read_only
        .address_space:  global
        .offset:         8
        .size:           8
        .value_kind:     global_buffer
      - .actual_access:  write_only
        .address_space:  global
        .offset:         16
        .size:           8
        .value_kind:     global_buffer
      - .address_space:  global
        .offset:         24
        .size:           8
        .value_kind:     global_buffer
      - .address_space:  global
        .offset:         32
        .size:           8
        .value_kind:     global_buffer
      - .address_space:  global
        .offset:         40
        .size:           8
        .value_kind:     global_buffer
      - .offset:         48
        .size:           4
        .value_kind:     by_value
      - .offset:         52
        .size:           4
        .value_kind:     by_value
      - .offset:         56
        .size:           4
        .value_kind:     by_value
      - .offset:         60
        .size:           4
        .value_kind:     by_value
      - .offset:         64
        .size:           4
        .value_kind:     by_value
      - .offset:         68
        .size:           4
        .value_kind:     by_value
      - .offset:         72
        .size:           4
        .value_kind:     by_value
    .group_segment_fixed_size: 20688
    .kernarg_segment_align: 8
    .kernarg_segment_size: 76
    .language:       OpenCL C
    .language_version:
      - 2
      - 0
    .max_flat_workgroup_size: 256
    .name:           _ZL8moe_q4_KIN3c108BFloat16ELb1EEvPKvS3_PT_PKiS7_S7_iiiiiii
    .private_segment_fixed_size: 0
    .sgpr_count:     32
    .sgpr_spill_count: 0
    .symbol:         _ZL8moe_q4_KIN3c108BFloat16ELb1EEvPKvS3_PT_PKiS7_S7_iiiiiii.kd
    .uniform_work_group_size: 1
    .uses_dynamic_stack: false
    .vgpr_count:     154
    .vgpr_spill_count: 0
    .wavefront_size: 64
  - .agpr_count:     0
    .args:
      - .actual_access:  read_only
        .address_space:  global
        .offset:         0
        .size:           8
        .value_kind:     global_buffer
      - .actual_access:  read_only
        .address_space:  global
        .offset:         8
        .size:           8
        .value_kind:     global_buffer
      - .actual_access:  write_only
        .address_space:  global
        .offset:         16
        .size:           8
        .value_kind:     global_buffer
      - .address_space:  global
        .offset:         24
        .size:           8
        .value_kind:     global_buffer
      - .address_space:  global
        .offset:         32
        .size:           8
        .value_kind:     global_buffer
      - .address_space:  global
        .offset:         40
        .size:           8
        .value_kind:     global_buffer
      - .offset:         48
        .size:           4
        .value_kind:     by_value
      - .offset:         52
        .size:           4
        .value_kind:     by_value
      - .offset:         56
        .size:           4
        .value_kind:     by_value
      - .offset:         60
        .size:           4
        .value_kind:     by_value
      - .offset:         64
        .size:           4
        .value_kind:     by_value
      - .offset:         68
        .size:           4
        .value_kind:     by_value
      - .offset:         72
        .size:           4
        .value_kind:     by_value
    .group_segment_fixed_size: 37072
    .kernarg_segment_align: 8
    .kernarg_segment_size: 76
    .language:       OpenCL C
    .language_version:
      - 2
      - 0
    .max_flat_workgroup_size: 256
    .name:           _ZL8moe_q5_KIN3c108BFloat16ELb0EEvPKvS3_PT_PKiS7_S7_iiiiiii
    .private_segment_fixed_size: 0
    .sgpr_count:     32
    .sgpr_spill_count: 0
    .symbol:         _ZL8moe_q5_KIN3c108BFloat16ELb0EEvPKvS3_PT_PKiS7_S7_iiiiiii.kd
    .uniform_work_group_size: 1
    .uses_dynamic_stack: false
    .vgpr_count:     191
    .vgpr_spill_count: 0
    .wavefront_size: 64
  - .agpr_count:     0
    .args:
      - .actual_access:  read_only
        .address_space:  global
        .offset:         0
        .size:           8
        .value_kind:     global_buffer
      - .actual_access:  read_only
        .address_space:  global
        .offset:         8
        .size:           8
        .value_kind:     global_buffer
      - .actual_access:  write_only
        .address_space:  global
        .offset:         16
        .size:           8
        .value_kind:     global_buffer
      - .address_space:  global
        .offset:         24
        .size:           8
        .value_kind:     global_buffer
      - .address_space:  global
        .offset:         32
        .size:           8
        .value_kind:     global_buffer
      - .address_space:  global
        .offset:         40
        .size:           8
        .value_kind:     global_buffer
      - .offset:         48
        .size:           4
        .value_kind:     by_value
      - .offset:         52
        .size:           4
        .value_kind:     by_value
      - .offset:         56
        .size:           4
        .value_kind:     by_value
      - .offset:         60
        .size:           4
        .value_kind:     by_value
      - .offset:         64
        .size:           4
        .value_kind:     by_value
      - .offset:         68
        .size:           4
        .value_kind:     by_value
      - .offset:         72
        .size:           4
        .value_kind:     by_value
    .group_segment_fixed_size: 37072
    .kernarg_segment_align: 8
    .kernarg_segment_size: 76
    .language:       OpenCL C
    .language_version:
      - 2
      - 0
    .max_flat_workgroup_size: 256
    .name:           _ZL8moe_q5_KIN3c108BFloat16ELb1EEvPKvS3_PT_PKiS7_S7_iiiiiii
    .private_segment_fixed_size: 0
    .sgpr_count:     32
    .sgpr_spill_count: 0
    .symbol:         _ZL8moe_q5_KIN3c108BFloat16ELb1EEvPKvS3_PT_PKiS7_S7_iiiiiii.kd
    .uniform_work_group_size: 1
    .uses_dynamic_stack: false
    .vgpr_count:     191
    .vgpr_spill_count: 0
    .wavefront_size: 64
  - .agpr_count:     0
    .args:
      - .actual_access:  read_only
        .address_space:  global
        .offset:         0
        .size:           8
        .value_kind:     global_buffer
      - .actual_access:  read_only
        .address_space:  global
        .offset:         8
        .size:           8
        .value_kind:     global_buffer
      - .actual_access:  write_only
        .address_space:  global
        .offset:         16
        .size:           8
        .value_kind:     global_buffer
      - .address_space:  global
        .offset:         24
        .size:           8
        .value_kind:     global_buffer
      - .address_space:  global
        .offset:         32
        .size:           8
        .value_kind:     global_buffer
      - .address_space:  global
        .offset:         40
        .size:           8
        .value_kind:     global_buffer
      - .offset:         48
        .size:           4
        .value_kind:     by_value
      - .offset:         52
        .size:           4
        .value_kind:     by_value
      - .offset:         56
        .size:           4
        .value_kind:     by_value
      - .offset:         60
        .size:           4
        .value_kind:     by_value
      - .offset:         64
        .size:           4
        .value_kind:     by_value
      - .offset:         68
        .size:           4
        .value_kind:     by_value
      - .offset:         72
        .size:           4
        .value_kind:     by_value
    .group_segment_fixed_size: 37072
    .kernarg_segment_align: 8
    .kernarg_segment_size: 76
    .language:       OpenCL C
    .language_version:
      - 2
      - 0
    .max_flat_workgroup_size: 256
    .name:           _ZL8moe_q6_KIN3c108BFloat16ELb0EEvPKvS3_PT_PKiS7_S7_iiiiiii
    .private_segment_fixed_size: 0
    .sgpr_count:     34
    .sgpr_spill_count: 0
    .symbol:         _ZL8moe_q6_KIN3c108BFloat16ELb0EEvPKvS3_PT_PKiS7_S7_iiiiiii.kd
    .uniform_work_group_size: 1
    .uses_dynamic_stack: false
    .vgpr_count:     169
    .vgpr_spill_count: 0
    .wavefront_size: 64
  - .agpr_count:     0
    .args:
      - .actual_access:  read_only
        .address_space:  global
        .offset:         0
        .size:           8
        .value_kind:     global_buffer
      - .actual_access:  read_only
        .address_space:  global
        .offset:         8
        .size:           8
        .value_kind:     global_buffer
      - .actual_access:  write_only
        .address_space:  global
        .offset:         16
        .size:           8
        .value_kind:     global_buffer
      - .address_space:  global
        .offset:         24
        .size:           8
        .value_kind:     global_buffer
      - .address_space:  global
        .offset:         32
        .size:           8
        .value_kind:     global_buffer
      - .address_space:  global
        .offset:         40
        .size:           8
        .value_kind:     global_buffer
      - .offset:         48
        .size:           4
        .value_kind:     by_value
      - .offset:         52
        .size:           4
        .value_kind:     by_value
      - .offset:         56
        .size:           4
        .value_kind:     by_value
      - .offset:         60
        .size:           4
        .value_kind:     by_value
      - .offset:         64
        .size:           4
        .value_kind:     by_value
      - .offset:         68
        .size:           4
        .value_kind:     by_value
      - .offset:         72
        .size:           4
        .value_kind:     by_value
    .group_segment_fixed_size: 37072
    .kernarg_segment_align: 8
    .kernarg_segment_size: 76
    .language:       OpenCL C
    .language_version:
      - 2
      - 0
    .max_flat_workgroup_size: 256
    .name:           _ZL8moe_q6_KIN3c108BFloat16ELb1EEvPKvS3_PT_PKiS7_S7_iiiiiii
    .private_segment_fixed_size: 0
    .sgpr_count:     33
    .sgpr_spill_count: 0
    .symbol:         _ZL8moe_q6_KIN3c108BFloat16ELb1EEvPKvS3_PT_PKiS7_S7_iiiiiii.kd
    .uniform_work_group_size: 1
    .uses_dynamic_stack: false
    .vgpr_count:     167
    .vgpr_spill_count: 0
    .wavefront_size: 64
  - .agpr_count:     0
    .args:
      - .actual_access:  read_only
        .address_space:  global
        .offset:         0
        .size:           8
        .value_kind:     global_buffer
      - .actual_access:  read_only
        .address_space:  global
        .offset:         8
        .size:           8
        .value_kind:     global_buffer
      - .actual_access:  write_only
        .address_space:  global
        .offset:         16
        .size:           8
        .value_kind:     global_buffer
      - .address_space:  global
        .offset:         24
        .size:           8
        .value_kind:     global_buffer
      - .offset:         32
        .size:           4
        .value_kind:     by_value
      - .offset:         36
        .size:           4
        .value_kind:     by_value
      - .offset:         40
        .size:           4
        .value_kind:     by_value
      - .offset:         44
        .size:           4
        .value_kind:     by_value
      - .offset:         48
        .size:           4
        .value_kind:     hidden_block_count_x
      - .offset:         52
        .size:           4
        .value_kind:     hidden_block_count_y
      - .offset:         56
        .size:           4
        .value_kind:     hidden_block_count_z
      - .offset:         60
        .size:           2
        .value_kind:     hidden_group_size_x
      - .offset:         62
        .size:           2
        .value_kind:     hidden_group_size_y
      - .offset:         64
        .size:           2
        .value_kind:     hidden_group_size_z
      - .offset:         66
        .size:           2
        .value_kind:     hidden_remainder_x
      - .offset:         68
        .size:           2
        .value_kind:     hidden_remainder_y
      - .offset:         70
        .size:           2
        .value_kind:     hidden_remainder_z
      - .offset:         88
        .size:           8
        .value_kind:     hidden_global_offset_x
      - .offset:         96
        .size:           8
        .value_kind:     hidden_global_offset_y
      - .offset:         104
        .size:           8
        .value_kind:     hidden_global_offset_z
      - .offset:         112
        .size:           2
        .value_kind:     hidden_grid_dims
    .group_segment_fixed_size: 0
    .kernarg_segment_align: 8
    .kernarg_segment_size: 304
    .language:       OpenCL C
    .language_version:
      - 2
      - 0
    .max_flat_workgroup_size: 1024
    .name:           _ZL9moe_vec_qIfLi32ELi4E10block_q4_0Li2EXadL_ZL17vec_dot_q4_0_q8_1PKvPK10block_q8_1RKiEEEvS2_S2_PT_PS6_iiii
    .private_segment_fixed_size: 0
    .sgpr_count:     24
    .sgpr_spill_count: 0
    .symbol:         _ZL9moe_vec_qIfLi32ELi4E10block_q4_0Li2EXadL_ZL17vec_dot_q4_0_q8_1PKvPK10block_q8_1RKiEEEvS2_S2_PT_PS6_iiii.kd
    .uniform_work_group_size: 1
    .uses_dynamic_stack: false
    .vgpr_count:     23
    .vgpr_spill_count: 0
    .wavefront_size: 64
  - .agpr_count:     0
    .args:
      - .actual_access:  read_only
        .address_space:  global
        .offset:         0
        .size:           8
        .value_kind:     global_buffer
      - .actual_access:  read_only
        .address_space:  global
        .offset:         8
        .size:           8
        .value_kind:     global_buffer
      - .actual_access:  write_only
        .address_space:  global
        .offset:         16
        .size:           8
        .value_kind:     global_buffer
      - .address_space:  global
        .offset:         24
        .size:           8
        .value_kind:     global_buffer
      - .offset:         32
        .size:           4
        .value_kind:     by_value
      - .offset:         36
        .size:           4
        .value_kind:     by_value
      - .offset:         40
        .size:           4
        .value_kind:     by_value
      - .offset:         44
        .size:           4
        .value_kind:     by_value
      - .offset:         48
        .size:           4
        .value_kind:     hidden_block_count_x
      - .offset:         52
        .size:           4
        .value_kind:     hidden_block_count_y
      - .offset:         56
        .size:           4
        .value_kind:     hidden_block_count_z
      - .offset:         60
        .size:           2
        .value_kind:     hidden_group_size_x
      - .offset:         62
        .size:           2
        .value_kind:     hidden_group_size_y
      - .offset:         64
        .size:           2
        .value_kind:     hidden_group_size_z
      - .offset:         66
        .size:           2
        .value_kind:     hidden_remainder_x
      - .offset:         68
        .size:           2
        .value_kind:     hidden_remainder_y
      - .offset:         70
        .size:           2
        .value_kind:     hidden_remainder_z
      - .offset:         88
        .size:           8
        .value_kind:     hidden_global_offset_x
      - .offset:         96
        .size:           8
        .value_kind:     hidden_global_offset_y
      - .offset:         104
        .size:           8
        .value_kind:     hidden_global_offset_z
      - .offset:         112
        .size:           2
        .value_kind:     hidden_grid_dims
    .group_segment_fixed_size: 0
    .kernarg_segment_align: 8
    .kernarg_segment_size: 304
    .language:       OpenCL C
    .language_version:
      - 2
      - 0
    .max_flat_workgroup_size: 1024
    .name:           _ZL9moe_vec_qIfLi32ELi4E10block_q4_1Li2EXadL_ZL17vec_dot_q4_1_q8_1PKvPK10block_q8_1RKiEEEvS2_S2_PT_PS6_iiii
    .private_segment_fixed_size: 0
    .sgpr_count:     24
    .sgpr_spill_count: 0
    .symbol:         _ZL9moe_vec_qIfLi32ELi4E10block_q4_1Li2EXadL_ZL17vec_dot_q4_1_q8_1PKvPK10block_q8_1RKiEEEvS2_S2_PT_PS6_iiii.kd
    .uniform_work_group_size: 1
    .uses_dynamic_stack: false
    .vgpr_count:     20
    .vgpr_spill_count: 0
    .wavefront_size: 64
  - .agpr_count:     0
    .args:
      - .actual_access:  read_only
        .address_space:  global
        .offset:         0
        .size:           8
        .value_kind:     global_buffer
      - .actual_access:  read_only
        .address_space:  global
        .offset:         8
        .size:           8
        .value_kind:     global_buffer
      - .actual_access:  write_only
        .address_space:  global
        .offset:         16
        .size:           8
        .value_kind:     global_buffer
      - .address_space:  global
        .offset:         24
        .size:           8
        .value_kind:     global_buffer
      - .offset:         32
        .size:           4
        .value_kind:     by_value
      - .offset:         36
        .size:           4
        .value_kind:     by_value
      - .offset:         40
        .size:           4
        .value_kind:     by_value
      - .offset:         44
        .size:           4
        .value_kind:     by_value
      - .offset:         48
        .size:           4
        .value_kind:     hidden_block_count_x
      - .offset:         52
        .size:           4
        .value_kind:     hidden_block_count_y
      - .offset:         56
        .size:           4
        .value_kind:     hidden_block_count_z
      - .offset:         60
        .size:           2
        .value_kind:     hidden_group_size_x
      - .offset:         62
        .size:           2
        .value_kind:     hidden_group_size_y
      - .offset:         64
        .size:           2
        .value_kind:     hidden_group_size_z
      - .offset:         66
        .size:           2
        .value_kind:     hidden_remainder_x
      - .offset:         68
        .size:           2
        .value_kind:     hidden_remainder_y
      - .offset:         70
        .size:           2
        .value_kind:     hidden_remainder_z
      - .offset:         88
        .size:           8
        .value_kind:     hidden_global_offset_x
      - .offset:         96
        .size:           8
        .value_kind:     hidden_global_offset_y
      - .offset:         104
        .size:           8
        .value_kind:     hidden_global_offset_z
      - .offset:         112
        .size:           2
        .value_kind:     hidden_grid_dims
    .group_segment_fixed_size: 0
    .kernarg_segment_align: 8
    .kernarg_segment_size: 304
    .language:       OpenCL C
    .language_version:
      - 2
      - 0
    .max_flat_workgroup_size: 1024
    .name:           _ZL9moe_vec_qIfLi32ELi4E10block_q5_0Li2EXadL_ZL17vec_dot_q5_0_q8_1PKvPK10block_q8_1RKiEEEvS2_S2_PT_PS6_iiii
    .private_segment_fixed_size: 0
    .sgpr_count:     24
    .sgpr_spill_count: 0
    .symbol:         _ZL9moe_vec_qIfLi32ELi4E10block_q5_0Li2EXadL_ZL17vec_dot_q5_0_q8_1PKvPK10block_q8_1RKiEEEvS2_S2_PT_PS6_iiii.kd
    .uniform_work_group_size: 1
    .uses_dynamic_stack: false
    .vgpr_count:     36
    .vgpr_spill_count: 0
    .wavefront_size: 64
  - .agpr_count:     0
    .args:
      - .actual_access:  read_only
        .address_space:  global
        .offset:         0
        .size:           8
        .value_kind:     global_buffer
      - .actual_access:  read_only
        .address_space:  global
        .offset:         8
        .size:           8
        .value_kind:     global_buffer
      - .actual_access:  write_only
        .address_space:  global
        .offset:         16
        .size:           8
        .value_kind:     global_buffer
      - .address_space:  global
        .offset:         24
        .size:           8
        .value_kind:     global_buffer
      - .offset:         32
        .size:           4
        .value_kind:     by_value
      - .offset:         36
        .size:           4
        .value_kind:     by_value
      - .offset:         40
        .size:           4
        .value_kind:     by_value
      - .offset:         44
        .size:           4
        .value_kind:     by_value
      - .offset:         48
        .size:           4
        .value_kind:     hidden_block_count_x
      - .offset:         52
        .size:           4
        .value_kind:     hidden_block_count_y
      - .offset:         56
        .size:           4
        .value_kind:     hidden_block_count_z
      - .offset:         60
        .size:           2
        .value_kind:     hidden_group_size_x
      - .offset:         62
        .size:           2
        .value_kind:     hidden_group_size_y
      - .offset:         64
        .size:           2
        .value_kind:     hidden_group_size_z
      - .offset:         66
        .size:           2
        .value_kind:     hidden_remainder_x
      - .offset:         68
        .size:           2
        .value_kind:     hidden_remainder_y
      - .offset:         70
        .size:           2
        .value_kind:     hidden_remainder_z
      - .offset:         88
        .size:           8
        .value_kind:     hidden_global_offset_x
      - .offset:         96
        .size:           8
        .value_kind:     hidden_global_offset_y
      - .offset:         104
        .size:           8
        .value_kind:     hidden_global_offset_z
      - .offset:         112
        .size:           2
        .value_kind:     hidden_grid_dims
    .group_segment_fixed_size: 0
    .kernarg_segment_align: 8
    .kernarg_segment_size: 304
    .language:       OpenCL C
    .language_version:
      - 2
      - 0
    .max_flat_workgroup_size: 1024
    .name:           _ZL9moe_vec_qIfLi32ELi4E10block_q5_1Li2EXadL_ZL17vec_dot_q5_1_q8_1PKvPK10block_q8_1RKiEEEvS2_S2_PT_PS6_iiii
    .private_segment_fixed_size: 0
    .sgpr_count:     24
    .sgpr_spill_count: 0
    .symbol:         _ZL9moe_vec_qIfLi32ELi4E10block_q5_1Li2EXadL_ZL17vec_dot_q5_1_q8_1PKvPK10block_q8_1RKiEEEvS2_S2_PT_PS6_iiii.kd
    .uniform_work_group_size: 1
    .uses_dynamic_stack: false
    .vgpr_count:     34
    .vgpr_spill_count: 0
    .wavefront_size: 64
  - .agpr_count:     0
    .args:
      - .actual_access:  read_only
        .address_space:  global
        .offset:         0
        .size:           8
        .value_kind:     global_buffer
      - .actual_access:  read_only
        .address_space:  global
        .offset:         8
        .size:           8
        .value_kind:     global_buffer
      - .actual_access:  write_only
        .address_space:  global
        .offset:         16
        .size:           8
        .value_kind:     global_buffer
      - .address_space:  global
        .offset:         24
        .size:           8
        .value_kind:     global_buffer
      - .offset:         32
        .size:           4
        .value_kind:     by_value
      - .offset:         36
        .size:           4
        .value_kind:     by_value
      - .offset:         40
        .size:           4
        .value_kind:     by_value
      - .offset:         44
        .size:           4
        .value_kind:     by_value
      - .offset:         48
        .size:           4
        .value_kind:     hidden_block_count_x
      - .offset:         52
        .size:           4
        .value_kind:     hidden_block_count_y
      - .offset:         56
        .size:           4
        .value_kind:     hidden_block_count_z
      - .offset:         60
        .size:           2
        .value_kind:     hidden_group_size_x
      - .offset:         62
        .size:           2
        .value_kind:     hidden_group_size_y
      - .offset:         64
        .size:           2
        .value_kind:     hidden_group_size_z
      - .offset:         66
        .size:           2
        .value_kind:     hidden_remainder_x
      - .offset:         68
        .size:           2
        .value_kind:     hidden_remainder_y
      - .offset:         70
        .size:           2
        .value_kind:     hidden_remainder_z
      - .offset:         88
        .size:           8
        .value_kind:     hidden_global_offset_x
      - .offset:         96
        .size:           8
        .value_kind:     hidden_global_offset_y
      - .offset:         104
        .size:           8
        .value_kind:     hidden_global_offset_z
      - .offset:         112
        .size:           2
        .value_kind:     hidden_grid_dims
    .group_segment_fixed_size: 0
    .kernarg_segment_align: 8
    .kernarg_segment_size: 304
    .language:       OpenCL C
    .language_version:
      - 2
      - 0
    .max_flat_workgroup_size: 1024
    .name:           _ZL9moe_vec_qIfLi32ELi8E10block_q8_0Li2EXadL_ZL17vec_dot_q8_0_q8_1PKvPK10block_q8_1RKiEEEvS2_S2_PT_PS6_iiii
    .private_segment_fixed_size: 0
    .sgpr_count:     24
    .sgpr_spill_count: 0
    .symbol:         _ZL9moe_vec_qIfLi32ELi8E10block_q8_0Li2EXadL_ZL17vec_dot_q8_0_q8_1PKvPK10block_q8_1RKiEEEvS2_S2_PT_PS6_iiii.kd
    .uniform_work_group_size: 1
    .uses_dynamic_stack: false
    .vgpr_count:     18
    .vgpr_spill_count: 0
    .wavefront_size: 64
  - .agpr_count:     0
    .args:
      - .actual_access:  read_only
        .address_space:  global
        .offset:         0
        .size:           8
        .value_kind:     global_buffer
      - .actual_access:  read_only
        .address_space:  global
        .offset:         8
        .size:           8
        .value_kind:     global_buffer
      - .actual_access:  write_only
        .address_space:  global
        .offset:         16
        .size:           8
        .value_kind:     global_buffer
      - .address_space:  global
        .offset:         24
        .size:           8
        .value_kind:     global_buffer
      - .offset:         32
        .size:           4
        .value_kind:     by_value
      - .offset:         36
        .size:           4
        .value_kind:     by_value
      - .offset:         40
        .size:           4
        .value_kind:     by_value
      - .offset:         44
        .size:           4
        .value_kind:     by_value
      - .offset:         48
        .size:           4
        .value_kind:     hidden_block_count_x
      - .offset:         52
        .size:           4
        .value_kind:     hidden_block_count_y
      - .offset:         56
        .size:           4
        .value_kind:     hidden_block_count_z
      - .offset:         60
        .size:           2
        .value_kind:     hidden_group_size_x
      - .offset:         62
        .size:           2
        .value_kind:     hidden_group_size_y
      - .offset:         64
        .size:           2
        .value_kind:     hidden_group_size_z
      - .offset:         66
        .size:           2
        .value_kind:     hidden_remainder_x
      - .offset:         68
        .size:           2
        .value_kind:     hidden_remainder_y
      - .offset:         70
        .size:           2
        .value_kind:     hidden_remainder_z
      - .offset:         88
        .size:           8
        .value_kind:     hidden_global_offset_x
      - .offset:         96
        .size:           8
        .value_kind:     hidden_global_offset_y
      - .offset:         104
        .size:           8
        .value_kind:     hidden_global_offset_z
      - .offset:         112
        .size:           2
        .value_kind:     hidden_grid_dims
    .group_segment_fixed_size: 0
    .kernarg_segment_align: 8
    .kernarg_segment_size: 304
    .language:       OpenCL C
    .language_version:
      - 2
      - 0
    .max_flat_workgroup_size: 1024
    .name:           _ZL9moe_vec_qIfLi256ELi16E10block_q2_KLi1EXadL_ZL17vec_dot_q2_K_q8_1PKvPK10block_q8_1RKiEEEvS2_S2_PT_PS6_iiii
    .private_segment_fixed_size: 0
    .sgpr_count:     24
    .sgpr_spill_count: 0
    .symbol:         _ZL9moe_vec_qIfLi256ELi16E10block_q2_KLi1EXadL_ZL17vec_dot_q2_K_q8_1PKvPK10block_q8_1RKiEEEvS2_S2_PT_PS6_iiii.kd
    .uniform_work_group_size: 1
    .uses_dynamic_stack: false
    .vgpr_count:     46
    .vgpr_spill_count: 0
    .wavefront_size: 64
  - .agpr_count:     0
    .args:
      - .actual_access:  read_only
        .address_space:  global
        .offset:         0
        .size:           8
        .value_kind:     global_buffer
      - .actual_access:  read_only
        .address_space:  global
        .offset:         8
        .size:           8
        .value_kind:     global_buffer
      - .actual_access:  write_only
        .address_space:  global
        .offset:         16
        .size:           8
        .value_kind:     global_buffer
      - .address_space:  global
        .offset:         24
        .size:           8
        .value_kind:     global_buffer
      - .offset:         32
        .size:           4
        .value_kind:     by_value
      - .offset:         36
        .size:           4
        .value_kind:     by_value
      - .offset:         40
        .size:           4
        .value_kind:     by_value
      - .offset:         44
        .size:           4
        .value_kind:     by_value
      - .offset:         48
        .size:           4
        .value_kind:     hidden_block_count_x
      - .offset:         52
        .size:           4
        .value_kind:     hidden_block_count_y
      - .offset:         56
        .size:           4
        .value_kind:     hidden_block_count_z
      - .offset:         60
        .size:           2
        .value_kind:     hidden_group_size_x
      - .offset:         62
        .size:           2
        .value_kind:     hidden_group_size_y
      - .offset:         64
        .size:           2
        .value_kind:     hidden_group_size_z
      - .offset:         66
        .size:           2
        .value_kind:     hidden_remainder_x
      - .offset:         68
        .size:           2
        .value_kind:     hidden_remainder_y
      - .offset:         70
        .size:           2
        .value_kind:     hidden_remainder_z
      - .offset:         88
        .size:           8
        .value_kind:     hidden_global_offset_x
      - .offset:         96
        .size:           8
        .value_kind:     hidden_global_offset_y
      - .offset:         104
        .size:           8
        .value_kind:     hidden_global_offset_z
      - .offset:         112
        .size:           2
        .value_kind:     hidden_grid_dims
    .group_segment_fixed_size: 0
    .kernarg_segment_align: 8
    .kernarg_segment_size: 304
    .language:       OpenCL C
    .language_version:
      - 2
      - 0
    .max_flat_workgroup_size: 1024
    .name:           _ZL9moe_vec_qIfLi256ELi16E10block_q3_KLi1EXadL_ZL17vec_dot_q3_K_q8_1PKvPK10block_q8_1RKiEEEvS2_S2_PT_PS6_iiii
    .private_segment_fixed_size: 0
    .sgpr_count:     24
    .sgpr_spill_count: 0
    .symbol:         _ZL9moe_vec_qIfLi256ELi16E10block_q3_KLi1EXadL_ZL17vec_dot_q3_K_q8_1PKvPK10block_q8_1RKiEEEvS2_S2_PT_PS6_iiii.kd
    .uniform_work_group_size: 1
    .uses_dynamic_stack: false
    .vgpr_count:     64
    .vgpr_spill_count: 0
    .wavefront_size: 64
  - .agpr_count:     0
    .args:
      - .actual_access:  read_only
        .address_space:  global
        .offset:         0
        .size:           8
        .value_kind:     global_buffer
      - .actual_access:  read_only
        .address_space:  global
        .offset:         8
        .size:           8
        .value_kind:     global_buffer
      - .actual_access:  write_only
        .address_space:  global
        .offset:         16
        .size:           8
        .value_kind:     global_buffer
      - .address_space:  global
        .offset:         24
        .size:           8
        .value_kind:     global_buffer
      - .offset:         32
        .size:           4
        .value_kind:     by_value
      - .offset:         36
        .size:           4
        .value_kind:     by_value
      - .offset:         40
        .size:           4
        .value_kind:     by_value
      - .offset:         44
        .size:           4
        .value_kind:     by_value
      - .offset:         48
        .size:           4
        .value_kind:     hidden_block_count_x
      - .offset:         52
        .size:           4
        .value_kind:     hidden_block_count_y
      - .offset:         56
        .size:           4
        .value_kind:     hidden_block_count_z
      - .offset:         60
        .size:           2
        .value_kind:     hidden_group_size_x
      - .offset:         62
        .size:           2
        .value_kind:     hidden_group_size_y
      - .offset:         64
        .size:           2
        .value_kind:     hidden_group_size_z
      - .offset:         66
        .size:           2
        .value_kind:     hidden_remainder_x
      - .offset:         68
        .size:           2
        .value_kind:     hidden_remainder_y
      - .offset:         70
        .size:           2
        .value_kind:     hidden_remainder_z
      - .offset:         88
        .size:           8
        .value_kind:     hidden_global_offset_x
      - .offset:         96
        .size:           8
        .value_kind:     hidden_global_offset_y
      - .offset:         104
        .size:           8
        .value_kind:     hidden_global_offset_z
      - .offset:         112
        .size:           2
        .value_kind:     hidden_grid_dims
    .group_segment_fixed_size: 0
    .kernarg_segment_align: 8
    .kernarg_segment_size: 304
    .language:       OpenCL C
    .language_version:
      - 2
      - 0
    .max_flat_workgroup_size: 1024
    .name:           _ZL9moe_vec_qIfLi256ELi32E10block_q4_KLi2EXadL_ZL17vec_dot_q4_K_q8_1PKvPK10block_q8_1RKiEEEvS2_S2_PT_PS6_iiii
    .private_segment_fixed_size: 0
    .sgpr_count:     24
    .sgpr_spill_count: 0
    .symbol:         _ZL9moe_vec_qIfLi256ELi32E10block_q4_KLi2EXadL_ZL17vec_dot_q4_K_q8_1PKvPK10block_q8_1RKiEEEvS2_S2_PT_PS6_iiii.kd
    .uniform_work_group_size: 1
    .uses_dynamic_stack: false
    .vgpr_count:     36
    .vgpr_spill_count: 0
    .wavefront_size: 64
  - .agpr_count:     0
    .args:
      - .actual_access:  read_only
        .address_space:  global
        .offset:         0
        .size:           8
        .value_kind:     global_buffer
      - .actual_access:  read_only
        .address_space:  global
        .offset:         8
        .size:           8
        .value_kind:     global_buffer
      - .actual_access:  write_only
        .address_space:  global
        .offset:         16
        .size:           8
        .value_kind:     global_buffer
      - .address_space:  global
        .offset:         24
        .size:           8
        .value_kind:     global_buffer
      - .offset:         32
        .size:           4
        .value_kind:     by_value
      - .offset:         36
        .size:           4
        .value_kind:     by_value
      - .offset:         40
        .size:           4
        .value_kind:     by_value
      - .offset:         44
        .size:           4
        .value_kind:     by_value
      - .offset:         48
        .size:           4
        .value_kind:     hidden_block_count_x
      - .offset:         52
        .size:           4
        .value_kind:     hidden_block_count_y
      - .offset:         56
        .size:           4
        .value_kind:     hidden_block_count_z
      - .offset:         60
        .size:           2
        .value_kind:     hidden_group_size_x
      - .offset:         62
        .size:           2
        .value_kind:     hidden_group_size_y
      - .offset:         64
        .size:           2
        .value_kind:     hidden_group_size_z
      - .offset:         66
        .size:           2
        .value_kind:     hidden_remainder_x
      - .offset:         68
        .size:           2
        .value_kind:     hidden_remainder_y
      - .offset:         70
        .size:           2
        .value_kind:     hidden_remainder_z
      - .offset:         88
        .size:           8
        .value_kind:     hidden_global_offset_x
      - .offset:         96
        .size:           8
        .value_kind:     hidden_global_offset_y
      - .offset:         104
        .size:           8
        .value_kind:     hidden_global_offset_z
      - .offset:         112
        .size:           2
        .value_kind:     hidden_grid_dims
    .group_segment_fixed_size: 0
    .kernarg_segment_align: 8
    .kernarg_segment_size: 304
    .language:       OpenCL C
    .language_version:
      - 2
      - 0
    .max_flat_workgroup_size: 1024
    .name:           _ZL9moe_vec_qIfLi256ELi32E10block_q5_KLi2EXadL_ZL17vec_dot_q5_K_q8_1PKvPK10block_q8_1RKiEEEvS2_S2_PT_PS6_iiii
    .private_segment_fixed_size: 0
    .sgpr_count:     24
    .sgpr_spill_count: 0
    .symbol:         _ZL9moe_vec_qIfLi256ELi32E10block_q5_KLi2EXadL_ZL17vec_dot_q5_K_q8_1PKvPK10block_q8_1RKiEEEvS2_S2_PT_PS6_iiii.kd
    .uniform_work_group_size: 1
    .uses_dynamic_stack: false
    .vgpr_count:     38
    .vgpr_spill_count: 0
    .wavefront_size: 64
  - .agpr_count:     0
    .args:
      - .actual_access:  read_only
        .address_space:  global
        .offset:         0
        .size:           8
        .value_kind:     global_buffer
      - .actual_access:  read_only
        .address_space:  global
        .offset:         8
        .size:           8
        .value_kind:     global_buffer
      - .actual_access:  write_only
        .address_space:  global
        .offset:         16
        .size:           8
        .value_kind:     global_buffer
      - .address_space:  global
        .offset:         24
        .size:           8
        .value_kind:     global_buffer
      - .offset:         32
        .size:           4
        .value_kind:     by_value
      - .offset:         36
        .size:           4
        .value_kind:     by_value
      - .offset:         40
        .size:           4
        .value_kind:     by_value
      - .offset:         44
        .size:           4
        .value_kind:     by_value
      - .offset:         48
        .size:           4
        .value_kind:     hidden_block_count_x
      - .offset:         52
        .size:           4
        .value_kind:     hidden_block_count_y
      - .offset:         56
        .size:           4
        .value_kind:     hidden_block_count_z
      - .offset:         60
        .size:           2
        .value_kind:     hidden_group_size_x
      - .offset:         62
        .size:           2
        .value_kind:     hidden_group_size_y
      - .offset:         64
        .size:           2
        .value_kind:     hidden_group_size_z
      - .offset:         66
        .size:           2
        .value_kind:     hidden_remainder_x
      - .offset:         68
        .size:           2
        .value_kind:     hidden_remainder_y
      - .offset:         70
        .size:           2
        .value_kind:     hidden_remainder_z
      - .offset:         88
        .size:           8
        .value_kind:     hidden_global_offset_x
      - .offset:         96
        .size:           8
        .value_kind:     hidden_global_offset_y
      - .offset:         104
        .size:           8
        .value_kind:     hidden_global_offset_z
      - .offset:         112
        .size:           2
        .value_kind:     hidden_grid_dims
    .group_segment_fixed_size: 0
    .kernarg_segment_align: 8
    .kernarg_segment_size: 304
    .language:       OpenCL C
    .language_version:
      - 2
      - 0
    .max_flat_workgroup_size: 1024
    .name:           _ZL9moe_vec_qIfLi256ELi32E10block_q6_KLi1EXadL_ZL17vec_dot_q6_K_q8_1PKvPK10block_q8_1RKiEEEvS2_S2_PT_PS6_iiii
    .private_segment_fixed_size: 0
    .sgpr_count:     24
    .sgpr_spill_count: 0
    .symbol:         _ZL9moe_vec_qIfLi256ELi32E10block_q6_KLi1EXadL_ZL17vec_dot_q6_K_q8_1PKvPK10block_q8_1RKiEEEvS2_S2_PT_PS6_iiii.kd
    .uniform_work_group_size: 1
    .uses_dynamic_stack: false
    .vgpr_count:     33
    .vgpr_spill_count: 0
    .wavefront_size: 64
  - .agpr_count:     0
    .args:
      - .actual_access:  read_only
        .address_space:  global
        .offset:         0
        .size:           8
        .value_kind:     global_buffer
      - .actual_access:  read_only
        .address_space:  global
        .offset:         8
        .size:           8
        .value_kind:     global_buffer
      - .actual_access:  write_only
        .address_space:  global
        .offset:         16
        .size:           8
        .value_kind:     global_buffer
      - .address_space:  global
        .offset:         24
        .size:           8
        .value_kind:     global_buffer
      - .offset:         32
        .size:           4
        .value_kind:     by_value
      - .offset:         36
        .size:           4
        .value_kind:     by_value
      - .offset:         40
        .size:           4
        .value_kind:     by_value
      - .offset:         44
        .size:           4
        .value_kind:     by_value
      - .offset:         48
        .size:           4
        .value_kind:     hidden_block_count_x
      - .offset:         52
        .size:           4
        .value_kind:     hidden_block_count_y
      - .offset:         56
        .size:           4
        .value_kind:     hidden_block_count_z
      - .offset:         60
        .size:           2
        .value_kind:     hidden_group_size_x
      - .offset:         62
        .size:           2
        .value_kind:     hidden_group_size_y
      - .offset:         64
        .size:           2
        .value_kind:     hidden_group_size_z
      - .offset:         66
        .size:           2
        .value_kind:     hidden_remainder_x
      - .offset:         68
        .size:           2
        .value_kind:     hidden_remainder_y
      - .offset:         70
        .size:           2
        .value_kind:     hidden_remainder_z
      - .offset:         88
        .size:           8
        .value_kind:     hidden_global_offset_x
      - .offset:         96
        .size:           8
        .value_kind:     hidden_global_offset_y
      - .offset:         104
        .size:           8
        .value_kind:     hidden_global_offset_z
      - .offset:         112
        .size:           2
        .value_kind:     hidden_grid_dims
    .group_segment_fixed_size: 0
    .kernarg_segment_align: 8
    .kernarg_segment_size: 304
    .language:       OpenCL C
    .language_version:
      - 2
      - 0
    .max_flat_workgroup_size: 1024
    .name:           _ZL9moe_vec_qIfLi256ELi8E13block_iq2_xxsLi1EXadL_ZL20vec_dot_iq2_xxs_q8_1PKvPK10block_q8_1RKiEEEvS2_S2_PT_PS6_iiii
    .private_segment_fixed_size: 0
    .sgpr_count:     65
    .sgpr_spill_count: 0
    .symbol:         _ZL9moe_vec_qIfLi256ELi8E13block_iq2_xxsLi1EXadL_ZL20vec_dot_iq2_xxs_q8_1PKvPK10block_q8_1RKiEEEvS2_S2_PT_PS6_iiii.kd
    .uniform_work_group_size: 1
    .uses_dynamic_stack: false
    .vgpr_count:     55
    .vgpr_spill_count: 0
    .wavefront_size: 64
  - .agpr_count:     0
    .args:
      - .actual_access:  read_only
        .address_space:  global
        .offset:         0
        .size:           8
        .value_kind:     global_buffer
      - .actual_access:  read_only
        .address_space:  global
        .offset:         8
        .size:           8
        .value_kind:     global_buffer
      - .actual_access:  write_only
        .address_space:  global
        .offset:         16
        .size:           8
        .value_kind:     global_buffer
      - .address_space:  global
        .offset:         24
        .size:           8
        .value_kind:     global_buffer
      - .offset:         32
        .size:           4
        .value_kind:     by_value
      - .offset:         36
        .size:           4
        .value_kind:     by_value
      - .offset:         40
        .size:           4
        .value_kind:     by_value
      - .offset:         44
        .size:           4
        .value_kind:     by_value
      - .offset:         48
        .size:           4
        .value_kind:     hidden_block_count_x
      - .offset:         52
        .size:           4
        .value_kind:     hidden_block_count_y
      - .offset:         56
        .size:           4
        .value_kind:     hidden_block_count_z
      - .offset:         60
        .size:           2
        .value_kind:     hidden_group_size_x
      - .offset:         62
        .size:           2
        .value_kind:     hidden_group_size_y
      - .offset:         64
        .size:           2
        .value_kind:     hidden_group_size_z
      - .offset:         66
        .size:           2
        .value_kind:     hidden_remainder_x
      - .offset:         68
        .size:           2
        .value_kind:     hidden_remainder_y
      - .offset:         70
        .size:           2
        .value_kind:     hidden_remainder_z
      - .offset:         88
        .size:           8
        .value_kind:     hidden_global_offset_x
      - .offset:         96
        .size:           8
        .value_kind:     hidden_global_offset_y
      - .offset:         104
        .size:           8
        .value_kind:     hidden_global_offset_z
      - .offset:         112
        .size:           2
        .value_kind:     hidden_grid_dims
    .group_segment_fixed_size: 0
    .kernarg_segment_align: 8
    .kernarg_segment_size: 304
    .language:       OpenCL C
    .language_version:
      - 2
      - 0
    .max_flat_workgroup_size: 1024
    .name:           _ZL9moe_vec_qIfLi256ELi8E12block_iq2_xsLi1EXadL_ZL19vec_dot_iq2_xs_q8_1PKvPK10block_q8_1RKiEEEvS2_S2_PT_PS6_iiii
    .private_segment_fixed_size: 0
    .sgpr_count:     79
    .sgpr_spill_count: 0
    .symbol:         _ZL9moe_vec_qIfLi256ELi8E12block_iq2_xsLi1EXadL_ZL19vec_dot_iq2_xs_q8_1PKvPK10block_q8_1RKiEEEvS2_S2_PT_PS6_iiii.kd
    .uniform_work_group_size: 1
    .uses_dynamic_stack: false
    .vgpr_count:     81
    .vgpr_spill_count: 0
    .wavefront_size: 64
  - .agpr_count:     0
    .args:
      - .actual_access:  read_only
        .address_space:  global
        .offset:         0
        .size:           8
        .value_kind:     global_buffer
      - .actual_access:  read_only
        .address_space:  global
        .offset:         8
        .size:           8
        .value_kind:     global_buffer
      - .actual_access:  write_only
        .address_space:  global
        .offset:         16
        .size:           8
        .value_kind:     global_buffer
      - .address_space:  global
        .offset:         24
        .size:           8
        .value_kind:     global_buffer
      - .offset:         32
        .size:           4
        .value_kind:     by_value
      - .offset:         36
        .size:           4
        .value_kind:     by_value
      - .offset:         40
        .size:           4
        .value_kind:     by_value
      - .offset:         44
        .size:           4
        .value_kind:     by_value
      - .offset:         48
        .size:           4
        .value_kind:     hidden_block_count_x
      - .offset:         52
        .size:           4
        .value_kind:     hidden_block_count_y
      - .offset:         56
        .size:           4
        .value_kind:     hidden_block_count_z
      - .offset:         60
        .size:           2
        .value_kind:     hidden_group_size_x
      - .offset:         62
        .size:           2
        .value_kind:     hidden_group_size_y
      - .offset:         64
        .size:           2
        .value_kind:     hidden_group_size_z
      - .offset:         66
        .size:           2
        .value_kind:     hidden_remainder_x
      - .offset:         68
        .size:           2
        .value_kind:     hidden_remainder_y
      - .offset:         70
        .size:           2
        .value_kind:     hidden_remainder_z
      - .offset:         88
        .size:           8
        .value_kind:     hidden_global_offset_x
      - .offset:         96
        .size:           8
        .value_kind:     hidden_global_offset_y
      - .offset:         104
        .size:           8
        .value_kind:     hidden_global_offset_z
      - .offset:         112
        .size:           2
        .value_kind:     hidden_grid_dims
    .group_segment_fixed_size: 0
    .kernarg_segment_align: 8
    .kernarg_segment_size: 304
    .language:       OpenCL C
    .language_version:
      - 2
      - 0
    .max_flat_workgroup_size: 1024
    .name:           _ZL9moe_vec_qIfLi256ELi8E13block_iq3_xxsLi1EXadL_ZL20vec_dot_iq3_xxs_q8_1PKvPK10block_q8_1RKiEEEvS2_S2_PT_PS6_iiii
    .private_segment_fixed_size: 0
    .sgpr_count:     24
    .sgpr_spill_count: 0
    .symbol:         _ZL9moe_vec_qIfLi256ELi8E13block_iq3_xxsLi1EXadL_ZL20vec_dot_iq3_xxs_q8_1PKvPK10block_q8_1RKiEEEvS2_S2_PT_PS6_iiii.kd
    .uniform_work_group_size: 1
    .uses_dynamic_stack: false
    .vgpr_count:     59
    .vgpr_spill_count: 0
    .wavefront_size: 64
  - .agpr_count:     0
    .args:
      - .actual_access:  read_only
        .address_space:  global
        .offset:         0
        .size:           8
        .value_kind:     global_buffer
      - .actual_access:  read_only
        .address_space:  global
        .offset:         8
        .size:           8
        .value_kind:     global_buffer
      - .actual_access:  write_only
        .address_space:  global
        .offset:         16
        .size:           8
        .value_kind:     global_buffer
      - .address_space:  global
        .offset:         24
        .size:           8
        .value_kind:     global_buffer
      - .offset:         32
        .size:           4
        .value_kind:     by_value
      - .offset:         36
        .size:           4
        .value_kind:     by_value
      - .offset:         40
        .size:           4
        .value_kind:     by_value
      - .offset:         44
        .size:           4
        .value_kind:     by_value
      - .offset:         48
        .size:           4
        .value_kind:     hidden_block_count_x
      - .offset:         52
        .size:           4
        .value_kind:     hidden_block_count_y
      - .offset:         56
        .size:           4
        .value_kind:     hidden_block_count_z
      - .offset:         60
        .size:           2
        .value_kind:     hidden_group_size_x
      - .offset:         62
        .size:           2
        .value_kind:     hidden_group_size_y
      - .offset:         64
        .size:           2
        .value_kind:     hidden_group_size_z
      - .offset:         66
        .size:           2
        .value_kind:     hidden_remainder_x
      - .offset:         68
        .size:           2
        .value_kind:     hidden_remainder_y
      - .offset:         70
        .size:           2
        .value_kind:     hidden_remainder_z
      - .offset:         88
        .size:           8
        .value_kind:     hidden_global_offset_x
      - .offset:         96
        .size:           8
        .value_kind:     hidden_global_offset_y
      - .offset:         104
        .size:           8
        .value_kind:     hidden_global_offset_z
      - .offset:         112
        .size:           2
        .value_kind:     hidden_grid_dims
    .group_segment_fixed_size: 0
    .kernarg_segment_align: 8
    .kernarg_segment_size: 304
    .language:       OpenCL C
    .language_version:
      - 2
      - 0
    .max_flat_workgroup_size: 1024
    .name:           _ZL9moe_vec_qIfLi256ELi8E11block_iq1_sLi1EXadL_ZL18vec_dot_iq1_s_q8_1PKvPK10block_q8_1RKiEEEvS2_S2_PT_PS6_iiii
    .private_segment_fixed_size: 0
    .sgpr_count:     24
    .sgpr_spill_count: 0
    .symbol:         _ZL9moe_vec_qIfLi256ELi8E11block_iq1_sLi1EXadL_ZL18vec_dot_iq1_s_q8_1PKvPK10block_q8_1RKiEEEvS2_S2_PT_PS6_iiii.kd
    .uniform_work_group_size: 1
    .uses_dynamic_stack: false
    .vgpr_count:     32
    .vgpr_spill_count: 0
    .wavefront_size: 64
  - .agpr_count:     0
    .args:
      - .actual_access:  read_only
        .address_space:  global
        .offset:         0
        .size:           8
        .value_kind:     global_buffer
      - .actual_access:  read_only
        .address_space:  global
        .offset:         8
        .size:           8
        .value_kind:     global_buffer
      - .actual_access:  write_only
        .address_space:  global
        .offset:         16
        .size:           8
        .value_kind:     global_buffer
      - .address_space:  global
        .offset:         24
        .size:           8
        .value_kind:     global_buffer
      - .offset:         32
        .size:           4
        .value_kind:     by_value
      - .offset:         36
        .size:           4
        .value_kind:     by_value
      - .offset:         40
        .size:           4
        .value_kind:     by_value
      - .offset:         44
        .size:           4
        .value_kind:     by_value
      - .offset:         48
        .size:           4
        .value_kind:     hidden_block_count_x
      - .offset:         52
        .size:           4
        .value_kind:     hidden_block_count_y
      - .offset:         56
        .size:           4
        .value_kind:     hidden_block_count_z
      - .offset:         60
        .size:           2
        .value_kind:     hidden_group_size_x
      - .offset:         62
        .size:           2
        .value_kind:     hidden_group_size_y
      - .offset:         64
        .size:           2
        .value_kind:     hidden_group_size_z
      - .offset:         66
        .size:           2
        .value_kind:     hidden_remainder_x
      - .offset:         68
        .size:           2
        .value_kind:     hidden_remainder_y
      - .offset:         70
        .size:           2
        .value_kind:     hidden_remainder_z
      - .offset:         88
        .size:           8
        .value_kind:     hidden_global_offset_x
      - .offset:         96
        .size:           8
        .value_kind:     hidden_global_offset_y
      - .offset:         104
        .size:           8
        .value_kind:     hidden_global_offset_z
      - .offset:         112
        .size:           2
        .value_kind:     hidden_grid_dims
    .group_segment_fixed_size: 0
    .kernarg_segment_align: 8
    .kernarg_segment_size: 304
    .language:       OpenCL C
    .language_version:
      - 2
      - 0
    .max_flat_workgroup_size: 1024
    .name:           _ZL9moe_vec_qIfLi32ELi4E12block_iq4_nlLi2EXadL_ZL19vec_dot_iq4_nl_q8_1PKvPK10block_q8_1RKiEEEvS2_S2_PT_PS6_iiii
    .private_segment_fixed_size: 0
    .sgpr_count:     24
    .sgpr_spill_count: 0
    .symbol:         _ZL9moe_vec_qIfLi32ELi4E12block_iq4_nlLi2EXadL_ZL19vec_dot_iq4_nl_q8_1PKvPK10block_q8_1RKiEEEvS2_S2_PT_PS6_iiii.kd
    .uniform_work_group_size: 1
    .uses_dynamic_stack: false
    .vgpr_count:     45
    .vgpr_spill_count: 0
    .wavefront_size: 64
  - .agpr_count:     0
    .args:
      - .actual_access:  read_only
        .address_space:  global
        .offset:         0
        .size:           8
        .value_kind:     global_buffer
      - .actual_access:  read_only
        .address_space:  global
        .offset:         8
        .size:           8
        .value_kind:     global_buffer
      - .actual_access:  write_only
        .address_space:  global
        .offset:         16
        .size:           8
        .value_kind:     global_buffer
      - .address_space:  global
        .offset:         24
        .size:           8
        .value_kind:     global_buffer
      - .offset:         32
        .size:           4
        .value_kind:     by_value
      - .offset:         36
        .size:           4
        .value_kind:     by_value
      - .offset:         40
        .size:           4
        .value_kind:     by_value
      - .offset:         44
        .size:           4
        .value_kind:     by_value
      - .offset:         48
        .size:           4
        .value_kind:     hidden_block_count_x
      - .offset:         52
        .size:           4
        .value_kind:     hidden_block_count_y
      - .offset:         56
        .size:           4
        .value_kind:     hidden_block_count_z
      - .offset:         60
        .size:           2
        .value_kind:     hidden_group_size_x
      - .offset:         62
        .size:           2
        .value_kind:     hidden_group_size_y
      - .offset:         64
        .size:           2
        .value_kind:     hidden_group_size_z
      - .offset:         66
        .size:           2
        .value_kind:     hidden_remainder_x
      - .offset:         68
        .size:           2
        .value_kind:     hidden_remainder_y
      - .offset:         70
        .size:           2
        .value_kind:     hidden_remainder_z
      - .offset:         88
        .size:           8
        .value_kind:     hidden_global_offset_x
      - .offset:         96
        .size:           8
        .value_kind:     hidden_global_offset_y
      - .offset:         104
        .size:           8
        .value_kind:     hidden_global_offset_z
      - .offset:         112
        .size:           2
        .value_kind:     hidden_grid_dims
    .group_segment_fixed_size: 0
    .kernarg_segment_align: 8
    .kernarg_segment_size: 304
    .language:       OpenCL C
    .language_version:
      - 2
      - 0
    .max_flat_workgroup_size: 1024
    .name:           _ZL9moe_vec_qIfLi256ELi8E11block_iq3_sLi1EXadL_ZL18vec_dot_iq3_s_q8_1PKvPK10block_q8_1RKiEEEvS2_S2_PT_PS6_iiii
    .private_segment_fixed_size: 0
    .sgpr_count:     24
    .sgpr_spill_count: 0
    .symbol:         _ZL9moe_vec_qIfLi256ELi8E11block_iq3_sLi1EXadL_ZL18vec_dot_iq3_s_q8_1PKvPK10block_q8_1RKiEEEvS2_S2_PT_PS6_iiii.kd
    .uniform_work_group_size: 1
    .uses_dynamic_stack: false
    .vgpr_count:     46
    .vgpr_spill_count: 0
    .wavefront_size: 64
  - .agpr_count:     0
    .args:
      - .actual_access:  read_only
        .address_space:  global
        .offset:         0
        .size:           8
        .value_kind:     global_buffer
      - .actual_access:  read_only
        .address_space:  global
        .offset:         8
        .size:           8
        .value_kind:     global_buffer
      - .actual_access:  write_only
        .address_space:  global
        .offset:         16
        .size:           8
        .value_kind:     global_buffer
      - .address_space:  global
        .offset:         24
        .size:           8
        .value_kind:     global_buffer
      - .offset:         32
        .size:           4
        .value_kind:     by_value
      - .offset:         36
        .size:           4
        .value_kind:     by_value
      - .offset:         40
        .size:           4
        .value_kind:     by_value
      - .offset:         44
        .size:           4
        .value_kind:     by_value
      - .offset:         48
        .size:           4
        .value_kind:     hidden_block_count_x
      - .offset:         52
        .size:           4
        .value_kind:     hidden_block_count_y
      - .offset:         56
        .size:           4
        .value_kind:     hidden_block_count_z
      - .offset:         60
        .size:           2
        .value_kind:     hidden_group_size_x
      - .offset:         62
        .size:           2
        .value_kind:     hidden_group_size_y
      - .offset:         64
        .size:           2
        .value_kind:     hidden_group_size_z
      - .offset:         66
        .size:           2
        .value_kind:     hidden_remainder_x
      - .offset:         68
        .size:           2
        .value_kind:     hidden_remainder_y
      - .offset:         70
        .size:           2
        .value_kind:     hidden_remainder_z
      - .offset:         88
        .size:           8
        .value_kind:     hidden_global_offset_x
      - .offset:         96
        .size:           8
        .value_kind:     hidden_global_offset_y
      - .offset:         104
        .size:           8
        .value_kind:     hidden_global_offset_z
      - .offset:         112
        .size:           2
        .value_kind:     hidden_grid_dims
    .group_segment_fixed_size: 0
    .kernarg_segment_align: 8
    .kernarg_segment_size: 304
    .language:       OpenCL C
    .language_version:
      - 2
      - 0
    .max_flat_workgroup_size: 1024
    .name:           _ZL9moe_vec_qIfLi256ELi8E11block_iq2_sLi1EXadL_ZL18vec_dot_iq2_s_q8_1PKvPK10block_q8_1RKiEEEvS2_S2_PT_PS6_iiii
    .private_segment_fixed_size: 0
    .sgpr_count:     24
    .sgpr_spill_count: 0
    .symbol:         _ZL9moe_vec_qIfLi256ELi8E11block_iq2_sLi1EXadL_ZL18vec_dot_iq2_s_q8_1PKvPK10block_q8_1RKiEEEvS2_S2_PT_PS6_iiii.kd
    .uniform_work_group_size: 1
    .uses_dynamic_stack: false
    .vgpr_count:     63
    .vgpr_spill_count: 0
    .wavefront_size: 64
  - .agpr_count:     0
    .args:
      - .actual_access:  read_only
        .address_space:  global
        .offset:         0
        .size:           8
        .value_kind:     global_buffer
      - .actual_access:  read_only
        .address_space:  global
        .offset:         8
        .size:           8
        .value_kind:     global_buffer
      - .actual_access:  write_only
        .address_space:  global
        .offset:         16
        .size:           8
        .value_kind:     global_buffer
      - .address_space:  global
        .offset:         24
        .size:           8
        .value_kind:     global_buffer
      - .offset:         32
        .size:           4
        .value_kind:     by_value
      - .offset:         36
        .size:           4
        .value_kind:     by_value
      - .offset:         40
        .size:           4
        .value_kind:     by_value
      - .offset:         44
        .size:           4
        .value_kind:     by_value
      - .offset:         48
        .size:           4
        .value_kind:     hidden_block_count_x
      - .offset:         52
        .size:           4
        .value_kind:     hidden_block_count_y
      - .offset:         56
        .size:           4
        .value_kind:     hidden_block_count_z
      - .offset:         60
        .size:           2
        .value_kind:     hidden_group_size_x
      - .offset:         62
        .size:           2
        .value_kind:     hidden_group_size_y
      - .offset:         64
        .size:           2
        .value_kind:     hidden_group_size_z
      - .offset:         66
        .size:           2
        .value_kind:     hidden_remainder_x
      - .offset:         68
        .size:           2
        .value_kind:     hidden_remainder_y
      - .offset:         70
        .size:           2
        .value_kind:     hidden_remainder_z
      - .offset:         88
        .size:           8
        .value_kind:     hidden_global_offset_x
      - .offset:         96
        .size:           8
        .value_kind:     hidden_global_offset_y
      - .offset:         104
        .size:           8
        .value_kind:     hidden_global_offset_z
      - .offset:         112
        .size:           2
        .value_kind:     hidden_grid_dims
    .group_segment_fixed_size: 0
    .kernarg_segment_align: 8
    .kernarg_segment_size: 304
    .language:       OpenCL C
    .language_version:
      - 2
      - 0
    .max_flat_workgroup_size: 1024
    .name:           _ZL9moe_vec_qIfLi256ELi8E12block_iq4_xsLi1EXadL_ZL19vec_dot_iq4_xs_q8_1PKvPK10block_q8_1RKiEEEvS2_S2_PT_PS6_iiii
    .private_segment_fixed_size: 0
    .sgpr_count:     24
    .sgpr_spill_count: 0
    .symbol:         _ZL9moe_vec_qIfLi256ELi8E12block_iq4_xsLi1EXadL_ZL19vec_dot_iq4_xs_q8_1PKvPK10block_q8_1RKiEEEvS2_S2_PT_PS6_iiii.kd
    .uniform_work_group_size: 1
    .uses_dynamic_stack: false
    .vgpr_count:     64
    .vgpr_spill_count: 0
    .wavefront_size: 64
  - .agpr_count:     0
    .args:
      - .actual_access:  read_only
        .address_space:  global
        .offset:         0
        .size:           8
        .value_kind:     global_buffer
      - .actual_access:  read_only
        .address_space:  global
        .offset:         8
        .size:           8
        .value_kind:     global_buffer
      - .actual_access:  write_only
        .address_space:  global
        .offset:         16
        .size:           8
        .value_kind:     global_buffer
      - .address_space:  global
        .offset:         24
        .size:           8
        .value_kind:     global_buffer
      - .offset:         32
        .size:           4
        .value_kind:     by_value
      - .offset:         36
        .size:           4
        .value_kind:     by_value
      - .offset:         40
        .size:           4
        .value_kind:     by_value
      - .offset:         44
        .size:           4
        .value_kind:     by_value
      - .offset:         48
        .size:           4
        .value_kind:     hidden_block_count_x
      - .offset:         52
        .size:           4
        .value_kind:     hidden_block_count_y
      - .offset:         56
        .size:           4
        .value_kind:     hidden_block_count_z
      - .offset:         60
        .size:           2
        .value_kind:     hidden_group_size_x
      - .offset:         62
        .size:           2
        .value_kind:     hidden_group_size_y
      - .offset:         64
        .size:           2
        .value_kind:     hidden_group_size_z
      - .offset:         66
        .size:           2
        .value_kind:     hidden_remainder_x
      - .offset:         68
        .size:           2
        .value_kind:     hidden_remainder_y
      - .offset:         70
        .size:           2
        .value_kind:     hidden_remainder_z
      - .offset:         88
        .size:           8
        .value_kind:     hidden_global_offset_x
      - .offset:         96
        .size:           8
        .value_kind:     hidden_global_offset_y
      - .offset:         104
        .size:           8
        .value_kind:     hidden_global_offset_z
      - .offset:         112
        .size:           2
        .value_kind:     hidden_grid_dims
    .group_segment_fixed_size: 0
    .kernarg_segment_align: 8
    .kernarg_segment_size: 304
    .language:       OpenCL C
    .language_version:
      - 2
      - 0
    .max_flat_workgroup_size: 1024
    .name:           _ZL9moe_vec_qIfLi256ELi8E11block_iq1_mLi1EXadL_ZL18vec_dot_iq1_m_q8_1PKvPK10block_q8_1RKiEEEvS2_S2_PT_PS6_iiii
    .private_segment_fixed_size: 0
    .sgpr_count:     26
    .sgpr_spill_count: 0
    .symbol:         _ZL9moe_vec_qIfLi256ELi8E11block_iq1_mLi1EXadL_ZL18vec_dot_iq1_m_q8_1PKvPK10block_q8_1RKiEEEvS2_S2_PT_PS6_iiii.kd
    .uniform_work_group_size: 1
    .uses_dynamic_stack: false
    .vgpr_count:     44
    .vgpr_spill_count: 0
    .wavefront_size: 64
  - .agpr_count:     0
    .args:
      - .actual_access:  read_only
        .address_space:  global
        .offset:         0
        .size:           8
        .value_kind:     global_buffer
      - .actual_access:  read_only
        .address_space:  global
        .offset:         8
        .size:           8
        .value_kind:     global_buffer
      - .actual_access:  write_only
        .address_space:  global
        .offset:         16
        .size:           8
        .value_kind:     global_buffer
      - .address_space:  global
        .offset:         24
        .size:           8
        .value_kind:     global_buffer
      - .offset:         32
        .size:           4
        .value_kind:     by_value
      - .offset:         36
        .size:           4
        .value_kind:     by_value
      - .offset:         40
        .size:           4
        .value_kind:     by_value
      - .offset:         44
        .size:           4
        .value_kind:     by_value
      - .offset:         48
        .size:           4
        .value_kind:     hidden_block_count_x
      - .offset:         52
        .size:           4
        .value_kind:     hidden_block_count_y
      - .offset:         56
        .size:           4
        .value_kind:     hidden_block_count_z
      - .offset:         60
        .size:           2
        .value_kind:     hidden_group_size_x
      - .offset:         62
        .size:           2
        .value_kind:     hidden_group_size_y
      - .offset:         64
        .size:           2
        .value_kind:     hidden_group_size_z
      - .offset:         66
        .size:           2
        .value_kind:     hidden_remainder_x
      - .offset:         68
        .size:           2
        .value_kind:     hidden_remainder_y
      - .offset:         70
        .size:           2
        .value_kind:     hidden_remainder_z
      - .offset:         88
        .size:           8
        .value_kind:     hidden_global_offset_x
      - .offset:         96
        .size:           8
        .value_kind:     hidden_global_offset_y
      - .offset:         104
        .size:           8
        .value_kind:     hidden_global_offset_z
      - .offset:         112
        .size:           2
        .value_kind:     hidden_grid_dims
    .group_segment_fixed_size: 0
    .kernarg_segment_align: 8
    .kernarg_segment_size: 304
    .language:       OpenCL C
    .language_version:
      - 2
      - 0
    .max_flat_workgroup_size: 1024
    .name:           _ZL9moe_vec_qIN3c104HalfELi32ELi4E10block_q4_0Li2EXadL_ZL17vec_dot_q4_0_q8_1PKvPK10block_q8_1RKiEEEvS4_S4_PT_PS8_iiii
    .private_segment_fixed_size: 0
    .sgpr_count:     24
    .sgpr_spill_count: 0
    .symbol:         _ZL9moe_vec_qIN3c104HalfELi32ELi4E10block_q4_0Li2EXadL_ZL17vec_dot_q4_0_q8_1PKvPK10block_q8_1RKiEEEvS4_S4_PT_PS8_iiii.kd
    .uniform_work_group_size: 1
    .uses_dynamic_stack: false
    .vgpr_count:     23
    .vgpr_spill_count: 0
    .wavefront_size: 64
  - .agpr_count:     0
    .args:
      - .actual_access:  read_only
        .address_space:  global
        .offset:         0
        .size:           8
        .value_kind:     global_buffer
      - .actual_access:  read_only
        .address_space:  global
        .offset:         8
        .size:           8
        .value_kind:     global_buffer
      - .actual_access:  write_only
        .address_space:  global
        .offset:         16
        .size:           8
        .value_kind:     global_buffer
      - .address_space:  global
        .offset:         24
        .size:           8
        .value_kind:     global_buffer
      - .offset:         32
        .size:           4
        .value_kind:     by_value
      - .offset:         36
        .size:           4
        .value_kind:     by_value
      - .offset:         40
        .size:           4
        .value_kind:     by_value
      - .offset:         44
        .size:           4
        .value_kind:     by_value
      - .offset:         48
        .size:           4
        .value_kind:     hidden_block_count_x
      - .offset:         52
        .size:           4
        .value_kind:     hidden_block_count_y
      - .offset:         56
        .size:           4
        .value_kind:     hidden_block_count_z
      - .offset:         60
        .size:           2
        .value_kind:     hidden_group_size_x
      - .offset:         62
        .size:           2
        .value_kind:     hidden_group_size_y
      - .offset:         64
        .size:           2
        .value_kind:     hidden_group_size_z
      - .offset:         66
        .size:           2
        .value_kind:     hidden_remainder_x
      - .offset:         68
        .size:           2
        .value_kind:     hidden_remainder_y
      - .offset:         70
        .size:           2
        .value_kind:     hidden_remainder_z
      - .offset:         88
        .size:           8
        .value_kind:     hidden_global_offset_x
      - .offset:         96
        .size:           8
        .value_kind:     hidden_global_offset_y
      - .offset:         104
        .size:           8
        .value_kind:     hidden_global_offset_z
      - .offset:         112
        .size:           2
        .value_kind:     hidden_grid_dims
    .group_segment_fixed_size: 0
    .kernarg_segment_align: 8
    .kernarg_segment_size: 304
    .language:       OpenCL C
    .language_version:
      - 2
      - 0
    .max_flat_workgroup_size: 1024
    .name:           _ZL9moe_vec_qIN3c104HalfELi32ELi4E10block_q4_1Li2EXadL_ZL17vec_dot_q4_1_q8_1PKvPK10block_q8_1RKiEEEvS4_S4_PT_PS8_iiii
    .private_segment_fixed_size: 0
    .sgpr_count:     24
    .sgpr_spill_count: 0
    .symbol:         _ZL9moe_vec_qIN3c104HalfELi32ELi4E10block_q4_1Li2EXadL_ZL17vec_dot_q4_1_q8_1PKvPK10block_q8_1RKiEEEvS4_S4_PT_PS8_iiii.kd
    .uniform_work_group_size: 1
    .uses_dynamic_stack: false
    .vgpr_count:     20
    .vgpr_spill_count: 0
    .wavefront_size: 64
  - .agpr_count:     0
    .args:
      - .actual_access:  read_only
        .address_space:  global
        .offset:         0
        .size:           8
        .value_kind:     global_buffer
      - .actual_access:  read_only
        .address_space:  global
        .offset:         8
        .size:           8
        .value_kind:     global_buffer
      - .actual_access:  write_only
        .address_space:  global
        .offset:         16
        .size:           8
        .value_kind:     global_buffer
      - .address_space:  global
        .offset:         24
        .size:           8
        .value_kind:     global_buffer
      - .offset:         32
        .size:           4
        .value_kind:     by_value
      - .offset:         36
        .size:           4
        .value_kind:     by_value
      - .offset:         40
        .size:           4
        .value_kind:     by_value
      - .offset:         44
        .size:           4
        .value_kind:     by_value
      - .offset:         48
        .size:           4
        .value_kind:     hidden_block_count_x
      - .offset:         52
        .size:           4
        .value_kind:     hidden_block_count_y
      - .offset:         56
        .size:           4
        .value_kind:     hidden_block_count_z
      - .offset:         60
        .size:           2
        .value_kind:     hidden_group_size_x
      - .offset:         62
        .size:           2
        .value_kind:     hidden_group_size_y
      - .offset:         64
        .size:           2
        .value_kind:     hidden_group_size_z
      - .offset:         66
        .size:           2
        .value_kind:     hidden_remainder_x
      - .offset:         68
        .size:           2
        .value_kind:     hidden_remainder_y
      - .offset:         70
        .size:           2
        .value_kind:     hidden_remainder_z
      - .offset:         88
        .size:           8
        .value_kind:     hidden_global_offset_x
      - .offset:         96
        .size:           8
        .value_kind:     hidden_global_offset_y
      - .offset:         104
        .size:           8
        .value_kind:     hidden_global_offset_z
      - .offset:         112
        .size:           2
        .value_kind:     hidden_grid_dims
    .group_segment_fixed_size: 0
    .kernarg_segment_align: 8
    .kernarg_segment_size: 304
    .language:       OpenCL C
    .language_version:
      - 2
      - 0
    .max_flat_workgroup_size: 1024
    .name:           _ZL9moe_vec_qIN3c104HalfELi32ELi4E10block_q5_0Li2EXadL_ZL17vec_dot_q5_0_q8_1PKvPK10block_q8_1RKiEEEvS4_S4_PT_PS8_iiii
    .private_segment_fixed_size: 0
    .sgpr_count:     24
    .sgpr_spill_count: 0
    .symbol:         _ZL9moe_vec_qIN3c104HalfELi32ELi4E10block_q5_0Li2EXadL_ZL17vec_dot_q5_0_q8_1PKvPK10block_q8_1RKiEEEvS4_S4_PT_PS8_iiii.kd
    .uniform_work_group_size: 1
    .uses_dynamic_stack: false
    .vgpr_count:     36
    .vgpr_spill_count: 0
    .wavefront_size: 64
  - .agpr_count:     0
    .args:
      - .actual_access:  read_only
        .address_space:  global
        .offset:         0
        .size:           8
        .value_kind:     global_buffer
      - .actual_access:  read_only
        .address_space:  global
        .offset:         8
        .size:           8
        .value_kind:     global_buffer
      - .actual_access:  write_only
        .address_space:  global
        .offset:         16
        .size:           8
        .value_kind:     global_buffer
      - .address_space:  global
        .offset:         24
        .size:           8
        .value_kind:     global_buffer
      - .offset:         32
        .size:           4
        .value_kind:     by_value
      - .offset:         36
        .size:           4
        .value_kind:     by_value
      - .offset:         40
        .size:           4
        .value_kind:     by_value
      - .offset:         44
        .size:           4
        .value_kind:     by_value
      - .offset:         48
        .size:           4
        .value_kind:     hidden_block_count_x
      - .offset:         52
        .size:           4
        .value_kind:     hidden_block_count_y
      - .offset:         56
        .size:           4
        .value_kind:     hidden_block_count_z
      - .offset:         60
        .size:           2
        .value_kind:     hidden_group_size_x
      - .offset:         62
        .size:           2
        .value_kind:     hidden_group_size_y
      - .offset:         64
        .size:           2
        .value_kind:     hidden_group_size_z
      - .offset:         66
        .size:           2
        .value_kind:     hidden_remainder_x
      - .offset:         68
        .size:           2
        .value_kind:     hidden_remainder_y
      - .offset:         70
        .size:           2
        .value_kind:     hidden_remainder_z
      - .offset:         88
        .size:           8
        .value_kind:     hidden_global_offset_x
      - .offset:         96
        .size:           8
        .value_kind:     hidden_global_offset_y
      - .offset:         104
        .size:           8
        .value_kind:     hidden_global_offset_z
      - .offset:         112
        .size:           2
        .value_kind:     hidden_grid_dims
    .group_segment_fixed_size: 0
    .kernarg_segment_align: 8
    .kernarg_segment_size: 304
    .language:       OpenCL C
    .language_version:
      - 2
      - 0
    .max_flat_workgroup_size: 1024
    .name:           _ZL9moe_vec_qIN3c104HalfELi32ELi4E10block_q5_1Li2EXadL_ZL17vec_dot_q5_1_q8_1PKvPK10block_q8_1RKiEEEvS4_S4_PT_PS8_iiii
    .private_segment_fixed_size: 0
    .sgpr_count:     24
    .sgpr_spill_count: 0
    .symbol:         _ZL9moe_vec_qIN3c104HalfELi32ELi4E10block_q5_1Li2EXadL_ZL17vec_dot_q5_1_q8_1PKvPK10block_q8_1RKiEEEvS4_S4_PT_PS8_iiii.kd
    .uniform_work_group_size: 1
    .uses_dynamic_stack: false
    .vgpr_count:     34
    .vgpr_spill_count: 0
    .wavefront_size: 64
  - .agpr_count:     0
    .args:
      - .actual_access:  read_only
        .address_space:  global
        .offset:         0
        .size:           8
        .value_kind:     global_buffer
      - .actual_access:  read_only
        .address_space:  global
        .offset:         8
        .size:           8
        .value_kind:     global_buffer
      - .actual_access:  write_only
        .address_space:  global
        .offset:         16
        .size:           8
        .value_kind:     global_buffer
      - .address_space:  global
        .offset:         24
        .size:           8
        .value_kind:     global_buffer
      - .offset:         32
        .size:           4
        .value_kind:     by_value
      - .offset:         36
        .size:           4
        .value_kind:     by_value
      - .offset:         40
        .size:           4
        .value_kind:     by_value
      - .offset:         44
        .size:           4
        .value_kind:     by_value
      - .offset:         48
        .size:           4
        .value_kind:     hidden_block_count_x
      - .offset:         52
        .size:           4
        .value_kind:     hidden_block_count_y
      - .offset:         56
        .size:           4
        .value_kind:     hidden_block_count_z
      - .offset:         60
        .size:           2
        .value_kind:     hidden_group_size_x
      - .offset:         62
        .size:           2
        .value_kind:     hidden_group_size_y
      - .offset:         64
        .size:           2
        .value_kind:     hidden_group_size_z
      - .offset:         66
        .size:           2
        .value_kind:     hidden_remainder_x
      - .offset:         68
        .size:           2
        .value_kind:     hidden_remainder_y
      - .offset:         70
        .size:           2
        .value_kind:     hidden_remainder_z
      - .offset:         88
        .size:           8
        .value_kind:     hidden_global_offset_x
      - .offset:         96
        .size:           8
        .value_kind:     hidden_global_offset_y
      - .offset:         104
        .size:           8
        .value_kind:     hidden_global_offset_z
      - .offset:         112
        .size:           2
        .value_kind:     hidden_grid_dims
    .group_segment_fixed_size: 0
    .kernarg_segment_align: 8
    .kernarg_segment_size: 304
    .language:       OpenCL C
    .language_version:
      - 2
      - 0
    .max_flat_workgroup_size: 1024
    .name:           _ZL9moe_vec_qIN3c104HalfELi32ELi8E10block_q8_0Li2EXadL_ZL17vec_dot_q8_0_q8_1PKvPK10block_q8_1RKiEEEvS4_S4_PT_PS8_iiii
    .private_segment_fixed_size: 0
    .sgpr_count:     24
    .sgpr_spill_count: 0
    .symbol:         _ZL9moe_vec_qIN3c104HalfELi32ELi8E10block_q8_0Li2EXadL_ZL17vec_dot_q8_0_q8_1PKvPK10block_q8_1RKiEEEvS4_S4_PT_PS8_iiii.kd
    .uniform_work_group_size: 1
    .uses_dynamic_stack: false
    .vgpr_count:     18
    .vgpr_spill_count: 0
    .wavefront_size: 64
  - .agpr_count:     0
    .args:
      - .actual_access:  read_only
        .address_space:  global
        .offset:         0
        .size:           8
        .value_kind:     global_buffer
      - .actual_access:  read_only
        .address_space:  global
        .offset:         8
        .size:           8
        .value_kind:     global_buffer
      - .actual_access:  write_only
        .address_space:  global
        .offset:         16
        .size:           8
        .value_kind:     global_buffer
      - .address_space:  global
        .offset:         24
        .size:           8
        .value_kind:     global_buffer
      - .offset:         32
        .size:           4
        .value_kind:     by_value
      - .offset:         36
        .size:           4
        .value_kind:     by_value
      - .offset:         40
        .size:           4
        .value_kind:     by_value
      - .offset:         44
        .size:           4
        .value_kind:     by_value
      - .offset:         48
        .size:           4
        .value_kind:     hidden_block_count_x
      - .offset:         52
        .size:           4
        .value_kind:     hidden_block_count_y
      - .offset:         56
        .size:           4
        .value_kind:     hidden_block_count_z
      - .offset:         60
        .size:           2
        .value_kind:     hidden_group_size_x
      - .offset:         62
        .size:           2
        .value_kind:     hidden_group_size_y
      - .offset:         64
        .size:           2
        .value_kind:     hidden_group_size_z
      - .offset:         66
        .size:           2
        .value_kind:     hidden_remainder_x
      - .offset:         68
        .size:           2
        .value_kind:     hidden_remainder_y
      - .offset:         70
        .size:           2
        .value_kind:     hidden_remainder_z
      - .offset:         88
        .size:           8
        .value_kind:     hidden_global_offset_x
      - .offset:         96
        .size:           8
        .value_kind:     hidden_global_offset_y
      - .offset:         104
        .size:           8
        .value_kind:     hidden_global_offset_z
      - .offset:         112
        .size:           2
        .value_kind:     hidden_grid_dims
    .group_segment_fixed_size: 0
    .kernarg_segment_align: 8
    .kernarg_segment_size: 304
    .language:       OpenCL C
    .language_version:
      - 2
      - 0
    .max_flat_workgroup_size: 1024
    .name:           _ZL9moe_vec_qIN3c104HalfELi256ELi16E10block_q2_KLi1EXadL_ZL17vec_dot_q2_K_q8_1PKvPK10block_q8_1RKiEEEvS4_S4_PT_PS8_iiii
    .private_segment_fixed_size: 0
    .sgpr_count:     24
    .sgpr_spill_count: 0
    .symbol:         _ZL9moe_vec_qIN3c104HalfELi256ELi16E10block_q2_KLi1EXadL_ZL17vec_dot_q2_K_q8_1PKvPK10block_q8_1RKiEEEvS4_S4_PT_PS8_iiii.kd
    .uniform_work_group_size: 1
    .uses_dynamic_stack: false
    .vgpr_count:     46
    .vgpr_spill_count: 0
    .wavefront_size: 64
  - .agpr_count:     0
    .args:
      - .actual_access:  read_only
        .address_space:  global
        .offset:         0
        .size:           8
        .value_kind:     global_buffer
      - .actual_access:  read_only
        .address_space:  global
        .offset:         8
        .size:           8
        .value_kind:     global_buffer
      - .actual_access:  write_only
        .address_space:  global
        .offset:         16
        .size:           8
        .value_kind:     global_buffer
      - .address_space:  global
        .offset:         24
        .size:           8
        .value_kind:     global_buffer
      - .offset:         32
        .size:           4
        .value_kind:     by_value
      - .offset:         36
        .size:           4
        .value_kind:     by_value
      - .offset:         40
        .size:           4
        .value_kind:     by_value
      - .offset:         44
        .size:           4
        .value_kind:     by_value
      - .offset:         48
        .size:           4
        .value_kind:     hidden_block_count_x
      - .offset:         52
        .size:           4
        .value_kind:     hidden_block_count_y
      - .offset:         56
        .size:           4
        .value_kind:     hidden_block_count_z
      - .offset:         60
        .size:           2
        .value_kind:     hidden_group_size_x
      - .offset:         62
        .size:           2
        .value_kind:     hidden_group_size_y
      - .offset:         64
        .size:           2
        .value_kind:     hidden_group_size_z
      - .offset:         66
        .size:           2
        .value_kind:     hidden_remainder_x
      - .offset:         68
        .size:           2
        .value_kind:     hidden_remainder_y
      - .offset:         70
        .size:           2
        .value_kind:     hidden_remainder_z
      - .offset:         88
        .size:           8
        .value_kind:     hidden_global_offset_x
      - .offset:         96
        .size:           8
        .value_kind:     hidden_global_offset_y
      - .offset:         104
        .size:           8
        .value_kind:     hidden_global_offset_z
      - .offset:         112
        .size:           2
        .value_kind:     hidden_grid_dims
    .group_segment_fixed_size: 0
    .kernarg_segment_align: 8
    .kernarg_segment_size: 304
    .language:       OpenCL C
    .language_version:
      - 2
      - 0
    .max_flat_workgroup_size: 1024
    .name:           _ZL9moe_vec_qIN3c104HalfELi256ELi16E10block_q3_KLi1EXadL_ZL17vec_dot_q3_K_q8_1PKvPK10block_q8_1RKiEEEvS4_S4_PT_PS8_iiii
    .private_segment_fixed_size: 0
    .sgpr_count:     24
    .sgpr_spill_count: 0
    .symbol:         _ZL9moe_vec_qIN3c104HalfELi256ELi16E10block_q3_KLi1EXadL_ZL17vec_dot_q3_K_q8_1PKvPK10block_q8_1RKiEEEvS4_S4_PT_PS8_iiii.kd
    .uniform_work_group_size: 1
    .uses_dynamic_stack: false
    .vgpr_count:     64
    .vgpr_spill_count: 0
    .wavefront_size: 64
  - .agpr_count:     0
    .args:
      - .actual_access:  read_only
        .address_space:  global
        .offset:         0
        .size:           8
        .value_kind:     global_buffer
      - .actual_access:  read_only
        .address_space:  global
        .offset:         8
        .size:           8
        .value_kind:     global_buffer
      - .actual_access:  write_only
        .address_space:  global
        .offset:         16
        .size:           8
        .value_kind:     global_buffer
      - .address_space:  global
        .offset:         24
        .size:           8
        .value_kind:     global_buffer
      - .offset:         32
        .size:           4
        .value_kind:     by_value
      - .offset:         36
        .size:           4
        .value_kind:     by_value
      - .offset:         40
        .size:           4
        .value_kind:     by_value
      - .offset:         44
        .size:           4
        .value_kind:     by_value
      - .offset:         48
        .size:           4
        .value_kind:     hidden_block_count_x
      - .offset:         52
        .size:           4
        .value_kind:     hidden_block_count_y
      - .offset:         56
        .size:           4
        .value_kind:     hidden_block_count_z
      - .offset:         60
        .size:           2
        .value_kind:     hidden_group_size_x
      - .offset:         62
        .size:           2
        .value_kind:     hidden_group_size_y
      - .offset:         64
        .size:           2
        .value_kind:     hidden_group_size_z
      - .offset:         66
        .size:           2
        .value_kind:     hidden_remainder_x
      - .offset:         68
        .size:           2
        .value_kind:     hidden_remainder_y
      - .offset:         70
        .size:           2
        .value_kind:     hidden_remainder_z
      - .offset:         88
        .size:           8
        .value_kind:     hidden_global_offset_x
      - .offset:         96
        .size:           8
        .value_kind:     hidden_global_offset_y
      - .offset:         104
        .size:           8
        .value_kind:     hidden_global_offset_z
      - .offset:         112
        .size:           2
        .value_kind:     hidden_grid_dims
    .group_segment_fixed_size: 0
    .kernarg_segment_align: 8
    .kernarg_segment_size: 304
    .language:       OpenCL C
    .language_version:
      - 2
      - 0
    .max_flat_workgroup_size: 1024
    .name:           _ZL9moe_vec_qIN3c104HalfELi256ELi32E10block_q4_KLi2EXadL_ZL17vec_dot_q4_K_q8_1PKvPK10block_q8_1RKiEEEvS4_S4_PT_PS8_iiii
    .private_segment_fixed_size: 0
    .sgpr_count:     24
    .sgpr_spill_count: 0
    .symbol:         _ZL9moe_vec_qIN3c104HalfELi256ELi32E10block_q4_KLi2EXadL_ZL17vec_dot_q4_K_q8_1PKvPK10block_q8_1RKiEEEvS4_S4_PT_PS8_iiii.kd
    .uniform_work_group_size: 1
    .uses_dynamic_stack: false
    .vgpr_count:     36
    .vgpr_spill_count: 0
    .wavefront_size: 64
  - .agpr_count:     0
    .args:
      - .actual_access:  read_only
        .address_space:  global
        .offset:         0
        .size:           8
        .value_kind:     global_buffer
      - .actual_access:  read_only
        .address_space:  global
        .offset:         8
        .size:           8
        .value_kind:     global_buffer
      - .actual_access:  write_only
        .address_space:  global
        .offset:         16
        .size:           8
        .value_kind:     global_buffer
      - .address_space:  global
        .offset:         24
        .size:           8
        .value_kind:     global_buffer
      - .offset:         32
        .size:           4
        .value_kind:     by_value
      - .offset:         36
        .size:           4
        .value_kind:     by_value
      - .offset:         40
        .size:           4
        .value_kind:     by_value
      - .offset:         44
        .size:           4
        .value_kind:     by_value
      - .offset:         48
        .size:           4
        .value_kind:     hidden_block_count_x
      - .offset:         52
        .size:           4
        .value_kind:     hidden_block_count_y
      - .offset:         56
        .size:           4
        .value_kind:     hidden_block_count_z
      - .offset:         60
        .size:           2
        .value_kind:     hidden_group_size_x
      - .offset:         62
        .size:           2
        .value_kind:     hidden_group_size_y
      - .offset:         64
        .size:           2
        .value_kind:     hidden_group_size_z
      - .offset:         66
        .size:           2
        .value_kind:     hidden_remainder_x
      - .offset:         68
        .size:           2
        .value_kind:     hidden_remainder_y
      - .offset:         70
        .size:           2
        .value_kind:     hidden_remainder_z
      - .offset:         88
        .size:           8
        .value_kind:     hidden_global_offset_x
      - .offset:         96
        .size:           8
        .value_kind:     hidden_global_offset_y
      - .offset:         104
        .size:           8
        .value_kind:     hidden_global_offset_z
      - .offset:         112
        .size:           2
        .value_kind:     hidden_grid_dims
    .group_segment_fixed_size: 0
    .kernarg_segment_align: 8
    .kernarg_segment_size: 304
    .language:       OpenCL C
    .language_version:
      - 2
      - 0
    .max_flat_workgroup_size: 1024
    .name:           _ZL9moe_vec_qIN3c104HalfELi256ELi32E10block_q5_KLi2EXadL_ZL17vec_dot_q5_K_q8_1PKvPK10block_q8_1RKiEEEvS4_S4_PT_PS8_iiii
    .private_segment_fixed_size: 0
    .sgpr_count:     24
    .sgpr_spill_count: 0
    .symbol:         _ZL9moe_vec_qIN3c104HalfELi256ELi32E10block_q5_KLi2EXadL_ZL17vec_dot_q5_K_q8_1PKvPK10block_q8_1RKiEEEvS4_S4_PT_PS8_iiii.kd
    .uniform_work_group_size: 1
    .uses_dynamic_stack: false
    .vgpr_count:     38
    .vgpr_spill_count: 0
    .wavefront_size: 64
  - .agpr_count:     0
    .args:
      - .actual_access:  read_only
        .address_space:  global
        .offset:         0
        .size:           8
        .value_kind:     global_buffer
      - .actual_access:  read_only
        .address_space:  global
        .offset:         8
        .size:           8
        .value_kind:     global_buffer
      - .actual_access:  write_only
        .address_space:  global
        .offset:         16
        .size:           8
        .value_kind:     global_buffer
      - .address_space:  global
        .offset:         24
        .size:           8
        .value_kind:     global_buffer
      - .offset:         32
        .size:           4
        .value_kind:     by_value
      - .offset:         36
        .size:           4
        .value_kind:     by_value
      - .offset:         40
        .size:           4
        .value_kind:     by_value
      - .offset:         44
        .size:           4
        .value_kind:     by_value
      - .offset:         48
        .size:           4
        .value_kind:     hidden_block_count_x
      - .offset:         52
        .size:           4
        .value_kind:     hidden_block_count_y
      - .offset:         56
        .size:           4
        .value_kind:     hidden_block_count_z
      - .offset:         60
        .size:           2
        .value_kind:     hidden_group_size_x
      - .offset:         62
        .size:           2
        .value_kind:     hidden_group_size_y
      - .offset:         64
        .size:           2
        .value_kind:     hidden_group_size_z
      - .offset:         66
        .size:           2
        .value_kind:     hidden_remainder_x
      - .offset:         68
        .size:           2
        .value_kind:     hidden_remainder_y
      - .offset:         70
        .size:           2
        .value_kind:     hidden_remainder_z
      - .offset:         88
        .size:           8
        .value_kind:     hidden_global_offset_x
      - .offset:         96
        .size:           8
        .value_kind:     hidden_global_offset_y
      - .offset:         104
        .size:           8
        .value_kind:     hidden_global_offset_z
      - .offset:         112
        .size:           2
        .value_kind:     hidden_grid_dims
    .group_segment_fixed_size: 0
    .kernarg_segment_align: 8
    .kernarg_segment_size: 304
    .language:       OpenCL C
    .language_version:
      - 2
      - 0
    .max_flat_workgroup_size: 1024
    .name:           _ZL9moe_vec_qIN3c104HalfELi256ELi32E10block_q6_KLi1EXadL_ZL17vec_dot_q6_K_q8_1PKvPK10block_q8_1RKiEEEvS4_S4_PT_PS8_iiii
    .private_segment_fixed_size: 0
    .sgpr_count:     24
    .sgpr_spill_count: 0
    .symbol:         _ZL9moe_vec_qIN3c104HalfELi256ELi32E10block_q6_KLi1EXadL_ZL17vec_dot_q6_K_q8_1PKvPK10block_q8_1RKiEEEvS4_S4_PT_PS8_iiii.kd
    .uniform_work_group_size: 1
    .uses_dynamic_stack: false
    .vgpr_count:     33
    .vgpr_spill_count: 0
    .wavefront_size: 64
  - .agpr_count:     0
    .args:
      - .actual_access:  read_only
        .address_space:  global
        .offset:         0
        .size:           8
        .value_kind:     global_buffer
      - .actual_access:  read_only
        .address_space:  global
        .offset:         8
        .size:           8
        .value_kind:     global_buffer
      - .actual_access:  write_only
        .address_space:  global
        .offset:         16
        .size:           8
        .value_kind:     global_buffer
      - .address_space:  global
        .offset:         24
        .size:           8
        .value_kind:     global_buffer
      - .offset:         32
        .size:           4
        .value_kind:     by_value
      - .offset:         36
        .size:           4
        .value_kind:     by_value
      - .offset:         40
        .size:           4
        .value_kind:     by_value
      - .offset:         44
        .size:           4
        .value_kind:     by_value
      - .offset:         48
        .size:           4
        .value_kind:     hidden_block_count_x
      - .offset:         52
        .size:           4
        .value_kind:     hidden_block_count_y
      - .offset:         56
        .size:           4
        .value_kind:     hidden_block_count_z
      - .offset:         60
        .size:           2
        .value_kind:     hidden_group_size_x
      - .offset:         62
        .size:           2
        .value_kind:     hidden_group_size_y
      - .offset:         64
        .size:           2
        .value_kind:     hidden_group_size_z
      - .offset:         66
        .size:           2
        .value_kind:     hidden_remainder_x
      - .offset:         68
        .size:           2
        .value_kind:     hidden_remainder_y
      - .offset:         70
        .size:           2
        .value_kind:     hidden_remainder_z
      - .offset:         88
        .size:           8
        .value_kind:     hidden_global_offset_x
      - .offset:         96
        .size:           8
        .value_kind:     hidden_global_offset_y
      - .offset:         104
        .size:           8
        .value_kind:     hidden_global_offset_z
      - .offset:         112
        .size:           2
        .value_kind:     hidden_grid_dims
    .group_segment_fixed_size: 0
    .kernarg_segment_align: 8
    .kernarg_segment_size: 304
    .language:       OpenCL C
    .language_version:
      - 2
      - 0
    .max_flat_workgroup_size: 1024
    .name:           _ZL9moe_vec_qIN3c104HalfELi256ELi8E13block_iq2_xxsLi1EXadL_ZL20vec_dot_iq2_xxs_q8_1PKvPK10block_q8_1RKiEEEvS4_S4_PT_PS8_iiii
    .private_segment_fixed_size: 0
    .sgpr_count:     65
    .sgpr_spill_count: 0
    .symbol:         _ZL9moe_vec_qIN3c104HalfELi256ELi8E13block_iq2_xxsLi1EXadL_ZL20vec_dot_iq2_xxs_q8_1PKvPK10block_q8_1RKiEEEvS4_S4_PT_PS8_iiii.kd
    .uniform_work_group_size: 1
    .uses_dynamic_stack: false
    .vgpr_count:     55
    .vgpr_spill_count: 0
    .wavefront_size: 64
  - .agpr_count:     0
    .args:
      - .actual_access:  read_only
        .address_space:  global
        .offset:         0
        .size:           8
        .value_kind:     global_buffer
      - .actual_access:  read_only
        .address_space:  global
        .offset:         8
        .size:           8
        .value_kind:     global_buffer
      - .actual_access:  write_only
        .address_space:  global
        .offset:         16
        .size:           8
        .value_kind:     global_buffer
      - .address_space:  global
        .offset:         24
        .size:           8
        .value_kind:     global_buffer
      - .offset:         32
        .size:           4
        .value_kind:     by_value
      - .offset:         36
        .size:           4
        .value_kind:     by_value
      - .offset:         40
        .size:           4
        .value_kind:     by_value
      - .offset:         44
        .size:           4
        .value_kind:     by_value
      - .offset:         48
        .size:           4
        .value_kind:     hidden_block_count_x
      - .offset:         52
        .size:           4
        .value_kind:     hidden_block_count_y
      - .offset:         56
        .size:           4
        .value_kind:     hidden_block_count_z
      - .offset:         60
        .size:           2
        .value_kind:     hidden_group_size_x
      - .offset:         62
        .size:           2
        .value_kind:     hidden_group_size_y
      - .offset:         64
        .size:           2
        .value_kind:     hidden_group_size_z
      - .offset:         66
        .size:           2
        .value_kind:     hidden_remainder_x
      - .offset:         68
        .size:           2
        .value_kind:     hidden_remainder_y
      - .offset:         70
        .size:           2
        .value_kind:     hidden_remainder_z
      - .offset:         88
        .size:           8
        .value_kind:     hidden_global_offset_x
      - .offset:         96
        .size:           8
        .value_kind:     hidden_global_offset_y
      - .offset:         104
        .size:           8
        .value_kind:     hidden_global_offset_z
      - .offset:         112
        .size:           2
        .value_kind:     hidden_grid_dims
    .group_segment_fixed_size: 0
    .kernarg_segment_align: 8
    .kernarg_segment_size: 304
    .language:       OpenCL C
    .language_version:
      - 2
      - 0
    .max_flat_workgroup_size: 1024
    .name:           _ZL9moe_vec_qIN3c104HalfELi256ELi8E12block_iq2_xsLi1EXadL_ZL19vec_dot_iq2_xs_q8_1PKvPK10block_q8_1RKiEEEvS4_S4_PT_PS8_iiii
    .private_segment_fixed_size: 0
    .sgpr_count:     79
    .sgpr_spill_count: 0
    .symbol:         _ZL9moe_vec_qIN3c104HalfELi256ELi8E12block_iq2_xsLi1EXadL_ZL19vec_dot_iq2_xs_q8_1PKvPK10block_q8_1RKiEEEvS4_S4_PT_PS8_iiii.kd
    .uniform_work_group_size: 1
    .uses_dynamic_stack: false
    .vgpr_count:     81
    .vgpr_spill_count: 0
    .wavefront_size: 64
  - .agpr_count:     0
    .args:
      - .actual_access:  read_only
        .address_space:  global
        .offset:         0
        .size:           8
        .value_kind:     global_buffer
      - .actual_access:  read_only
        .address_space:  global
        .offset:         8
        .size:           8
        .value_kind:     global_buffer
      - .actual_access:  write_only
        .address_space:  global
        .offset:         16
        .size:           8
        .value_kind:     global_buffer
      - .address_space:  global
        .offset:         24
        .size:           8
        .value_kind:     global_buffer
      - .offset:         32
        .size:           4
        .value_kind:     by_value
      - .offset:         36
        .size:           4
        .value_kind:     by_value
      - .offset:         40
        .size:           4
        .value_kind:     by_value
      - .offset:         44
        .size:           4
        .value_kind:     by_value
      - .offset:         48
        .size:           4
        .value_kind:     hidden_block_count_x
      - .offset:         52
        .size:           4
        .value_kind:     hidden_block_count_y
      - .offset:         56
        .size:           4
        .value_kind:     hidden_block_count_z
      - .offset:         60
        .size:           2
        .value_kind:     hidden_group_size_x
      - .offset:         62
        .size:           2
        .value_kind:     hidden_group_size_y
      - .offset:         64
        .size:           2
        .value_kind:     hidden_group_size_z
      - .offset:         66
        .size:           2
        .value_kind:     hidden_remainder_x
      - .offset:         68
        .size:           2
        .value_kind:     hidden_remainder_y
      - .offset:         70
        .size:           2
        .value_kind:     hidden_remainder_z
      - .offset:         88
        .size:           8
        .value_kind:     hidden_global_offset_x
      - .offset:         96
        .size:           8
        .value_kind:     hidden_global_offset_y
      - .offset:         104
        .size:           8
        .value_kind:     hidden_global_offset_z
      - .offset:         112
        .size:           2
        .value_kind:     hidden_grid_dims
    .group_segment_fixed_size: 0
    .kernarg_segment_align: 8
    .kernarg_segment_size: 304
    .language:       OpenCL C
    .language_version:
      - 2
      - 0
    .max_flat_workgroup_size: 1024
    .name:           _ZL9moe_vec_qIN3c104HalfELi256ELi8E13block_iq3_xxsLi1EXadL_ZL20vec_dot_iq3_xxs_q8_1PKvPK10block_q8_1RKiEEEvS4_S4_PT_PS8_iiii
    .private_segment_fixed_size: 0
    .sgpr_count:     24
    .sgpr_spill_count: 0
    .symbol:         _ZL9moe_vec_qIN3c104HalfELi256ELi8E13block_iq3_xxsLi1EXadL_ZL20vec_dot_iq3_xxs_q8_1PKvPK10block_q8_1RKiEEEvS4_S4_PT_PS8_iiii.kd
    .uniform_work_group_size: 1
    .uses_dynamic_stack: false
    .vgpr_count:     59
    .vgpr_spill_count: 0
    .wavefront_size: 64
  - .agpr_count:     0
    .args:
      - .actual_access:  read_only
        .address_space:  global
        .offset:         0
        .size:           8
        .value_kind:     global_buffer
      - .actual_access:  read_only
        .address_space:  global
        .offset:         8
        .size:           8
        .value_kind:     global_buffer
      - .actual_access:  write_only
        .address_space:  global
        .offset:         16
        .size:           8
        .value_kind:     global_buffer
      - .address_space:  global
        .offset:         24
        .size:           8
        .value_kind:     global_buffer
      - .offset:         32
        .size:           4
        .value_kind:     by_value
      - .offset:         36
        .size:           4
        .value_kind:     by_value
      - .offset:         40
        .size:           4
        .value_kind:     by_value
      - .offset:         44
        .size:           4
        .value_kind:     by_value
      - .offset:         48
        .size:           4
        .value_kind:     hidden_block_count_x
      - .offset:         52
        .size:           4
        .value_kind:     hidden_block_count_y
      - .offset:         56
        .size:           4
        .value_kind:     hidden_block_count_z
      - .offset:         60
        .size:           2
        .value_kind:     hidden_group_size_x
      - .offset:         62
        .size:           2
        .value_kind:     hidden_group_size_y
      - .offset:         64
        .size:           2
        .value_kind:     hidden_group_size_z
      - .offset:         66
        .size:           2
        .value_kind:     hidden_remainder_x
      - .offset:         68
        .size:           2
        .value_kind:     hidden_remainder_y
      - .offset:         70
        .size:           2
        .value_kind:     hidden_remainder_z
      - .offset:         88
        .size:           8
        .value_kind:     hidden_global_offset_x
      - .offset:         96
        .size:           8
        .value_kind:     hidden_global_offset_y
      - .offset:         104
        .size:           8
        .value_kind:     hidden_global_offset_z
      - .offset:         112
        .size:           2
        .value_kind:     hidden_grid_dims
    .group_segment_fixed_size: 0
    .kernarg_segment_align: 8
    .kernarg_segment_size: 304
    .language:       OpenCL C
    .language_version:
      - 2
      - 0
    .max_flat_workgroup_size: 1024
    .name:           _ZL9moe_vec_qIN3c104HalfELi256ELi8E11block_iq1_sLi1EXadL_ZL18vec_dot_iq1_s_q8_1PKvPK10block_q8_1RKiEEEvS4_S4_PT_PS8_iiii
    .private_segment_fixed_size: 0
    .sgpr_count:     24
    .sgpr_spill_count: 0
    .symbol:         _ZL9moe_vec_qIN3c104HalfELi256ELi8E11block_iq1_sLi1EXadL_ZL18vec_dot_iq1_s_q8_1PKvPK10block_q8_1RKiEEEvS4_S4_PT_PS8_iiii.kd
    .uniform_work_group_size: 1
    .uses_dynamic_stack: false
    .vgpr_count:     32
    .vgpr_spill_count: 0
    .wavefront_size: 64
  - .agpr_count:     0
    .args:
      - .actual_access:  read_only
        .address_space:  global
        .offset:         0
        .size:           8
        .value_kind:     global_buffer
      - .actual_access:  read_only
        .address_space:  global
        .offset:         8
        .size:           8
        .value_kind:     global_buffer
      - .actual_access:  write_only
        .address_space:  global
        .offset:         16
        .size:           8
        .value_kind:     global_buffer
      - .address_space:  global
        .offset:         24
        .size:           8
        .value_kind:     global_buffer
      - .offset:         32
        .size:           4
        .value_kind:     by_value
      - .offset:         36
        .size:           4
        .value_kind:     by_value
      - .offset:         40
        .size:           4
        .value_kind:     by_value
      - .offset:         44
        .size:           4
        .value_kind:     by_value
      - .offset:         48
        .size:           4
        .value_kind:     hidden_block_count_x
      - .offset:         52
        .size:           4
        .value_kind:     hidden_block_count_y
      - .offset:         56
        .size:           4
        .value_kind:     hidden_block_count_z
      - .offset:         60
        .size:           2
        .value_kind:     hidden_group_size_x
      - .offset:         62
        .size:           2
        .value_kind:     hidden_group_size_y
      - .offset:         64
        .size:           2
        .value_kind:     hidden_group_size_z
      - .offset:         66
        .size:           2
        .value_kind:     hidden_remainder_x
      - .offset:         68
        .size:           2
        .value_kind:     hidden_remainder_y
      - .offset:         70
        .size:           2
        .value_kind:     hidden_remainder_z
      - .offset:         88
        .size:           8
        .value_kind:     hidden_global_offset_x
      - .offset:         96
        .size:           8
        .value_kind:     hidden_global_offset_y
      - .offset:         104
        .size:           8
        .value_kind:     hidden_global_offset_z
      - .offset:         112
        .size:           2
        .value_kind:     hidden_grid_dims
    .group_segment_fixed_size: 0
    .kernarg_segment_align: 8
    .kernarg_segment_size: 304
    .language:       OpenCL C
    .language_version:
      - 2
      - 0
    .max_flat_workgroup_size: 1024
    .name:           _ZL9moe_vec_qIN3c104HalfELi32ELi4E12block_iq4_nlLi2EXadL_ZL19vec_dot_iq4_nl_q8_1PKvPK10block_q8_1RKiEEEvS4_S4_PT_PS8_iiii
    .private_segment_fixed_size: 0
    .sgpr_count:     24
    .sgpr_spill_count: 0
    .symbol:         _ZL9moe_vec_qIN3c104HalfELi32ELi4E12block_iq4_nlLi2EXadL_ZL19vec_dot_iq4_nl_q8_1PKvPK10block_q8_1RKiEEEvS4_S4_PT_PS8_iiii.kd
    .uniform_work_group_size: 1
    .uses_dynamic_stack: false
    .vgpr_count:     45
    .vgpr_spill_count: 0
    .wavefront_size: 64
  - .agpr_count:     0
    .args:
      - .actual_access:  read_only
        .address_space:  global
        .offset:         0
        .size:           8
        .value_kind:     global_buffer
      - .actual_access:  read_only
        .address_space:  global
        .offset:         8
        .size:           8
        .value_kind:     global_buffer
      - .actual_access:  write_only
        .address_space:  global
        .offset:         16
        .size:           8
        .value_kind:     global_buffer
      - .address_space:  global
        .offset:         24
        .size:           8
        .value_kind:     global_buffer
      - .offset:         32
        .size:           4
        .value_kind:     by_value
      - .offset:         36
        .size:           4
        .value_kind:     by_value
      - .offset:         40
        .size:           4
        .value_kind:     by_value
      - .offset:         44
        .size:           4
        .value_kind:     by_value
      - .offset:         48
        .size:           4
        .value_kind:     hidden_block_count_x
      - .offset:         52
        .size:           4
        .value_kind:     hidden_block_count_y
      - .offset:         56
        .size:           4
        .value_kind:     hidden_block_count_z
      - .offset:         60
        .size:           2
        .value_kind:     hidden_group_size_x
      - .offset:         62
        .size:           2
        .value_kind:     hidden_group_size_y
      - .offset:         64
        .size:           2
        .value_kind:     hidden_group_size_z
      - .offset:         66
        .size:           2
        .value_kind:     hidden_remainder_x
      - .offset:         68
        .size:           2
        .value_kind:     hidden_remainder_y
      - .offset:         70
        .size:           2
        .value_kind:     hidden_remainder_z
      - .offset:         88
        .size:           8
        .value_kind:     hidden_global_offset_x
      - .offset:         96
        .size:           8
        .value_kind:     hidden_global_offset_y
      - .offset:         104
        .size:           8
        .value_kind:     hidden_global_offset_z
      - .offset:         112
        .size:           2
        .value_kind:     hidden_grid_dims
    .group_segment_fixed_size: 0
    .kernarg_segment_align: 8
    .kernarg_segment_size: 304
    .language:       OpenCL C
    .language_version:
      - 2
      - 0
    .max_flat_workgroup_size: 1024
    .name:           _ZL9moe_vec_qIN3c104HalfELi256ELi8E11block_iq3_sLi1EXadL_ZL18vec_dot_iq3_s_q8_1PKvPK10block_q8_1RKiEEEvS4_S4_PT_PS8_iiii
    .private_segment_fixed_size: 0
    .sgpr_count:     24
    .sgpr_spill_count: 0
    .symbol:         _ZL9moe_vec_qIN3c104HalfELi256ELi8E11block_iq3_sLi1EXadL_ZL18vec_dot_iq3_s_q8_1PKvPK10block_q8_1RKiEEEvS4_S4_PT_PS8_iiii.kd
    .uniform_work_group_size: 1
    .uses_dynamic_stack: false
    .vgpr_count:     46
    .vgpr_spill_count: 0
    .wavefront_size: 64
  - .agpr_count:     0
    .args:
      - .actual_access:  read_only
        .address_space:  global
        .offset:         0
        .size:           8
        .value_kind:     global_buffer
      - .actual_access:  read_only
        .address_space:  global
        .offset:         8
        .size:           8
        .value_kind:     global_buffer
      - .actual_access:  write_only
        .address_space:  global
        .offset:         16
        .size:           8
        .value_kind:     global_buffer
      - .address_space:  global
        .offset:         24
        .size:           8
        .value_kind:     global_buffer
      - .offset:         32
        .size:           4
        .value_kind:     by_value
      - .offset:         36
        .size:           4
        .value_kind:     by_value
      - .offset:         40
        .size:           4
        .value_kind:     by_value
      - .offset:         44
        .size:           4
        .value_kind:     by_value
      - .offset:         48
        .size:           4
        .value_kind:     hidden_block_count_x
      - .offset:         52
        .size:           4
        .value_kind:     hidden_block_count_y
      - .offset:         56
        .size:           4
        .value_kind:     hidden_block_count_z
      - .offset:         60
        .size:           2
        .value_kind:     hidden_group_size_x
      - .offset:         62
        .size:           2
        .value_kind:     hidden_group_size_y
      - .offset:         64
        .size:           2
        .value_kind:     hidden_group_size_z
      - .offset:         66
        .size:           2
        .value_kind:     hidden_remainder_x
      - .offset:         68
        .size:           2
        .value_kind:     hidden_remainder_y
      - .offset:         70
        .size:           2
        .value_kind:     hidden_remainder_z
      - .offset:         88
        .size:           8
        .value_kind:     hidden_global_offset_x
      - .offset:         96
        .size:           8
        .value_kind:     hidden_global_offset_y
      - .offset:         104
        .size:           8
        .value_kind:     hidden_global_offset_z
      - .offset:         112
        .size:           2
        .value_kind:     hidden_grid_dims
    .group_segment_fixed_size: 0
    .kernarg_segment_align: 8
    .kernarg_segment_size: 304
    .language:       OpenCL C
    .language_version:
      - 2
      - 0
    .max_flat_workgroup_size: 1024
    .name:           _ZL9moe_vec_qIN3c104HalfELi256ELi8E11block_iq2_sLi1EXadL_ZL18vec_dot_iq2_s_q8_1PKvPK10block_q8_1RKiEEEvS4_S4_PT_PS8_iiii
    .private_segment_fixed_size: 0
    .sgpr_count:     24
    .sgpr_spill_count: 0
    .symbol:         _ZL9moe_vec_qIN3c104HalfELi256ELi8E11block_iq2_sLi1EXadL_ZL18vec_dot_iq2_s_q8_1PKvPK10block_q8_1RKiEEEvS4_S4_PT_PS8_iiii.kd
    .uniform_work_group_size: 1
    .uses_dynamic_stack: false
    .vgpr_count:     63
    .vgpr_spill_count: 0
    .wavefront_size: 64
  - .agpr_count:     0
    .args:
      - .actual_access:  read_only
        .address_space:  global
        .offset:         0
        .size:           8
        .value_kind:     global_buffer
      - .actual_access:  read_only
        .address_space:  global
        .offset:         8
        .size:           8
        .value_kind:     global_buffer
      - .actual_access:  write_only
        .address_space:  global
        .offset:         16
        .size:           8
        .value_kind:     global_buffer
      - .address_space:  global
        .offset:         24
        .size:           8
        .value_kind:     global_buffer
      - .offset:         32
        .size:           4
        .value_kind:     by_value
      - .offset:         36
        .size:           4
        .value_kind:     by_value
      - .offset:         40
        .size:           4
        .value_kind:     by_value
      - .offset:         44
        .size:           4
        .value_kind:     by_value
      - .offset:         48
        .size:           4
        .value_kind:     hidden_block_count_x
      - .offset:         52
        .size:           4
        .value_kind:     hidden_block_count_y
      - .offset:         56
        .size:           4
        .value_kind:     hidden_block_count_z
      - .offset:         60
        .size:           2
        .value_kind:     hidden_group_size_x
      - .offset:         62
        .size:           2
        .value_kind:     hidden_group_size_y
      - .offset:         64
        .size:           2
        .value_kind:     hidden_group_size_z
      - .offset:         66
        .size:           2
        .value_kind:     hidden_remainder_x
      - .offset:         68
        .size:           2
        .value_kind:     hidden_remainder_y
      - .offset:         70
        .size:           2
        .value_kind:     hidden_remainder_z
      - .offset:         88
        .size:           8
        .value_kind:     hidden_global_offset_x
      - .offset:         96
        .size:           8
        .value_kind:     hidden_global_offset_y
      - .offset:         104
        .size:           8
        .value_kind:     hidden_global_offset_z
      - .offset:         112
        .size:           2
        .value_kind:     hidden_grid_dims
    .group_segment_fixed_size: 0
    .kernarg_segment_align: 8
    .kernarg_segment_size: 304
    .language:       OpenCL C
    .language_version:
      - 2
      - 0
    .max_flat_workgroup_size: 1024
    .name:           _ZL9moe_vec_qIN3c104HalfELi256ELi8E12block_iq4_xsLi1EXadL_ZL19vec_dot_iq4_xs_q8_1PKvPK10block_q8_1RKiEEEvS4_S4_PT_PS8_iiii
    .private_segment_fixed_size: 0
    .sgpr_count:     24
    .sgpr_spill_count: 0
    .symbol:         _ZL9moe_vec_qIN3c104HalfELi256ELi8E12block_iq4_xsLi1EXadL_ZL19vec_dot_iq4_xs_q8_1PKvPK10block_q8_1RKiEEEvS4_S4_PT_PS8_iiii.kd
    .uniform_work_group_size: 1
    .uses_dynamic_stack: false
    .vgpr_count:     64
    .vgpr_spill_count: 0
    .wavefront_size: 64
  - .agpr_count:     0
    .args:
      - .actual_access:  read_only
        .address_space:  global
        .offset:         0
        .size:           8
        .value_kind:     global_buffer
      - .actual_access:  read_only
        .address_space:  global
        .offset:         8
        .size:           8
        .value_kind:     global_buffer
      - .actual_access:  write_only
        .address_space:  global
        .offset:         16
        .size:           8
        .value_kind:     global_buffer
      - .address_space:  global
        .offset:         24
        .size:           8
        .value_kind:     global_buffer
      - .offset:         32
        .size:           4
        .value_kind:     by_value
      - .offset:         36
        .size:           4
        .value_kind:     by_value
      - .offset:         40
        .size:           4
        .value_kind:     by_value
      - .offset:         44
        .size:           4
        .value_kind:     by_value
      - .offset:         48
        .size:           4
        .value_kind:     hidden_block_count_x
      - .offset:         52
        .size:           4
        .value_kind:     hidden_block_count_y
      - .offset:         56
        .size:           4
        .value_kind:     hidden_block_count_z
      - .offset:         60
        .size:           2
        .value_kind:     hidden_group_size_x
      - .offset:         62
        .size:           2
        .value_kind:     hidden_group_size_y
      - .offset:         64
        .size:           2
        .value_kind:     hidden_group_size_z
      - .offset:         66
        .size:           2
        .value_kind:     hidden_remainder_x
      - .offset:         68
        .size:           2
        .value_kind:     hidden_remainder_y
      - .offset:         70
        .size:           2
        .value_kind:     hidden_remainder_z
      - .offset:         88
        .size:           8
        .value_kind:     hidden_global_offset_x
      - .offset:         96
        .size:           8
        .value_kind:     hidden_global_offset_y
      - .offset:         104
        .size:           8
        .value_kind:     hidden_global_offset_z
      - .offset:         112
        .size:           2
        .value_kind:     hidden_grid_dims
    .group_segment_fixed_size: 0
    .kernarg_segment_align: 8
    .kernarg_segment_size: 304
    .language:       OpenCL C
    .language_version:
      - 2
      - 0
    .max_flat_workgroup_size: 1024
    .name:           _ZL9moe_vec_qIN3c104HalfELi256ELi8E11block_iq1_mLi1EXadL_ZL18vec_dot_iq1_m_q8_1PKvPK10block_q8_1RKiEEEvS4_S4_PT_PS8_iiii
    .private_segment_fixed_size: 0
    .sgpr_count:     26
    .sgpr_spill_count: 0
    .symbol:         _ZL9moe_vec_qIN3c104HalfELi256ELi8E11block_iq1_mLi1EXadL_ZL18vec_dot_iq1_m_q8_1PKvPK10block_q8_1RKiEEEvS4_S4_PT_PS8_iiii.kd
    .uniform_work_group_size: 1
    .uses_dynamic_stack: false
    .vgpr_count:     44
    .vgpr_spill_count: 0
    .wavefront_size: 64
  - .agpr_count:     0
    .args:
      - .actual_access:  read_only
        .address_space:  global
        .offset:         0
        .size:           8
        .value_kind:     global_buffer
      - .actual_access:  read_only
        .address_space:  global
        .offset:         8
        .size:           8
        .value_kind:     global_buffer
      - .actual_access:  write_only
        .address_space:  global
        .offset:         16
        .size:           8
        .value_kind:     global_buffer
      - .address_space:  global
        .offset:         24
        .size:           8
        .value_kind:     global_buffer
      - .offset:         32
        .size:           4
        .value_kind:     by_value
      - .offset:         36
        .size:           4
        .value_kind:     by_value
      - .offset:         40
        .size:           4
        .value_kind:     by_value
      - .offset:         44
        .size:           4
        .value_kind:     by_value
      - .offset:         48
        .size:           4
        .value_kind:     hidden_block_count_x
      - .offset:         52
        .size:           4
        .value_kind:     hidden_block_count_y
      - .offset:         56
        .size:           4
        .value_kind:     hidden_block_count_z
      - .offset:         60
        .size:           2
        .value_kind:     hidden_group_size_x
      - .offset:         62
        .size:           2
        .value_kind:     hidden_group_size_y
      - .offset:         64
        .size:           2
        .value_kind:     hidden_group_size_z
      - .offset:         66
        .size:           2
        .value_kind:     hidden_remainder_x
      - .offset:         68
        .size:           2
        .value_kind:     hidden_remainder_y
      - .offset:         70
        .size:           2
        .value_kind:     hidden_remainder_z
      - .offset:         88
        .size:           8
        .value_kind:     hidden_global_offset_x
      - .offset:         96
        .size:           8
        .value_kind:     hidden_global_offset_y
      - .offset:         104
        .size:           8
        .value_kind:     hidden_global_offset_z
      - .offset:         112
        .size:           2
        .value_kind:     hidden_grid_dims
    .group_segment_fixed_size: 0
    .kernarg_segment_align: 8
    .kernarg_segment_size: 304
    .language:       OpenCL C
    .language_version:
      - 2
      - 0
    .max_flat_workgroup_size: 1024
    .name:           _ZL9moe_vec_qIN3c108BFloat16ELi32ELi4E10block_q4_0Li2EXadL_ZL17vec_dot_q4_0_q8_1PKvPK10block_q8_1RKiEEEvS4_S4_PT_PS8_iiii
    .private_segment_fixed_size: 0
    .sgpr_count:     24
    .sgpr_spill_count: 0
    .symbol:         _ZL9moe_vec_qIN3c108BFloat16ELi32ELi4E10block_q4_0Li2EXadL_ZL17vec_dot_q4_0_q8_1PKvPK10block_q8_1RKiEEEvS4_S4_PT_PS8_iiii.kd
    .uniform_work_group_size: 1
    .uses_dynamic_stack: false
    .vgpr_count:     23
    .vgpr_spill_count: 0
    .wavefront_size: 64
  - .agpr_count:     0
    .args:
      - .actual_access:  read_only
        .address_space:  global
        .offset:         0
        .size:           8
        .value_kind:     global_buffer
      - .actual_access:  read_only
        .address_space:  global
        .offset:         8
        .size:           8
        .value_kind:     global_buffer
      - .actual_access:  write_only
        .address_space:  global
        .offset:         16
        .size:           8
        .value_kind:     global_buffer
      - .address_space:  global
        .offset:         24
        .size:           8
        .value_kind:     global_buffer
      - .offset:         32
        .size:           4
        .value_kind:     by_value
      - .offset:         36
        .size:           4
        .value_kind:     by_value
      - .offset:         40
        .size:           4
        .value_kind:     by_value
      - .offset:         44
        .size:           4
        .value_kind:     by_value
      - .offset:         48
        .size:           4
        .value_kind:     hidden_block_count_x
      - .offset:         52
        .size:           4
        .value_kind:     hidden_block_count_y
      - .offset:         56
        .size:           4
        .value_kind:     hidden_block_count_z
      - .offset:         60
        .size:           2
        .value_kind:     hidden_group_size_x
      - .offset:         62
        .size:           2
        .value_kind:     hidden_group_size_y
      - .offset:         64
        .size:           2
        .value_kind:     hidden_group_size_z
      - .offset:         66
        .size:           2
        .value_kind:     hidden_remainder_x
      - .offset:         68
        .size:           2
        .value_kind:     hidden_remainder_y
      - .offset:         70
        .size:           2
        .value_kind:     hidden_remainder_z
      - .offset:         88
        .size:           8
        .value_kind:     hidden_global_offset_x
      - .offset:         96
        .size:           8
        .value_kind:     hidden_global_offset_y
      - .offset:         104
        .size:           8
        .value_kind:     hidden_global_offset_z
      - .offset:         112
        .size:           2
        .value_kind:     hidden_grid_dims
    .group_segment_fixed_size: 0
    .kernarg_segment_align: 8
    .kernarg_segment_size: 304
    .language:       OpenCL C
    .language_version:
      - 2
      - 0
    .max_flat_workgroup_size: 1024
    .name:           _ZL9moe_vec_qIN3c108BFloat16ELi32ELi4E10block_q4_1Li2EXadL_ZL17vec_dot_q4_1_q8_1PKvPK10block_q8_1RKiEEEvS4_S4_PT_PS8_iiii
    .private_segment_fixed_size: 0
    .sgpr_count:     24
    .sgpr_spill_count: 0
    .symbol:         _ZL9moe_vec_qIN3c108BFloat16ELi32ELi4E10block_q4_1Li2EXadL_ZL17vec_dot_q4_1_q8_1PKvPK10block_q8_1RKiEEEvS4_S4_PT_PS8_iiii.kd
    .uniform_work_group_size: 1
    .uses_dynamic_stack: false
    .vgpr_count:     20
    .vgpr_spill_count: 0
    .wavefront_size: 64
  - .agpr_count:     0
    .args:
      - .actual_access:  read_only
        .address_space:  global
        .offset:         0
        .size:           8
        .value_kind:     global_buffer
      - .actual_access:  read_only
        .address_space:  global
        .offset:         8
        .size:           8
        .value_kind:     global_buffer
      - .actual_access:  write_only
        .address_space:  global
        .offset:         16
        .size:           8
        .value_kind:     global_buffer
      - .address_space:  global
        .offset:         24
        .size:           8
        .value_kind:     global_buffer
      - .offset:         32
        .size:           4
        .value_kind:     by_value
      - .offset:         36
        .size:           4
        .value_kind:     by_value
      - .offset:         40
        .size:           4
        .value_kind:     by_value
      - .offset:         44
        .size:           4
        .value_kind:     by_value
      - .offset:         48
        .size:           4
        .value_kind:     hidden_block_count_x
      - .offset:         52
        .size:           4
        .value_kind:     hidden_block_count_y
      - .offset:         56
        .size:           4
        .value_kind:     hidden_block_count_z
      - .offset:         60
        .size:           2
        .value_kind:     hidden_group_size_x
      - .offset:         62
        .size:           2
        .value_kind:     hidden_group_size_y
      - .offset:         64
        .size:           2
        .value_kind:     hidden_group_size_z
      - .offset:         66
        .size:           2
        .value_kind:     hidden_remainder_x
      - .offset:         68
        .size:           2
        .value_kind:     hidden_remainder_y
      - .offset:         70
        .size:           2
        .value_kind:     hidden_remainder_z
      - .offset:         88
        .size:           8
        .value_kind:     hidden_global_offset_x
      - .offset:         96
        .size:           8
        .value_kind:     hidden_global_offset_y
      - .offset:         104
        .size:           8
        .value_kind:     hidden_global_offset_z
      - .offset:         112
        .size:           2
        .value_kind:     hidden_grid_dims
    .group_segment_fixed_size: 0
    .kernarg_segment_align: 8
    .kernarg_segment_size: 304
    .language:       OpenCL C
    .language_version:
      - 2
      - 0
    .max_flat_workgroup_size: 1024
    .name:           _ZL9moe_vec_qIN3c108BFloat16ELi32ELi4E10block_q5_0Li2EXadL_ZL17vec_dot_q5_0_q8_1PKvPK10block_q8_1RKiEEEvS4_S4_PT_PS8_iiii
    .private_segment_fixed_size: 0
    .sgpr_count:     24
    .sgpr_spill_count: 0
    .symbol:         _ZL9moe_vec_qIN3c108BFloat16ELi32ELi4E10block_q5_0Li2EXadL_ZL17vec_dot_q5_0_q8_1PKvPK10block_q8_1RKiEEEvS4_S4_PT_PS8_iiii.kd
    .uniform_work_group_size: 1
    .uses_dynamic_stack: false
    .vgpr_count:     36
    .vgpr_spill_count: 0
    .wavefront_size: 64
  - .agpr_count:     0
    .args:
      - .actual_access:  read_only
        .address_space:  global
        .offset:         0
        .size:           8
        .value_kind:     global_buffer
      - .actual_access:  read_only
        .address_space:  global
        .offset:         8
        .size:           8
        .value_kind:     global_buffer
      - .actual_access:  write_only
        .address_space:  global
        .offset:         16
        .size:           8
        .value_kind:     global_buffer
      - .address_space:  global
        .offset:         24
        .size:           8
        .value_kind:     global_buffer
      - .offset:         32
        .size:           4
        .value_kind:     by_value
      - .offset:         36
        .size:           4
        .value_kind:     by_value
      - .offset:         40
        .size:           4
        .value_kind:     by_value
      - .offset:         44
        .size:           4
        .value_kind:     by_value
      - .offset:         48
        .size:           4
        .value_kind:     hidden_block_count_x
      - .offset:         52
        .size:           4
        .value_kind:     hidden_block_count_y
      - .offset:         56
        .size:           4
        .value_kind:     hidden_block_count_z
      - .offset:         60
        .size:           2
        .value_kind:     hidden_group_size_x
      - .offset:         62
        .size:           2
        .value_kind:     hidden_group_size_y
      - .offset:         64
        .size:           2
        .value_kind:     hidden_group_size_z
      - .offset:         66
        .size:           2
        .value_kind:     hidden_remainder_x
      - .offset:         68
        .size:           2
        .value_kind:     hidden_remainder_y
      - .offset:         70
        .size:           2
        .value_kind:     hidden_remainder_z
      - .offset:         88
        .size:           8
        .value_kind:     hidden_global_offset_x
      - .offset:         96
        .size:           8
        .value_kind:     hidden_global_offset_y
      - .offset:         104
        .size:           8
        .value_kind:     hidden_global_offset_z
      - .offset:         112
        .size:           2
        .value_kind:     hidden_grid_dims
    .group_segment_fixed_size: 0
    .kernarg_segment_align: 8
    .kernarg_segment_size: 304
    .language:       OpenCL C
    .language_version:
      - 2
      - 0
    .max_flat_workgroup_size: 1024
    .name:           _ZL9moe_vec_qIN3c108BFloat16ELi32ELi4E10block_q5_1Li2EXadL_ZL17vec_dot_q5_1_q8_1PKvPK10block_q8_1RKiEEEvS4_S4_PT_PS8_iiii
    .private_segment_fixed_size: 0
    .sgpr_count:     24
    .sgpr_spill_count: 0
    .symbol:         _ZL9moe_vec_qIN3c108BFloat16ELi32ELi4E10block_q5_1Li2EXadL_ZL17vec_dot_q5_1_q8_1PKvPK10block_q8_1RKiEEEvS4_S4_PT_PS8_iiii.kd
    .uniform_work_group_size: 1
    .uses_dynamic_stack: false
    .vgpr_count:     34
    .vgpr_spill_count: 0
    .wavefront_size: 64
  - .agpr_count:     0
    .args:
      - .actual_access:  read_only
        .address_space:  global
        .offset:         0
        .size:           8
        .value_kind:     global_buffer
      - .actual_access:  read_only
        .address_space:  global
        .offset:         8
        .size:           8
        .value_kind:     global_buffer
      - .actual_access:  write_only
        .address_space:  global
        .offset:         16
        .size:           8
        .value_kind:     global_buffer
      - .address_space:  global
        .offset:         24
        .size:           8
        .value_kind:     global_buffer
      - .offset:         32
        .size:           4
        .value_kind:     by_value
      - .offset:         36
        .size:           4
        .value_kind:     by_value
      - .offset:         40
        .size:           4
        .value_kind:     by_value
      - .offset:         44
        .size:           4
        .value_kind:     by_value
      - .offset:         48
        .size:           4
        .value_kind:     hidden_block_count_x
      - .offset:         52
        .size:           4
        .value_kind:     hidden_block_count_y
      - .offset:         56
        .size:           4
        .value_kind:     hidden_block_count_z
      - .offset:         60
        .size:           2
        .value_kind:     hidden_group_size_x
      - .offset:         62
        .size:           2
        .value_kind:     hidden_group_size_y
      - .offset:         64
        .size:           2
        .value_kind:     hidden_group_size_z
      - .offset:         66
        .size:           2
        .value_kind:     hidden_remainder_x
      - .offset:         68
        .size:           2
        .value_kind:     hidden_remainder_y
      - .offset:         70
        .size:           2
        .value_kind:     hidden_remainder_z
      - .offset:         88
        .size:           8
        .value_kind:     hidden_global_offset_x
      - .offset:         96
        .size:           8
        .value_kind:     hidden_global_offset_y
      - .offset:         104
        .size:           8
        .value_kind:     hidden_global_offset_z
      - .offset:         112
        .size:           2
        .value_kind:     hidden_grid_dims
    .group_segment_fixed_size: 0
    .kernarg_segment_align: 8
    .kernarg_segment_size: 304
    .language:       OpenCL C
    .language_version:
      - 2
      - 0
    .max_flat_workgroup_size: 1024
    .name:           _ZL9moe_vec_qIN3c108BFloat16ELi32ELi8E10block_q8_0Li2EXadL_ZL17vec_dot_q8_0_q8_1PKvPK10block_q8_1RKiEEEvS4_S4_PT_PS8_iiii
    .private_segment_fixed_size: 0
    .sgpr_count:     24
    .sgpr_spill_count: 0
    .symbol:         _ZL9moe_vec_qIN3c108BFloat16ELi32ELi8E10block_q8_0Li2EXadL_ZL17vec_dot_q8_0_q8_1PKvPK10block_q8_1RKiEEEvS4_S4_PT_PS8_iiii.kd
    .uniform_work_group_size: 1
    .uses_dynamic_stack: false
    .vgpr_count:     18
    .vgpr_spill_count: 0
    .wavefront_size: 64
  - .agpr_count:     0
    .args:
      - .actual_access:  read_only
        .address_space:  global
        .offset:         0
        .size:           8
        .value_kind:     global_buffer
      - .actual_access:  read_only
        .address_space:  global
        .offset:         8
        .size:           8
        .value_kind:     global_buffer
      - .actual_access:  write_only
        .address_space:  global
        .offset:         16
        .size:           8
        .value_kind:     global_buffer
      - .address_space:  global
        .offset:         24
        .size:           8
        .value_kind:     global_buffer
      - .offset:         32
        .size:           4
        .value_kind:     by_value
      - .offset:         36
        .size:           4
        .value_kind:     by_value
      - .offset:         40
        .size:           4
        .value_kind:     by_value
      - .offset:         44
        .size:           4
        .value_kind:     by_value
      - .offset:         48
        .size:           4
        .value_kind:     hidden_block_count_x
      - .offset:         52
        .size:           4
        .value_kind:     hidden_block_count_y
      - .offset:         56
        .size:           4
        .value_kind:     hidden_block_count_z
      - .offset:         60
        .size:           2
        .value_kind:     hidden_group_size_x
      - .offset:         62
        .size:           2
        .value_kind:     hidden_group_size_y
      - .offset:         64
        .size:           2
        .value_kind:     hidden_group_size_z
      - .offset:         66
        .size:           2
        .value_kind:     hidden_remainder_x
      - .offset:         68
        .size:           2
        .value_kind:     hidden_remainder_y
      - .offset:         70
        .size:           2
        .value_kind:     hidden_remainder_z
      - .offset:         88
        .size:           8
        .value_kind:     hidden_global_offset_x
      - .offset:         96
        .size:           8
        .value_kind:     hidden_global_offset_y
      - .offset:         104
        .size:           8
        .value_kind:     hidden_global_offset_z
      - .offset:         112
        .size:           2
        .value_kind:     hidden_grid_dims
    .group_segment_fixed_size: 0
    .kernarg_segment_align: 8
    .kernarg_segment_size: 304
    .language:       OpenCL C
    .language_version:
      - 2
      - 0
    .max_flat_workgroup_size: 1024
    .name:           _ZL9moe_vec_qIN3c108BFloat16ELi256ELi16E10block_q2_KLi1EXadL_ZL17vec_dot_q2_K_q8_1PKvPK10block_q8_1RKiEEEvS4_S4_PT_PS8_iiii
    .private_segment_fixed_size: 0
    .sgpr_count:     24
    .sgpr_spill_count: 0
    .symbol:         _ZL9moe_vec_qIN3c108BFloat16ELi256ELi16E10block_q2_KLi1EXadL_ZL17vec_dot_q2_K_q8_1PKvPK10block_q8_1RKiEEEvS4_S4_PT_PS8_iiii.kd
    .uniform_work_group_size: 1
    .uses_dynamic_stack: false
    .vgpr_count:     46
    .vgpr_spill_count: 0
    .wavefront_size: 64
  - .agpr_count:     0
    .args:
      - .actual_access:  read_only
        .address_space:  global
        .offset:         0
        .size:           8
        .value_kind:     global_buffer
      - .actual_access:  read_only
        .address_space:  global
        .offset:         8
        .size:           8
        .value_kind:     global_buffer
      - .actual_access:  write_only
        .address_space:  global
        .offset:         16
        .size:           8
        .value_kind:     global_buffer
      - .address_space:  global
        .offset:         24
        .size:           8
        .value_kind:     global_buffer
      - .offset:         32
        .size:           4
        .value_kind:     by_value
      - .offset:         36
        .size:           4
        .value_kind:     by_value
      - .offset:         40
        .size:           4
        .value_kind:     by_value
      - .offset:         44
        .size:           4
        .value_kind:     by_value
      - .offset:         48
        .size:           4
        .value_kind:     hidden_block_count_x
      - .offset:         52
        .size:           4
        .value_kind:     hidden_block_count_y
      - .offset:         56
        .size:           4
        .value_kind:     hidden_block_count_z
      - .offset:         60
        .size:           2
        .value_kind:     hidden_group_size_x
      - .offset:         62
        .size:           2
        .value_kind:     hidden_group_size_y
      - .offset:         64
        .size:           2
        .value_kind:     hidden_group_size_z
      - .offset:         66
        .size:           2
        .value_kind:     hidden_remainder_x
      - .offset:         68
        .size:           2
        .value_kind:     hidden_remainder_y
      - .offset:         70
        .size:           2
        .value_kind:     hidden_remainder_z
      - .offset:         88
        .size:           8
        .value_kind:     hidden_global_offset_x
      - .offset:         96
        .size:           8
        .value_kind:     hidden_global_offset_y
      - .offset:         104
        .size:           8
        .value_kind:     hidden_global_offset_z
      - .offset:         112
        .size:           2
        .value_kind:     hidden_grid_dims
    .group_segment_fixed_size: 0
    .kernarg_segment_align: 8
    .kernarg_segment_size: 304
    .language:       OpenCL C
    .language_version:
      - 2
      - 0
    .max_flat_workgroup_size: 1024
    .name:           _ZL9moe_vec_qIN3c108BFloat16ELi256ELi16E10block_q3_KLi1EXadL_ZL17vec_dot_q3_K_q8_1PKvPK10block_q8_1RKiEEEvS4_S4_PT_PS8_iiii
    .private_segment_fixed_size: 0
    .sgpr_count:     24
    .sgpr_spill_count: 0
    .symbol:         _ZL9moe_vec_qIN3c108BFloat16ELi256ELi16E10block_q3_KLi1EXadL_ZL17vec_dot_q3_K_q8_1PKvPK10block_q8_1RKiEEEvS4_S4_PT_PS8_iiii.kd
    .uniform_work_group_size: 1
    .uses_dynamic_stack: false
    .vgpr_count:     64
    .vgpr_spill_count: 0
    .wavefront_size: 64
  - .agpr_count:     0
    .args:
      - .actual_access:  read_only
        .address_space:  global
        .offset:         0
        .size:           8
        .value_kind:     global_buffer
      - .actual_access:  read_only
        .address_space:  global
        .offset:         8
        .size:           8
        .value_kind:     global_buffer
      - .actual_access:  write_only
        .address_space:  global
        .offset:         16
        .size:           8
        .value_kind:     global_buffer
      - .address_space:  global
        .offset:         24
        .size:           8
        .value_kind:     global_buffer
      - .offset:         32
        .size:           4
        .value_kind:     by_value
      - .offset:         36
        .size:           4
        .value_kind:     by_value
      - .offset:         40
        .size:           4
        .value_kind:     by_value
      - .offset:         44
        .size:           4
        .value_kind:     by_value
      - .offset:         48
        .size:           4
        .value_kind:     hidden_block_count_x
      - .offset:         52
        .size:           4
        .value_kind:     hidden_block_count_y
      - .offset:         56
        .size:           4
        .value_kind:     hidden_block_count_z
      - .offset:         60
        .size:           2
        .value_kind:     hidden_group_size_x
      - .offset:         62
        .size:           2
        .value_kind:     hidden_group_size_y
      - .offset:         64
        .size:           2
        .value_kind:     hidden_group_size_z
      - .offset:         66
        .size:           2
        .value_kind:     hidden_remainder_x
      - .offset:         68
        .size:           2
        .value_kind:     hidden_remainder_y
      - .offset:         70
        .size:           2
        .value_kind:     hidden_remainder_z
      - .offset:         88
        .size:           8
        .value_kind:     hidden_global_offset_x
      - .offset:         96
        .size:           8
        .value_kind:     hidden_global_offset_y
      - .offset:         104
        .size:           8
        .value_kind:     hidden_global_offset_z
      - .offset:         112
        .size:           2
        .value_kind:     hidden_grid_dims
    .group_segment_fixed_size: 0
    .kernarg_segment_align: 8
    .kernarg_segment_size: 304
    .language:       OpenCL C
    .language_version:
      - 2
      - 0
    .max_flat_workgroup_size: 1024
    .name:           _ZL9moe_vec_qIN3c108BFloat16ELi256ELi32E10block_q4_KLi2EXadL_ZL17vec_dot_q4_K_q8_1PKvPK10block_q8_1RKiEEEvS4_S4_PT_PS8_iiii
    .private_segment_fixed_size: 0
    .sgpr_count:     24
    .sgpr_spill_count: 0
    .symbol:         _ZL9moe_vec_qIN3c108BFloat16ELi256ELi32E10block_q4_KLi2EXadL_ZL17vec_dot_q4_K_q8_1PKvPK10block_q8_1RKiEEEvS4_S4_PT_PS8_iiii.kd
    .uniform_work_group_size: 1
    .uses_dynamic_stack: false
    .vgpr_count:     36
    .vgpr_spill_count: 0
    .wavefront_size: 64
  - .agpr_count:     0
    .args:
      - .actual_access:  read_only
        .address_space:  global
        .offset:         0
        .size:           8
        .value_kind:     global_buffer
      - .actual_access:  read_only
        .address_space:  global
        .offset:         8
        .size:           8
        .value_kind:     global_buffer
      - .actual_access:  write_only
        .address_space:  global
        .offset:         16
        .size:           8
        .value_kind:     global_buffer
      - .address_space:  global
        .offset:         24
        .size:           8
        .value_kind:     global_buffer
      - .offset:         32
        .size:           4
        .value_kind:     by_value
      - .offset:         36
        .size:           4
        .value_kind:     by_value
      - .offset:         40
        .size:           4
        .value_kind:     by_value
      - .offset:         44
        .size:           4
        .value_kind:     by_value
      - .offset:         48
        .size:           4
        .value_kind:     hidden_block_count_x
      - .offset:         52
        .size:           4
        .value_kind:     hidden_block_count_y
      - .offset:         56
        .size:           4
        .value_kind:     hidden_block_count_z
      - .offset:         60
        .size:           2
        .value_kind:     hidden_group_size_x
      - .offset:         62
        .size:           2
        .value_kind:     hidden_group_size_y
      - .offset:         64
        .size:           2
        .value_kind:     hidden_group_size_z
      - .offset:         66
        .size:           2
        .value_kind:     hidden_remainder_x
      - .offset:         68
        .size:           2
        .value_kind:     hidden_remainder_y
      - .offset:         70
        .size:           2
        .value_kind:     hidden_remainder_z
      - .offset:         88
        .size:           8
        .value_kind:     hidden_global_offset_x
      - .offset:         96
        .size:           8
        .value_kind:     hidden_global_offset_y
      - .offset:         104
        .size:           8
        .value_kind:     hidden_global_offset_z
      - .offset:         112
        .size:           2
        .value_kind:     hidden_grid_dims
    .group_segment_fixed_size: 0
    .kernarg_segment_align: 8
    .kernarg_segment_size: 304
    .language:       OpenCL C
    .language_version:
      - 2
      - 0
    .max_flat_workgroup_size: 1024
    .name:           _ZL9moe_vec_qIN3c108BFloat16ELi256ELi32E10block_q5_KLi2EXadL_ZL17vec_dot_q5_K_q8_1PKvPK10block_q8_1RKiEEEvS4_S4_PT_PS8_iiii
    .private_segment_fixed_size: 0
    .sgpr_count:     24
    .sgpr_spill_count: 0
    .symbol:         _ZL9moe_vec_qIN3c108BFloat16ELi256ELi32E10block_q5_KLi2EXadL_ZL17vec_dot_q5_K_q8_1PKvPK10block_q8_1RKiEEEvS4_S4_PT_PS8_iiii.kd
    .uniform_work_group_size: 1
    .uses_dynamic_stack: false
    .vgpr_count:     38
    .vgpr_spill_count: 0
    .wavefront_size: 64
  - .agpr_count:     0
    .args:
      - .actual_access:  read_only
        .address_space:  global
        .offset:         0
        .size:           8
        .value_kind:     global_buffer
      - .actual_access:  read_only
        .address_space:  global
        .offset:         8
        .size:           8
        .value_kind:     global_buffer
      - .actual_access:  write_only
        .address_space:  global
        .offset:         16
        .size:           8
        .value_kind:     global_buffer
      - .address_space:  global
        .offset:         24
        .size:           8
        .value_kind:     global_buffer
      - .offset:         32
        .size:           4
        .value_kind:     by_value
      - .offset:         36
        .size:           4
        .value_kind:     by_value
      - .offset:         40
        .size:           4
        .value_kind:     by_value
      - .offset:         44
        .size:           4
        .value_kind:     by_value
      - .offset:         48
        .size:           4
        .value_kind:     hidden_block_count_x
      - .offset:         52
        .size:           4
        .value_kind:     hidden_block_count_y
      - .offset:         56
        .size:           4
        .value_kind:     hidden_block_count_z
      - .offset:         60
        .size:           2
        .value_kind:     hidden_group_size_x
      - .offset:         62
        .size:           2
        .value_kind:     hidden_group_size_y
      - .offset:         64
        .size:           2
        .value_kind:     hidden_group_size_z
      - .offset:         66
        .size:           2
        .value_kind:     hidden_remainder_x
      - .offset:         68
        .size:           2
        .value_kind:     hidden_remainder_y
      - .offset:         70
        .size:           2
        .value_kind:     hidden_remainder_z
      - .offset:         88
        .size:           8
        .value_kind:     hidden_global_offset_x
      - .offset:         96
        .size:           8
        .value_kind:     hidden_global_offset_y
      - .offset:         104
        .size:           8
        .value_kind:     hidden_global_offset_z
      - .offset:         112
        .size:           2
        .value_kind:     hidden_grid_dims
    .group_segment_fixed_size: 0
    .kernarg_segment_align: 8
    .kernarg_segment_size: 304
    .language:       OpenCL C
    .language_version:
      - 2
      - 0
    .max_flat_workgroup_size: 1024
    .name:           _ZL9moe_vec_qIN3c108BFloat16ELi256ELi32E10block_q6_KLi1EXadL_ZL17vec_dot_q6_K_q8_1PKvPK10block_q8_1RKiEEEvS4_S4_PT_PS8_iiii
    .private_segment_fixed_size: 0
    .sgpr_count:     24
    .sgpr_spill_count: 0
    .symbol:         _ZL9moe_vec_qIN3c108BFloat16ELi256ELi32E10block_q6_KLi1EXadL_ZL17vec_dot_q6_K_q8_1PKvPK10block_q8_1RKiEEEvS4_S4_PT_PS8_iiii.kd
    .uniform_work_group_size: 1
    .uses_dynamic_stack: false
    .vgpr_count:     33
    .vgpr_spill_count: 0
    .wavefront_size: 64
  - .agpr_count:     0
    .args:
      - .actual_access:  read_only
        .address_space:  global
        .offset:         0
        .size:           8
        .value_kind:     global_buffer
      - .actual_access:  read_only
        .address_space:  global
        .offset:         8
        .size:           8
        .value_kind:     global_buffer
      - .actual_access:  write_only
        .address_space:  global
        .offset:         16
        .size:           8
        .value_kind:     global_buffer
      - .address_space:  global
        .offset:         24
        .size:           8
        .value_kind:     global_buffer
      - .offset:         32
        .size:           4
        .value_kind:     by_value
      - .offset:         36
        .size:           4
        .value_kind:     by_value
      - .offset:         40
        .size:           4
        .value_kind:     by_value
      - .offset:         44
        .size:           4
        .value_kind:     by_value
      - .offset:         48
        .size:           4
        .value_kind:     hidden_block_count_x
      - .offset:         52
        .size:           4
        .value_kind:     hidden_block_count_y
      - .offset:         56
        .size:           4
        .value_kind:     hidden_block_count_z
      - .offset:         60
        .size:           2
        .value_kind:     hidden_group_size_x
      - .offset:         62
        .size:           2
        .value_kind:     hidden_group_size_y
      - .offset:         64
        .size:           2
        .value_kind:     hidden_group_size_z
      - .offset:         66
        .size:           2
        .value_kind:     hidden_remainder_x
      - .offset:         68
        .size:           2
        .value_kind:     hidden_remainder_y
      - .offset:         70
        .size:           2
        .value_kind:     hidden_remainder_z
      - .offset:         88
        .size:           8
        .value_kind:     hidden_global_offset_x
      - .offset:         96
        .size:           8
        .value_kind:     hidden_global_offset_y
      - .offset:         104
        .size:           8
        .value_kind:     hidden_global_offset_z
      - .offset:         112
        .size:           2
        .value_kind:     hidden_grid_dims
    .group_segment_fixed_size: 0
    .kernarg_segment_align: 8
    .kernarg_segment_size: 304
    .language:       OpenCL C
    .language_version:
      - 2
      - 0
    .max_flat_workgroup_size: 1024
    .name:           _ZL9moe_vec_qIN3c108BFloat16ELi256ELi8E13block_iq2_xxsLi1EXadL_ZL20vec_dot_iq2_xxs_q8_1PKvPK10block_q8_1RKiEEEvS4_S4_PT_PS8_iiii
    .private_segment_fixed_size: 0
    .sgpr_count:     65
    .sgpr_spill_count: 0
    .symbol:         _ZL9moe_vec_qIN3c108BFloat16ELi256ELi8E13block_iq2_xxsLi1EXadL_ZL20vec_dot_iq2_xxs_q8_1PKvPK10block_q8_1RKiEEEvS4_S4_PT_PS8_iiii.kd
    .uniform_work_group_size: 1
    .uses_dynamic_stack: false
    .vgpr_count:     55
    .vgpr_spill_count: 0
    .wavefront_size: 64
  - .agpr_count:     0
    .args:
      - .actual_access:  read_only
        .address_space:  global
        .offset:         0
        .size:           8
        .value_kind:     global_buffer
      - .actual_access:  read_only
        .address_space:  global
        .offset:         8
        .size:           8
        .value_kind:     global_buffer
      - .actual_access:  write_only
        .address_space:  global
        .offset:         16
        .size:           8
        .value_kind:     global_buffer
      - .address_space:  global
        .offset:         24
        .size:           8
        .value_kind:     global_buffer
      - .offset:         32
        .size:           4
        .value_kind:     by_value
      - .offset:         36
        .size:           4
        .value_kind:     by_value
      - .offset:         40
        .size:           4
        .value_kind:     by_value
      - .offset:         44
        .size:           4
        .value_kind:     by_value
      - .offset:         48
        .size:           4
        .value_kind:     hidden_block_count_x
      - .offset:         52
        .size:           4
        .value_kind:     hidden_block_count_y
      - .offset:         56
        .size:           4
        .value_kind:     hidden_block_count_z
      - .offset:         60
        .size:           2
        .value_kind:     hidden_group_size_x
      - .offset:         62
        .size:           2
        .value_kind:     hidden_group_size_y
      - .offset:         64
        .size:           2
        .value_kind:     hidden_group_size_z
      - .offset:         66
        .size:           2
        .value_kind:     hidden_remainder_x
      - .offset:         68
        .size:           2
        .value_kind:     hidden_remainder_y
      - .offset:         70
        .size:           2
        .value_kind:     hidden_remainder_z
      - .offset:         88
        .size:           8
        .value_kind:     hidden_global_offset_x
      - .offset:         96
        .size:           8
        .value_kind:     hidden_global_offset_y
      - .offset:         104
        .size:           8
        .value_kind:     hidden_global_offset_z
      - .offset:         112
        .size:           2
        .value_kind:     hidden_grid_dims
    .group_segment_fixed_size: 0
    .kernarg_segment_align: 8
    .kernarg_segment_size: 304
    .language:       OpenCL C
    .language_version:
      - 2
      - 0
    .max_flat_workgroup_size: 1024
    .name:           _ZL9moe_vec_qIN3c108BFloat16ELi256ELi8E12block_iq2_xsLi1EXadL_ZL19vec_dot_iq2_xs_q8_1PKvPK10block_q8_1RKiEEEvS4_S4_PT_PS8_iiii
    .private_segment_fixed_size: 0
    .sgpr_count:     79
    .sgpr_spill_count: 0
    .symbol:         _ZL9moe_vec_qIN3c108BFloat16ELi256ELi8E12block_iq2_xsLi1EXadL_ZL19vec_dot_iq2_xs_q8_1PKvPK10block_q8_1RKiEEEvS4_S4_PT_PS8_iiii.kd
    .uniform_work_group_size: 1
    .uses_dynamic_stack: false
    .vgpr_count:     81
    .vgpr_spill_count: 0
    .wavefront_size: 64
  - .agpr_count:     0
    .args:
      - .actual_access:  read_only
        .address_space:  global
        .offset:         0
        .size:           8
        .value_kind:     global_buffer
      - .actual_access:  read_only
        .address_space:  global
        .offset:         8
        .size:           8
        .value_kind:     global_buffer
      - .actual_access:  write_only
        .address_space:  global
        .offset:         16
        .size:           8
        .value_kind:     global_buffer
      - .address_space:  global
        .offset:         24
        .size:           8
        .value_kind:     global_buffer
      - .offset:         32
        .size:           4
        .value_kind:     by_value
      - .offset:         36
        .size:           4
        .value_kind:     by_value
      - .offset:         40
        .size:           4
        .value_kind:     by_value
      - .offset:         44
        .size:           4
        .value_kind:     by_value
      - .offset:         48
        .size:           4
        .value_kind:     hidden_block_count_x
      - .offset:         52
        .size:           4
        .value_kind:     hidden_block_count_y
      - .offset:         56
        .size:           4
        .value_kind:     hidden_block_count_z
      - .offset:         60
        .size:           2
        .value_kind:     hidden_group_size_x
      - .offset:         62
        .size:           2
        .value_kind:     hidden_group_size_y
      - .offset:         64
        .size:           2
        .value_kind:     hidden_group_size_z
      - .offset:         66
        .size:           2
        .value_kind:     hidden_remainder_x
      - .offset:         68
        .size:           2
        .value_kind:     hidden_remainder_y
      - .offset:         70
        .size:           2
        .value_kind:     hidden_remainder_z
      - .offset:         88
        .size:           8
        .value_kind:     hidden_global_offset_x
      - .offset:         96
        .size:           8
        .value_kind:     hidden_global_offset_y
      - .offset:         104
        .size:           8
        .value_kind:     hidden_global_offset_z
      - .offset:         112
        .size:           2
        .value_kind:     hidden_grid_dims
    .group_segment_fixed_size: 0
    .kernarg_segment_align: 8
    .kernarg_segment_size: 304
    .language:       OpenCL C
    .language_version:
      - 2
      - 0
    .max_flat_workgroup_size: 1024
    .name:           _ZL9moe_vec_qIN3c108BFloat16ELi256ELi8E13block_iq3_xxsLi1EXadL_ZL20vec_dot_iq3_xxs_q8_1PKvPK10block_q8_1RKiEEEvS4_S4_PT_PS8_iiii
    .private_segment_fixed_size: 0
    .sgpr_count:     24
    .sgpr_spill_count: 0
    .symbol:         _ZL9moe_vec_qIN3c108BFloat16ELi256ELi8E13block_iq3_xxsLi1EXadL_ZL20vec_dot_iq3_xxs_q8_1PKvPK10block_q8_1RKiEEEvS4_S4_PT_PS8_iiii.kd
    .uniform_work_group_size: 1
    .uses_dynamic_stack: false
    .vgpr_count:     59
    .vgpr_spill_count: 0
    .wavefront_size: 64
  - .agpr_count:     0
    .args:
      - .actual_access:  read_only
        .address_space:  global
        .offset:         0
        .size:           8
        .value_kind:     global_buffer
      - .actual_access:  read_only
        .address_space:  global
        .offset:         8
        .size:           8
        .value_kind:     global_buffer
      - .actual_access:  write_only
        .address_space:  global
        .offset:         16
        .size:           8
        .value_kind:     global_buffer
      - .address_space:  global
        .offset:         24
        .size:           8
        .value_kind:     global_buffer
      - .offset:         32
        .size:           4
        .value_kind:     by_value
      - .offset:         36
        .size:           4
        .value_kind:     by_value
      - .offset:         40
        .size:           4
        .value_kind:     by_value
      - .offset:         44
        .size:           4
        .value_kind:     by_value
      - .offset:         48
        .size:           4
        .value_kind:     hidden_block_count_x
      - .offset:         52
        .size:           4
        .value_kind:     hidden_block_count_y
      - .offset:         56
        .size:           4
        .value_kind:     hidden_block_count_z
      - .offset:         60
        .size:           2
        .value_kind:     hidden_group_size_x
      - .offset:         62
        .size:           2
        .value_kind:     hidden_group_size_y
      - .offset:         64
        .size:           2
        .value_kind:     hidden_group_size_z
      - .offset:         66
        .size:           2
        .value_kind:     hidden_remainder_x
      - .offset:         68
        .size:           2
        .value_kind:     hidden_remainder_y
      - .offset:         70
        .size:           2
        .value_kind:     hidden_remainder_z
      - .offset:         88
        .size:           8
        .value_kind:     hidden_global_offset_x
      - .offset:         96
        .size:           8
        .value_kind:     hidden_global_offset_y
      - .offset:         104
        .size:           8
        .value_kind:     hidden_global_offset_z
      - .offset:         112
        .size:           2
        .value_kind:     hidden_grid_dims
    .group_segment_fixed_size: 0
    .kernarg_segment_align: 8
    .kernarg_segment_size: 304
    .language:       OpenCL C
    .language_version:
      - 2
      - 0
    .max_flat_workgroup_size: 1024
    .name:           _ZL9moe_vec_qIN3c108BFloat16ELi256ELi8E11block_iq1_sLi1EXadL_ZL18vec_dot_iq1_s_q8_1PKvPK10block_q8_1RKiEEEvS4_S4_PT_PS8_iiii
    .private_segment_fixed_size: 0
    .sgpr_count:     24
    .sgpr_spill_count: 0
    .symbol:         _ZL9moe_vec_qIN3c108BFloat16ELi256ELi8E11block_iq1_sLi1EXadL_ZL18vec_dot_iq1_s_q8_1PKvPK10block_q8_1RKiEEEvS4_S4_PT_PS8_iiii.kd
    .uniform_work_group_size: 1
    .uses_dynamic_stack: false
    .vgpr_count:     32
    .vgpr_spill_count: 0
    .wavefront_size: 64
  - .agpr_count:     0
    .args:
      - .actual_access:  read_only
        .address_space:  global
        .offset:         0
        .size:           8
        .value_kind:     global_buffer
      - .actual_access:  read_only
        .address_space:  global
        .offset:         8
        .size:           8
        .value_kind:     global_buffer
      - .actual_access:  write_only
        .address_space:  global
        .offset:         16
        .size:           8
        .value_kind:     global_buffer
      - .address_space:  global
        .offset:         24
        .size:           8
        .value_kind:     global_buffer
      - .offset:         32
        .size:           4
        .value_kind:     by_value
      - .offset:         36
        .size:           4
        .value_kind:     by_value
      - .offset:         40
        .size:           4
        .value_kind:     by_value
      - .offset:         44
        .size:           4
        .value_kind:     by_value
      - .offset:         48
        .size:           4
        .value_kind:     hidden_block_count_x
      - .offset:         52
        .size:           4
        .value_kind:     hidden_block_count_y
      - .offset:         56
        .size:           4
        .value_kind:     hidden_block_count_z
      - .offset:         60
        .size:           2
        .value_kind:     hidden_group_size_x
      - .offset:         62
        .size:           2
        .value_kind:     hidden_group_size_y
      - .offset:         64
        .size:           2
        .value_kind:     hidden_group_size_z
      - .offset:         66
        .size:           2
        .value_kind:     hidden_remainder_x
      - .offset:         68
        .size:           2
        .value_kind:     hidden_remainder_y
      - .offset:         70
        .size:           2
        .value_kind:     hidden_remainder_z
      - .offset:         88
        .size:           8
        .value_kind:     hidden_global_offset_x
      - .offset:         96
        .size:           8
        .value_kind:     hidden_global_offset_y
      - .offset:         104
        .size:           8
        .value_kind:     hidden_global_offset_z
      - .offset:         112
        .size:           2
        .value_kind:     hidden_grid_dims
    .group_segment_fixed_size: 0
    .kernarg_segment_align: 8
    .kernarg_segment_size: 304
    .language:       OpenCL C
    .language_version:
      - 2
      - 0
    .max_flat_workgroup_size: 1024
    .name:           _ZL9moe_vec_qIN3c108BFloat16ELi32ELi4E12block_iq4_nlLi2EXadL_ZL19vec_dot_iq4_nl_q8_1PKvPK10block_q8_1RKiEEEvS4_S4_PT_PS8_iiii
    .private_segment_fixed_size: 0
    .sgpr_count:     24
    .sgpr_spill_count: 0
    .symbol:         _ZL9moe_vec_qIN3c108BFloat16ELi32ELi4E12block_iq4_nlLi2EXadL_ZL19vec_dot_iq4_nl_q8_1PKvPK10block_q8_1RKiEEEvS4_S4_PT_PS8_iiii.kd
    .uniform_work_group_size: 1
    .uses_dynamic_stack: false
    .vgpr_count:     45
    .vgpr_spill_count: 0
    .wavefront_size: 64
  - .agpr_count:     0
    .args:
      - .actual_access:  read_only
        .address_space:  global
        .offset:         0
        .size:           8
        .value_kind:     global_buffer
      - .actual_access:  read_only
        .address_space:  global
        .offset:         8
        .size:           8
        .value_kind:     global_buffer
      - .actual_access:  write_only
        .address_space:  global
        .offset:         16
        .size:           8
        .value_kind:     global_buffer
      - .address_space:  global
        .offset:         24
        .size:           8
        .value_kind:     global_buffer
      - .offset:         32
        .size:           4
        .value_kind:     by_value
      - .offset:         36
        .size:           4
        .value_kind:     by_value
      - .offset:         40
        .size:           4
        .value_kind:     by_value
      - .offset:         44
        .size:           4
        .value_kind:     by_value
      - .offset:         48
        .size:           4
        .value_kind:     hidden_block_count_x
      - .offset:         52
        .size:           4
        .value_kind:     hidden_block_count_y
      - .offset:         56
        .size:           4
        .value_kind:     hidden_block_count_z
      - .offset:         60
        .size:           2
        .value_kind:     hidden_group_size_x
      - .offset:         62
        .size:           2
        .value_kind:     hidden_group_size_y
      - .offset:         64
        .size:           2
        .value_kind:     hidden_group_size_z
      - .offset:         66
        .size:           2
        .value_kind:     hidden_remainder_x
      - .offset:         68
        .size:           2
        .value_kind:     hidden_remainder_y
      - .offset:         70
        .size:           2
        .value_kind:     hidden_remainder_z
      - .offset:         88
        .size:           8
        .value_kind:     hidden_global_offset_x
      - .offset:         96
        .size:           8
        .value_kind:     hidden_global_offset_y
      - .offset:         104
        .size:           8
        .value_kind:     hidden_global_offset_z
      - .offset:         112
        .size:           2
        .value_kind:     hidden_grid_dims
    .group_segment_fixed_size: 0
    .kernarg_segment_align: 8
    .kernarg_segment_size: 304
    .language:       OpenCL C
    .language_version:
      - 2
      - 0
    .max_flat_workgroup_size: 1024
    .name:           _ZL9moe_vec_qIN3c108BFloat16ELi256ELi8E11block_iq3_sLi1EXadL_ZL18vec_dot_iq3_s_q8_1PKvPK10block_q8_1RKiEEEvS4_S4_PT_PS8_iiii
    .private_segment_fixed_size: 0
    .sgpr_count:     24
    .sgpr_spill_count: 0
    .symbol:         _ZL9moe_vec_qIN3c108BFloat16ELi256ELi8E11block_iq3_sLi1EXadL_ZL18vec_dot_iq3_s_q8_1PKvPK10block_q8_1RKiEEEvS4_S4_PT_PS8_iiii.kd
    .uniform_work_group_size: 1
    .uses_dynamic_stack: false
    .vgpr_count:     46
    .vgpr_spill_count: 0
    .wavefront_size: 64
  - .agpr_count:     0
    .args:
      - .actual_access:  read_only
        .address_space:  global
        .offset:         0
        .size:           8
        .value_kind:     global_buffer
      - .actual_access:  read_only
        .address_space:  global
        .offset:         8
        .size:           8
        .value_kind:     global_buffer
      - .actual_access:  write_only
        .address_space:  global
        .offset:         16
        .size:           8
        .value_kind:     global_buffer
      - .address_space:  global
        .offset:         24
        .size:           8
        .value_kind:     global_buffer
      - .offset:         32
        .size:           4
        .value_kind:     by_value
      - .offset:         36
        .size:           4
        .value_kind:     by_value
      - .offset:         40
        .size:           4
        .value_kind:     by_value
      - .offset:         44
        .size:           4
        .value_kind:     by_value
      - .offset:         48
        .size:           4
        .value_kind:     hidden_block_count_x
      - .offset:         52
        .size:           4
        .value_kind:     hidden_block_count_y
      - .offset:         56
        .size:           4
        .value_kind:     hidden_block_count_z
      - .offset:         60
        .size:           2
        .value_kind:     hidden_group_size_x
      - .offset:         62
        .size:           2
        .value_kind:     hidden_group_size_y
      - .offset:         64
        .size:           2
        .value_kind:     hidden_group_size_z
      - .offset:         66
        .size:           2
        .value_kind:     hidden_remainder_x
      - .offset:         68
        .size:           2
        .value_kind:     hidden_remainder_y
      - .offset:         70
        .size:           2
        .value_kind:     hidden_remainder_z
      - .offset:         88
        .size:           8
        .value_kind:     hidden_global_offset_x
      - .offset:         96
        .size:           8
        .value_kind:     hidden_global_offset_y
      - .offset:         104
        .size:           8
        .value_kind:     hidden_global_offset_z
      - .offset:         112
        .size:           2
        .value_kind:     hidden_grid_dims
    .group_segment_fixed_size: 0
    .kernarg_segment_align: 8
    .kernarg_segment_size: 304
    .language:       OpenCL C
    .language_version:
      - 2
      - 0
    .max_flat_workgroup_size: 1024
    .name:           _ZL9moe_vec_qIN3c108BFloat16ELi256ELi8E11block_iq2_sLi1EXadL_ZL18vec_dot_iq2_s_q8_1PKvPK10block_q8_1RKiEEEvS4_S4_PT_PS8_iiii
    .private_segment_fixed_size: 0
    .sgpr_count:     24
    .sgpr_spill_count: 0
    .symbol:         _ZL9moe_vec_qIN3c108BFloat16ELi256ELi8E11block_iq2_sLi1EXadL_ZL18vec_dot_iq2_s_q8_1PKvPK10block_q8_1RKiEEEvS4_S4_PT_PS8_iiii.kd
    .uniform_work_group_size: 1
    .uses_dynamic_stack: false
    .vgpr_count:     63
    .vgpr_spill_count: 0
    .wavefront_size: 64
  - .agpr_count:     0
    .args:
      - .actual_access:  read_only
        .address_space:  global
        .offset:         0
        .size:           8
        .value_kind:     global_buffer
      - .actual_access:  read_only
        .address_space:  global
        .offset:         8
        .size:           8
        .value_kind:     global_buffer
      - .actual_access:  write_only
        .address_space:  global
        .offset:         16
        .size:           8
        .value_kind:     global_buffer
      - .address_space:  global
        .offset:         24
        .size:           8
        .value_kind:     global_buffer
      - .offset:         32
        .size:           4
        .value_kind:     by_value
      - .offset:         36
        .size:           4
        .value_kind:     by_value
      - .offset:         40
        .size:           4
        .value_kind:     by_value
      - .offset:         44
        .size:           4
        .value_kind:     by_value
      - .offset:         48
        .size:           4
        .value_kind:     hidden_block_count_x
      - .offset:         52
        .size:           4
        .value_kind:     hidden_block_count_y
      - .offset:         56
        .size:           4
        .value_kind:     hidden_block_count_z
      - .offset:         60
        .size:           2
        .value_kind:     hidden_group_size_x
      - .offset:         62
        .size:           2
        .value_kind:     hidden_group_size_y
      - .offset:         64
        .size:           2
        .value_kind:     hidden_group_size_z
      - .offset:         66
        .size:           2
        .value_kind:     hidden_remainder_x
      - .offset:         68
        .size:           2
        .value_kind:     hidden_remainder_y
      - .offset:         70
        .size:           2
        .value_kind:     hidden_remainder_z
      - .offset:         88
        .size:           8
        .value_kind:     hidden_global_offset_x
      - .offset:         96
        .size:           8
        .value_kind:     hidden_global_offset_y
      - .offset:         104
        .size:           8
        .value_kind:     hidden_global_offset_z
      - .offset:         112
        .size:           2
        .value_kind:     hidden_grid_dims
    .group_segment_fixed_size: 0
    .kernarg_segment_align: 8
    .kernarg_segment_size: 304
    .language:       OpenCL C
    .language_version:
      - 2
      - 0
    .max_flat_workgroup_size: 1024
    .name:           _ZL9moe_vec_qIN3c108BFloat16ELi256ELi8E12block_iq4_xsLi1EXadL_ZL19vec_dot_iq4_xs_q8_1PKvPK10block_q8_1RKiEEEvS4_S4_PT_PS8_iiii
    .private_segment_fixed_size: 0
    .sgpr_count:     24
    .sgpr_spill_count: 0
    .symbol:         _ZL9moe_vec_qIN3c108BFloat16ELi256ELi8E12block_iq4_xsLi1EXadL_ZL19vec_dot_iq4_xs_q8_1PKvPK10block_q8_1RKiEEEvS4_S4_PT_PS8_iiii.kd
    .uniform_work_group_size: 1
    .uses_dynamic_stack: false
    .vgpr_count:     64
    .vgpr_spill_count: 0
    .wavefront_size: 64
  - .agpr_count:     0
    .args:
      - .actual_access:  read_only
        .address_space:  global
        .offset:         0
        .size:           8
        .value_kind:     global_buffer
      - .actual_access:  read_only
        .address_space:  global
        .offset:         8
        .size:           8
        .value_kind:     global_buffer
      - .actual_access:  write_only
        .address_space:  global
        .offset:         16
        .size:           8
        .value_kind:     global_buffer
      - .address_space:  global
        .offset:         24
        .size:           8
        .value_kind:     global_buffer
      - .offset:         32
        .size:           4
        .value_kind:     by_value
      - .offset:         36
        .size:           4
        .value_kind:     by_value
      - .offset:         40
        .size:           4
        .value_kind:     by_value
      - .offset:         44
        .size:           4
        .value_kind:     by_value
      - .offset:         48
        .size:           4
        .value_kind:     hidden_block_count_x
      - .offset:         52
        .size:           4
        .value_kind:     hidden_block_count_y
      - .offset:         56
        .size:           4
        .value_kind:     hidden_block_count_z
      - .offset:         60
        .size:           2
        .value_kind:     hidden_group_size_x
      - .offset:         62
        .size:           2
        .value_kind:     hidden_group_size_y
      - .offset:         64
        .size:           2
        .value_kind:     hidden_group_size_z
      - .offset:         66
        .size:           2
        .value_kind:     hidden_remainder_x
      - .offset:         68
        .size:           2
        .value_kind:     hidden_remainder_y
      - .offset:         70
        .size:           2
        .value_kind:     hidden_remainder_z
      - .offset:         88
        .size:           8
        .value_kind:     hidden_global_offset_x
      - .offset:         96
        .size:           8
        .value_kind:     hidden_global_offset_y
      - .offset:         104
        .size:           8
        .value_kind:     hidden_global_offset_z
      - .offset:         112
        .size:           2
        .value_kind:     hidden_grid_dims
    .group_segment_fixed_size: 0
    .kernarg_segment_align: 8
    .kernarg_segment_size: 304
    .language:       OpenCL C
    .language_version:
      - 2
      - 0
    .max_flat_workgroup_size: 1024
    .name:           _ZL9moe_vec_qIN3c108BFloat16ELi256ELi8E11block_iq1_mLi1EXadL_ZL18vec_dot_iq1_m_q8_1PKvPK10block_q8_1RKiEEEvS4_S4_PT_PS8_iiii
    .private_segment_fixed_size: 0
    .sgpr_count:     26
    .sgpr_spill_count: 0
    .symbol:         _ZL9moe_vec_qIN3c108BFloat16ELi256ELi8E11block_iq1_mLi1EXadL_ZL18vec_dot_iq1_m_q8_1PKvPK10block_q8_1RKiEEEvS4_S4_PT_PS8_iiii.kd
    .uniform_work_group_size: 1
    .uses_dynamic_stack: false
    .vgpr_count:     44
    .vgpr_spill_count: 0
    .wavefront_size: 64
amdhsa.target:   amdgcn-amd-amdhsa--gfx90a
amdhsa.version:
  - 1
  - 2
...

	.end_amdgpu_metadata
